;; amdgpu-corpus repo=ROCm/rccl kind=compiled arch=gfx906 opt=O3
	.amdgcn_target "amdgcn-amd-amdhsa--gfx906"
	.amdhsa_code_object_version 6
	.text
	.p2align	2                               ; -- Begin function __ockl_fprintf_append_string_n
	.type	__ockl_fprintf_append_string_n,@function
__ockl_fprintf_append_string_n:         ; @__ockl_fprintf_append_string_n
; %bb.0:
	s_waitcnt vmcnt(0) expcnt(0) lgkmcnt(0)
	v_or_b32_e32 v2, 2, v0
	v_cmp_eq_u32_e32 vcc, 0, v6
	s_getpc_b64 s[4:5]
	s_add_u32 s4, s4, .str.3@rel32@lo+4
	s_addc_u32 s5, s5, .str.3@rel32@hi+12
	s_mov_b32 s20, 0
	v_cndmask_b32_e32 v36, v2, v0, vcc
	s_mov_b64 s[6:7], 0
	s_cmp_lg_u64 s[4:5], 0
	v_mbcnt_lo_u32_b32 v37, -1, 0
	s_cbranch_scc0 .LBB0_112
; %bb.1:
	s_load_dwordx2 s[10:11], s[8:9], 0x50
	s_getpc_b64 s[4:5]
	s_add_u32 s4, s4, .str.3@rel32@lo+4
	s_addc_u32 s5, s5, .str.3@rel32@hi+12
	v_and_b32_e32 v0, -3, v36
	v_mov_b32_e32 v31, s5
	v_mov_b32_e32 v11, v1
	v_and_b32_e32 v38, 2, v36
	v_mov_b32_e32 v3, 0
	v_mbcnt_hi_u32_b32 v39, -1, v37
	v_mov_b32_e32 v30, s4
	s_movk_i32 s21, 0x1e0
	v_mov_b32_e32 v8, 2
	v_mov_b32_e32 v9, 1
	;; [unrolled: 1-line block ×3, first 2 shown]
	s_branch .LBB0_3
.LBB0_2:                                ;   in Loop: Header=BB0_3 Depth=1
	s_or_b64 exec, exec, s[14:15]
	v_sub_co_u32_e32 v4, vcc, v4, v32
	v_subb_co_u32_e32 v5, vcc, v5, v33, vcc
	v_cmp_eq_u64_e32 vcc, 0, v[4:5]
	s_or_b64 s[6:7], vcc, s[6:7]
	v_add_co_u32_e32 v30, vcc, v30, v32
	v_addc_co_u32_e32 v31, vcc, v31, v33, vcc
	s_andn2_b64 exec, exec, s[6:7]
	s_cbranch_execz .LBB0_85
.LBB0_3:                                ; =>This Loop Header: Depth=1
                                        ;     Child Loop BB0_6 Depth 2
                                        ;     Child Loop BB0_14 Depth 2
	;; [unrolled: 1-line block ×11, first 2 shown]
	v_cmp_gt_u64_e32 vcc, 56, v[4:5]
	v_add_co_u32_e64 v16, s[4:5], 8, v30
	v_cndmask_b32_e32 v33, 0, v5, vcc
	v_cndmask_b32_e32 v32, 56, v4, vcc
	v_cmp_gt_u64_e32 vcc, 8, v[4:5]
	v_addc_co_u32_e64 v17, s[4:5], 0, v31, s[4:5]
	s_and_saveexec_b64 s[4:5], vcc
	s_xor_b64 s[4:5], exec, s[4:5]
	s_cbranch_execz .LBB0_9
; %bb.4:                                ;   in Loop: Header=BB0_3 Depth=1
	s_waitcnt vmcnt(0)
	v_mov_b32_e32 v12, 0
	v_cmp_ne_u64_e32 vcc, 0, v[4:5]
	v_mov_b32_e32 v13, 0
	s_and_saveexec_b64 s[12:13], vcc
	s_cbranch_execz .LBB0_8
; %bb.5:                                ;   in Loop: Header=BB0_3 Depth=1
	v_lshlrev_b64 v[6:7], 3, v[32:33]
	v_mov_b32_e32 v12, 0
	v_mov_b32_e32 v14, v30
	s_mov_b64 s[14:15], 0
	v_mov_b32_e32 v13, 0
	v_mov_b32_e32 v15, v31
	s_mov_b64 s[16:17], 0
.LBB0_6:                                ;   Parent Loop BB0_3 Depth=1
                                        ; =>  This Inner Loop Header: Depth=2
	global_load_ubyte v0, v[14:15], off
	v_mov_b32_e32 v17, s20
	v_add_co_u32_e32 v14, vcc, 1, v14
	v_addc_co_u32_e32 v15, vcc, 0, v15, vcc
	s_waitcnt vmcnt(0)
	v_and_b32_e32 v16, 0xffff, v0
	v_lshlrev_b64 v[16:17], s16, v[16:17]
	s_add_u32 s16, s16, 8
	s_addc_u32 s17, s17, 0
	v_cmp_eq_u32_e32 vcc, s16, v6
	v_or_b32_e32 v13, v17, v13
	s_or_b64 s[14:15], vcc, s[14:15]
	v_or_b32_e32 v12, v16, v12
	s_andn2_b64 exec, exec, s[14:15]
	s_cbranch_execnz .LBB0_6
; %bb.7:                                ;   in Loop: Header=BB0_3 Depth=1
	s_or_b64 exec, exec, s[14:15]
.LBB0_8:                                ;   in Loop: Header=BB0_3 Depth=1
	s_or_b64 exec, exec, s[12:13]
	v_mov_b32_e32 v16, v30
	v_mov_b32_e32 v17, v31
.LBB0_9:                                ;   in Loop: Header=BB0_3 Depth=1
	s_or_saveexec_b64 s[4:5], s[4:5]
	v_mov_b32_e32 v0, 0
	s_xor_b64 exec, exec, s[4:5]
	s_cbranch_execz .LBB0_11
; %bb.10:                               ;   in Loop: Header=BB0_3 Depth=1
	global_load_dwordx2 v[12:13], v[30:31], off
	v_add_u32_e32 v0, -8, v32
.LBB0_11:                               ;   in Loop: Header=BB0_3 Depth=1
	s_or_b64 exec, exec, s[4:5]
	v_add_co_u32_e64 v6, s[4:5], 8, v16
	v_cmp_gt_u32_e32 vcc, 8, v0
	v_addc_co_u32_e64 v7, s[4:5], 0, v17, s[4:5]
                                        ; implicit-def: $vgpr14_vgpr15
	s_and_saveexec_b64 s[4:5], vcc
	s_xor_b64 s[4:5], exec, s[4:5]
	s_cbranch_execz .LBB0_17
; %bb.12:                               ;   in Loop: Header=BB0_3 Depth=1
	v_mov_b32_e32 v14, 0
	v_mov_b32_e32 v15, 0
	v_cmp_ne_u32_e32 vcc, 0, v0
	s_and_saveexec_b64 s[12:13], vcc
	s_cbranch_execz .LBB0_16
; %bb.13:                               ;   in Loop: Header=BB0_3 Depth=1
	v_mov_b32_e32 v14, 0
	s_mov_b64 s[14:15], 0
	v_mov_b32_e32 v15, 0
	s_mov_b64 s[16:17], 0
	s_mov_b64 s[18:19], 0
.LBB0_14:                               ;   Parent Loop BB0_3 Depth=1
                                        ; =>  This Inner Loop Header: Depth=2
	v_mov_b32_e32 v2, s19
	v_add_co_u32_e32 v6, vcc, s18, v16
	v_addc_co_u32_e32 v7, vcc, v17, v2, vcc
	global_load_ubyte v2, v[6:7], off
	s_add_u32 s18, s18, 1
	v_mov_b32_e32 v7, s20
	s_addc_u32 s19, s19, 0
	v_cmp_eq_u32_e32 vcc, s18, v0
	s_waitcnt vmcnt(0)
	v_and_b32_e32 v6, 0xffff, v2
	v_lshlrev_b64 v[6:7], s16, v[6:7]
	s_add_u32 s16, s16, 8
	s_addc_u32 s17, s17, 0
	v_or_b32_e32 v15, v7, v15
	s_or_b64 s[14:15], vcc, s[14:15]
	v_or_b32_e32 v14, v6, v14
	s_andn2_b64 exec, exec, s[14:15]
	s_cbranch_execnz .LBB0_14
; %bb.15:                               ;   in Loop: Header=BB0_3 Depth=1
	s_or_b64 exec, exec, s[14:15]
.LBB0_16:                               ;   in Loop: Header=BB0_3 Depth=1
	s_or_b64 exec, exec, s[12:13]
	v_mov_b32_e32 v6, v16
	v_mov_b32_e32 v7, v17
                                        ; implicit-def: $vgpr0
.LBB0_17:                               ;   in Loop: Header=BB0_3 Depth=1
	s_or_saveexec_b64 s[4:5], s[4:5]
	v_mov_b32_e32 v2, 0
	s_xor_b64 exec, exec, s[4:5]
	s_cbranch_execz .LBB0_19
; %bb.18:                               ;   in Loop: Header=BB0_3 Depth=1
	global_load_dwordx2 v[14:15], v[16:17], off
	v_add_u32_e32 v2, -8, v0
.LBB0_19:                               ;   in Loop: Header=BB0_3 Depth=1
	s_or_b64 exec, exec, s[4:5]
	v_add_co_u32_e64 v20, s[4:5], 8, v6
	v_cmp_gt_u32_e32 vcc, 8, v2
	v_addc_co_u32_e64 v21, s[4:5], 0, v7, s[4:5]
	s_and_saveexec_b64 s[4:5], vcc
	s_xor_b64 s[4:5], exec, s[4:5]
	s_cbranch_execz .LBB0_25
; %bb.20:                               ;   in Loop: Header=BB0_3 Depth=1
	v_mov_b32_e32 v16, 0
	v_mov_b32_e32 v17, 0
	v_cmp_ne_u32_e32 vcc, 0, v2
	s_and_saveexec_b64 s[12:13], vcc
	s_cbranch_execz .LBB0_24
; %bb.21:                               ;   in Loop: Header=BB0_3 Depth=1
	v_mov_b32_e32 v16, 0
	s_mov_b64 s[14:15], 0
	v_mov_b32_e32 v17, 0
	s_mov_b64 s[16:17], 0
	s_mov_b64 s[18:19], 0
.LBB0_22:                               ;   Parent Loop BB0_3 Depth=1
                                        ; =>  This Inner Loop Header: Depth=2
	v_mov_b32_e32 v0, s19
	v_add_co_u32_e32 v18, vcc, s18, v6
	v_addc_co_u32_e32 v19, vcc, v7, v0, vcc
	global_load_ubyte v0, v[18:19], off
	s_add_u32 s18, s18, 1
	v_mov_b32_e32 v19, s20
	s_addc_u32 s19, s19, 0
	v_cmp_eq_u32_e32 vcc, s18, v2
	s_waitcnt vmcnt(0)
	v_and_b32_e32 v18, 0xffff, v0
	v_lshlrev_b64 v[18:19], s16, v[18:19]
	s_add_u32 s16, s16, 8
	s_addc_u32 s17, s17, 0
	v_or_b32_e32 v17, v19, v17
	s_or_b64 s[14:15], vcc, s[14:15]
	v_or_b32_e32 v16, v18, v16
	s_andn2_b64 exec, exec, s[14:15]
	s_cbranch_execnz .LBB0_22
; %bb.23:                               ;   in Loop: Header=BB0_3 Depth=1
	s_or_b64 exec, exec, s[14:15]
.LBB0_24:                               ;   in Loop: Header=BB0_3 Depth=1
	s_or_b64 exec, exec, s[12:13]
	v_mov_b32_e32 v21, v7
	v_mov_b32_e32 v20, v6
                                        ; implicit-def: $vgpr2
.LBB0_25:                               ;   in Loop: Header=BB0_3 Depth=1
	s_or_saveexec_b64 s[4:5], s[4:5]
	v_mov_b32_e32 v0, 0
	s_xor_b64 exec, exec, s[4:5]
	s_cbranch_execz .LBB0_27
; %bb.26:                               ;   in Loop: Header=BB0_3 Depth=1
	global_load_dwordx2 v[16:17], v[6:7], off
	v_add_u32_e32 v0, -8, v2
.LBB0_27:                               ;   in Loop: Header=BB0_3 Depth=1
	s_or_b64 exec, exec, s[4:5]
	v_add_co_u32_e64 v6, s[4:5], 8, v20
	v_cmp_gt_u32_e32 vcc, 8, v0
	v_addc_co_u32_e64 v7, s[4:5], 0, v21, s[4:5]
                                        ; implicit-def: $vgpr18_vgpr19
	s_and_saveexec_b64 s[4:5], vcc
	s_xor_b64 s[4:5], exec, s[4:5]
	s_cbranch_execz .LBB0_33
; %bb.28:                               ;   in Loop: Header=BB0_3 Depth=1
	v_mov_b32_e32 v18, 0
	v_mov_b32_e32 v19, 0
	v_cmp_ne_u32_e32 vcc, 0, v0
	s_and_saveexec_b64 s[12:13], vcc
	s_cbranch_execz .LBB0_32
; %bb.29:                               ;   in Loop: Header=BB0_3 Depth=1
	v_mov_b32_e32 v18, 0
	s_mov_b64 s[14:15], 0
	v_mov_b32_e32 v19, 0
	s_mov_b64 s[16:17], 0
	s_mov_b64 s[18:19], 0
.LBB0_30:                               ;   Parent Loop BB0_3 Depth=1
                                        ; =>  This Inner Loop Header: Depth=2
	v_mov_b32_e32 v2, s19
	v_add_co_u32_e32 v6, vcc, s18, v20
	v_addc_co_u32_e32 v7, vcc, v21, v2, vcc
	global_load_ubyte v2, v[6:7], off
	s_add_u32 s18, s18, 1
	v_mov_b32_e32 v7, s20
	s_addc_u32 s19, s19, 0
	v_cmp_eq_u32_e32 vcc, s18, v0
	s_waitcnt vmcnt(0)
	v_and_b32_e32 v6, 0xffff, v2
	v_lshlrev_b64 v[6:7], s16, v[6:7]
	s_add_u32 s16, s16, 8
	s_addc_u32 s17, s17, 0
	v_or_b32_e32 v19, v7, v19
	s_or_b64 s[14:15], vcc, s[14:15]
	v_or_b32_e32 v18, v6, v18
	s_andn2_b64 exec, exec, s[14:15]
	s_cbranch_execnz .LBB0_30
; %bb.31:                               ;   in Loop: Header=BB0_3 Depth=1
	s_or_b64 exec, exec, s[14:15]
.LBB0_32:                               ;   in Loop: Header=BB0_3 Depth=1
	s_or_b64 exec, exec, s[12:13]
	v_mov_b32_e32 v6, v20
	v_mov_b32_e32 v7, v21
                                        ; implicit-def: $vgpr0
.LBB0_33:                               ;   in Loop: Header=BB0_3 Depth=1
	s_or_saveexec_b64 s[4:5], s[4:5]
	v_mov_b32_e32 v2, 0
	s_xor_b64 exec, exec, s[4:5]
	s_cbranch_execz .LBB0_35
; %bb.34:                               ;   in Loop: Header=BB0_3 Depth=1
	global_load_dwordx2 v[18:19], v[20:21], off
	v_add_u32_e32 v2, -8, v0
.LBB0_35:                               ;   in Loop: Header=BB0_3 Depth=1
	s_or_b64 exec, exec, s[4:5]
	v_add_co_u32_e64 v24, s[4:5], 8, v6
	v_cmp_gt_u32_e32 vcc, 8, v2
	v_addc_co_u32_e64 v25, s[4:5], 0, v7, s[4:5]
	s_and_saveexec_b64 s[4:5], vcc
	s_xor_b64 s[4:5], exec, s[4:5]
	s_cbranch_execz .LBB0_41
; %bb.36:                               ;   in Loop: Header=BB0_3 Depth=1
	v_mov_b32_e32 v20, 0
	v_mov_b32_e32 v21, 0
	v_cmp_ne_u32_e32 vcc, 0, v2
	s_and_saveexec_b64 s[12:13], vcc
	s_cbranch_execz .LBB0_40
; %bb.37:                               ;   in Loop: Header=BB0_3 Depth=1
	v_mov_b32_e32 v20, 0
	s_mov_b64 s[14:15], 0
	v_mov_b32_e32 v21, 0
	s_mov_b64 s[16:17], 0
	s_mov_b64 s[18:19], 0
.LBB0_38:                               ;   Parent Loop BB0_3 Depth=1
                                        ; =>  This Inner Loop Header: Depth=2
	v_mov_b32_e32 v0, s19
	v_add_co_u32_e32 v22, vcc, s18, v6
	v_addc_co_u32_e32 v23, vcc, v7, v0, vcc
	global_load_ubyte v0, v[22:23], off
	s_add_u32 s18, s18, 1
	v_mov_b32_e32 v23, s20
	s_addc_u32 s19, s19, 0
	v_cmp_eq_u32_e32 vcc, s18, v2
	s_waitcnt vmcnt(0)
	v_and_b32_e32 v22, 0xffff, v0
	v_lshlrev_b64 v[22:23], s16, v[22:23]
	s_add_u32 s16, s16, 8
	s_addc_u32 s17, s17, 0
	v_or_b32_e32 v21, v23, v21
	s_or_b64 s[14:15], vcc, s[14:15]
	v_or_b32_e32 v20, v22, v20
	s_andn2_b64 exec, exec, s[14:15]
	s_cbranch_execnz .LBB0_38
; %bb.39:                               ;   in Loop: Header=BB0_3 Depth=1
	s_or_b64 exec, exec, s[14:15]
.LBB0_40:                               ;   in Loop: Header=BB0_3 Depth=1
	s_or_b64 exec, exec, s[12:13]
	v_mov_b32_e32 v25, v7
	v_mov_b32_e32 v24, v6
                                        ; implicit-def: $vgpr2
.LBB0_41:                               ;   in Loop: Header=BB0_3 Depth=1
	s_or_saveexec_b64 s[4:5], s[4:5]
	v_mov_b32_e32 v0, 0
	s_xor_b64 exec, exec, s[4:5]
	s_cbranch_execz .LBB0_43
; %bb.42:                               ;   in Loop: Header=BB0_3 Depth=1
	global_load_dwordx2 v[20:21], v[6:7], off
	v_add_u32_e32 v0, -8, v2
.LBB0_43:                               ;   in Loop: Header=BB0_3 Depth=1
	s_or_b64 exec, exec, s[4:5]
	v_add_co_u32_e64 v6, s[4:5], 8, v24
	v_cmp_gt_u32_e32 vcc, 8, v0
	v_addc_co_u32_e64 v7, s[4:5], 0, v25, s[4:5]
                                        ; implicit-def: $vgpr22_vgpr23
	s_and_saveexec_b64 s[4:5], vcc
	s_xor_b64 s[4:5], exec, s[4:5]
	s_cbranch_execz .LBB0_49
; %bb.44:                               ;   in Loop: Header=BB0_3 Depth=1
	v_mov_b32_e32 v22, 0
	v_mov_b32_e32 v23, 0
	v_cmp_ne_u32_e32 vcc, 0, v0
	s_and_saveexec_b64 s[12:13], vcc
	s_cbranch_execz .LBB0_48
; %bb.45:                               ;   in Loop: Header=BB0_3 Depth=1
	v_mov_b32_e32 v22, 0
	s_mov_b64 s[14:15], 0
	v_mov_b32_e32 v23, 0
	s_mov_b64 s[16:17], 0
	s_mov_b64 s[18:19], 0
.LBB0_46:                               ;   Parent Loop BB0_3 Depth=1
                                        ; =>  This Inner Loop Header: Depth=2
	v_mov_b32_e32 v2, s19
	v_add_co_u32_e32 v6, vcc, s18, v24
	v_addc_co_u32_e32 v7, vcc, v25, v2, vcc
	global_load_ubyte v2, v[6:7], off
	s_add_u32 s18, s18, 1
	v_mov_b32_e32 v7, s20
	s_addc_u32 s19, s19, 0
	v_cmp_eq_u32_e32 vcc, s18, v0
	s_waitcnt vmcnt(0)
	v_and_b32_e32 v6, 0xffff, v2
	v_lshlrev_b64 v[6:7], s16, v[6:7]
	s_add_u32 s16, s16, 8
	s_addc_u32 s17, s17, 0
	v_or_b32_e32 v23, v7, v23
	s_or_b64 s[14:15], vcc, s[14:15]
	v_or_b32_e32 v22, v6, v22
	s_andn2_b64 exec, exec, s[14:15]
	s_cbranch_execnz .LBB0_46
; %bb.47:                               ;   in Loop: Header=BB0_3 Depth=1
	s_or_b64 exec, exec, s[14:15]
.LBB0_48:                               ;   in Loop: Header=BB0_3 Depth=1
	s_or_b64 exec, exec, s[12:13]
	v_mov_b32_e32 v6, v24
	v_mov_b32_e32 v7, v25
                                        ; implicit-def: $vgpr0
.LBB0_49:                               ;   in Loop: Header=BB0_3 Depth=1
	s_or_saveexec_b64 s[4:5], s[4:5]
	v_mov_b32_e32 v2, 0
	s_xor_b64 exec, exec, s[4:5]
	s_cbranch_execz .LBB0_51
; %bb.50:                               ;   in Loop: Header=BB0_3 Depth=1
	global_load_dwordx2 v[22:23], v[24:25], off
	v_add_u32_e32 v2, -8, v0
.LBB0_51:                               ;   in Loop: Header=BB0_3 Depth=1
	s_or_b64 exec, exec, s[4:5]
	v_cmp_gt_u32_e32 vcc, 8, v2
	s_and_saveexec_b64 s[4:5], vcc
	s_xor_b64 s[4:5], exec, s[4:5]
	s_cbranch_execz .LBB0_57
; %bb.52:                               ;   in Loop: Header=BB0_3 Depth=1
	v_mov_b32_e32 v24, 0
	v_mov_b32_e32 v25, 0
	v_cmp_ne_u32_e32 vcc, 0, v2
	s_and_saveexec_b64 s[12:13], vcc
	s_cbranch_execz .LBB0_56
; %bb.53:                               ;   in Loop: Header=BB0_3 Depth=1
	v_mov_b32_e32 v24, 0
	s_mov_b64 s[14:15], 0
	v_mov_b32_e32 v25, 0
	s_mov_b64 s[16:17], 0
.LBB0_54:                               ;   Parent Loop BB0_3 Depth=1
                                        ; =>  This Inner Loop Header: Depth=2
	global_load_ubyte v0, v[6:7], off
	v_mov_b32_e32 v27, s20
	v_add_co_u32_e32 v6, vcc, 1, v6
	v_add_u32_e32 v2, -1, v2
	v_addc_co_u32_e32 v7, vcc, 0, v7, vcc
	v_cmp_eq_u32_e32 vcc, 0, v2
	s_waitcnt vmcnt(0)
	v_and_b32_e32 v26, 0xffff, v0
	v_lshlrev_b64 v[26:27], s16, v[26:27]
	s_add_u32 s16, s16, 8
	s_addc_u32 s17, s17, 0
	v_or_b32_e32 v25, v27, v25
	s_or_b64 s[14:15], vcc, s[14:15]
	v_or_b32_e32 v24, v26, v24
	s_andn2_b64 exec, exec, s[14:15]
	s_cbranch_execnz .LBB0_54
; %bb.55:                               ;   in Loop: Header=BB0_3 Depth=1
	s_or_b64 exec, exec, s[14:15]
.LBB0_56:                               ;   in Loop: Header=BB0_3 Depth=1
	s_or_b64 exec, exec, s[12:13]
                                        ; implicit-def: $vgpr6_vgpr7
.LBB0_57:                               ;   in Loop: Header=BB0_3 Depth=1
	s_andn2_saveexec_b64 s[4:5], s[4:5]
	s_cbranch_execz .LBB0_59
; %bb.58:                               ;   in Loop: Header=BB0_3 Depth=1
	global_load_dwordx2 v[24:25], v[6:7], off
.LBB0_59:                               ;   in Loop: Header=BB0_3 Depth=1
	s_or_b64 exec, exec, s[4:5]
	v_readfirstlane_b32 s4, v39
	v_mov_b32_e32 v6, 0
	v_mov_b32_e32 v7, 0
	v_cmp_eq_u32_e64 s[4:5], s4, v39
	s_and_saveexec_b64 s[12:13], s[4:5]
	s_cbranch_execz .LBB0_65
; %bb.60:                               ;   in Loop: Header=BB0_3 Depth=1
	s_waitcnt lgkmcnt(0)
	global_load_dwordx2 v[28:29], v3, s[10:11] offset:24 glc
	s_waitcnt vmcnt(0)
	buffer_wbinvl1_vol
	global_load_dwordx2 v[6:7], v3, s[10:11] offset:40
	global_load_dwordx2 v[26:27], v3, s[10:11]
	s_waitcnt vmcnt(1)
	v_and_b32_e32 v0, v6, v28
	v_and_b32_e32 v2, v7, v29
	v_mul_lo_u32 v2, v2, 24
	v_mul_hi_u32 v6, v0, 24
	v_mul_lo_u32 v0, v0, 24
	v_add_u32_e32 v2, v6, v2
	s_waitcnt vmcnt(0)
	v_add_co_u32_e32 v6, vcc, v26, v0
	v_addc_co_u32_e32 v7, vcc, v27, v2, vcc
	global_load_dwordx2 v[26:27], v[6:7], off glc
	s_waitcnt vmcnt(0)
	global_atomic_cmpswap_x2 v[6:7], v3, v[26:29], s[10:11] offset:24 glc
	s_waitcnt vmcnt(0)
	buffer_wbinvl1_vol
	v_cmp_ne_u64_e32 vcc, v[6:7], v[28:29]
	s_and_saveexec_b64 s[14:15], vcc
	s_cbranch_execz .LBB0_64
; %bb.61:                               ;   in Loop: Header=BB0_3 Depth=1
	s_mov_b64 s[16:17], 0
.LBB0_62:                               ;   Parent Loop BB0_3 Depth=1
                                        ; =>  This Inner Loop Header: Depth=2
	s_sleep 1
	global_load_dwordx2 v[26:27], v3, s[10:11] offset:40
	global_load_dwordx2 v[34:35], v3, s[10:11]
	v_mov_b32_e32 v29, v7
	v_mov_b32_e32 v28, v6
	s_waitcnt vmcnt(1)
	v_and_b32_e32 v0, v26, v28
	s_waitcnt vmcnt(0)
	v_mad_u64_u32 v[6:7], s[18:19], v0, 24, v[34:35]
	v_and_b32_e32 v2, v27, v29
	v_mov_b32_e32 v0, v7
	v_mad_u64_u32 v[26:27], s[18:19], v2, 24, v[0:1]
	v_mov_b32_e32 v7, v26
	global_load_dwordx2 v[26:27], v[6:7], off glc
	s_waitcnt vmcnt(0)
	global_atomic_cmpswap_x2 v[6:7], v3, v[26:29], s[10:11] offset:24 glc
	s_waitcnt vmcnt(0)
	buffer_wbinvl1_vol
	v_cmp_eq_u64_e32 vcc, v[6:7], v[28:29]
	s_or_b64 s[16:17], vcc, s[16:17]
	s_andn2_b64 exec, exec, s[16:17]
	s_cbranch_execnz .LBB0_62
; %bb.63:                               ;   in Loop: Header=BB0_3 Depth=1
	s_or_b64 exec, exec, s[16:17]
.LBB0_64:                               ;   in Loop: Header=BB0_3 Depth=1
	s_or_b64 exec, exec, s[14:15]
.LBB0_65:                               ;   in Loop: Header=BB0_3 Depth=1
	s_or_b64 exec, exec, s[12:13]
	s_waitcnt lgkmcnt(0)
	global_load_dwordx2 v[34:35], v3, s[10:11] offset:40
	global_load_dwordx4 v[26:29], v3, s[10:11]
	v_readfirstlane_b32 s13, v7
	v_readfirstlane_b32 s12, v6
	s_mov_b64 s[14:15], exec
	s_waitcnt vmcnt(1)
	v_readfirstlane_b32 s16, v34
	v_readfirstlane_b32 s17, v35
	s_and_b64 s[16:17], s[16:17], s[12:13]
	s_mul_i32 s18, s17, 24
	s_mul_hi_u32 s19, s16, 24
	s_mul_i32 s22, s16, 24
	s_add_i32 s18, s19, s18
	v_mov_b32_e32 v0, s18
	s_waitcnt vmcnt(0)
	v_add_co_u32_e32 v34, vcc, s22, v26
	v_addc_co_u32_e32 v35, vcc, v27, v0, vcc
	s_and_saveexec_b64 s[18:19], s[4:5]
	s_cbranch_execz .LBB0_67
; %bb.66:                               ;   in Loop: Header=BB0_3 Depth=1
	v_mov_b32_e32 v6, s14
	v_mov_b32_e32 v7, s15
	global_store_dwordx4 v[34:35], v[6:9], off offset:8
.LBB0_67:                               ;   in Loop: Header=BB0_3 Depth=1
	s_or_b64 exec, exec, s[18:19]
	s_lshl_b64 s[14:15], s[16:17], 12
	v_mov_b32_e32 v2, s15
	v_add_co_u32_e32 v0, vcc, s14, v28
	v_addc_co_u32_e32 v28, vcc, v29, v2, vcc
	v_cmp_gt_u64_e32 vcc, 57, v[4:5]
	v_and_b32_e32 v7, 0xffffff1f, v10
	v_cndmask_b32_e32 v2, 0, v38, vcc
	v_lshl_add_u32 v6, v32, 2, 28
	v_or_b32_e32 v2, v7, v2
	v_and_or_b32 v10, v6, s21, v2
	v_lshlrev_b32_e32 v29, 6, v39
	v_readfirstlane_b32 s14, v0
	v_readfirstlane_b32 s15, v28
	s_nop 4
	global_store_dwordx4 v29, v[10:13], s[14:15]
	global_store_dwordx4 v29, v[14:17], s[14:15] offset:16
	global_store_dwordx4 v29, v[18:21], s[14:15] offset:32
	;; [unrolled: 1-line block ×3, first 2 shown]
	s_and_saveexec_b64 s[14:15], s[4:5]
	s_cbranch_execz .LBB0_75
; %bb.68:                               ;   in Loop: Header=BB0_3 Depth=1
	global_load_dwordx2 v[14:15], v3, s[10:11] offset:32 glc
	global_load_dwordx2 v[6:7], v3, s[10:11] offset:40
	v_mov_b32_e32 v12, s12
	v_mov_b32_e32 v13, s13
	s_waitcnt vmcnt(0)
	v_readfirstlane_b32 s16, v6
	v_readfirstlane_b32 s17, v7
	s_and_b64 s[16:17], s[16:17], s[12:13]
	s_mul_i32 s17, s17, 24
	s_mul_hi_u32 s18, s16, 24
	s_mul_i32 s16, s16, 24
	s_add_i32 s17, s18, s17
	v_mov_b32_e32 v2, s17
	v_add_co_u32_e32 v6, vcc, s16, v26
	v_addc_co_u32_e32 v7, vcc, v27, v2, vcc
	global_store_dwordx2 v[6:7], v[14:15], off
	s_waitcnt vmcnt(0)
	global_atomic_cmpswap_x2 v[12:13], v3, v[12:15], s[10:11] offset:32 glc
	s_waitcnt vmcnt(0)
	v_cmp_ne_u64_e32 vcc, v[12:13], v[14:15]
	s_and_saveexec_b64 s[16:17], vcc
	s_cbranch_execz .LBB0_71
; %bb.69:                               ;   in Loop: Header=BB0_3 Depth=1
	s_mov_b64 s[18:19], 0
.LBB0_70:                               ;   Parent Loop BB0_3 Depth=1
                                        ; =>  This Inner Loop Header: Depth=2
	s_sleep 1
	global_store_dwordx2 v[6:7], v[12:13], off
	v_mov_b32_e32 v10, s12
	v_mov_b32_e32 v11, s13
	s_waitcnt vmcnt(0)
	global_atomic_cmpswap_x2 v[10:11], v3, v[10:13], s[10:11] offset:32 glc
	s_waitcnt vmcnt(0)
	v_cmp_eq_u64_e32 vcc, v[10:11], v[12:13]
	v_mov_b32_e32 v13, v11
	s_or_b64 s[18:19], vcc, s[18:19]
	v_mov_b32_e32 v12, v10
	s_andn2_b64 exec, exec, s[18:19]
	s_cbranch_execnz .LBB0_70
.LBB0_71:                               ;   in Loop: Header=BB0_3 Depth=1
	s_or_b64 exec, exec, s[16:17]
	global_load_dwordx2 v[6:7], v3, s[10:11] offset:16
	s_mov_b64 s[18:19], exec
	v_mbcnt_lo_u32_b32 v2, s18, 0
	v_mbcnt_hi_u32_b32 v2, s19, v2
	v_cmp_eq_u32_e32 vcc, 0, v2
	s_and_saveexec_b64 s[16:17], vcc
	s_cbranch_execz .LBB0_73
; %bb.72:                               ;   in Loop: Header=BB0_3 Depth=1
	s_bcnt1_i32_b64 s18, s[18:19]
	v_mov_b32_e32 v2, s18
	s_waitcnt vmcnt(0)
	global_atomic_add_x2 v[6:7], v[2:3], off offset:8
.LBB0_73:                               ;   in Loop: Header=BB0_3 Depth=1
	s_or_b64 exec, exec, s[16:17]
	s_waitcnt vmcnt(0)
	global_load_dwordx2 v[10:11], v[6:7], off offset:16
	s_waitcnt vmcnt(0)
	v_cmp_eq_u64_e32 vcc, 0, v[10:11]
	s_cbranch_vccnz .LBB0_75
; %bb.74:                               ;   in Loop: Header=BB0_3 Depth=1
	global_load_dword v2, v[6:7], off offset:24
	s_waitcnt vmcnt(0)
	v_readfirstlane_b32 s16, v2
	s_and_b32 m0, s16, 0xffffff
	global_store_dwordx2 v[10:11], v[2:3], off
	s_sendmsg sendmsg(MSG_INTERRUPT)
.LBB0_75:                               ;   in Loop: Header=BB0_3 Depth=1
	s_or_b64 exec, exec, s[14:15]
	v_add_co_u32_e32 v6, vcc, v0, v29
	v_addc_co_u32_e32 v7, vcc, 0, v28, vcc
	s_branch .LBB0_79
.LBB0_76:                               ;   in Loop: Header=BB0_79 Depth=2
	s_or_b64 exec, exec, s[14:15]
	v_readfirstlane_b32 s14, v0
	s_cmp_eq_u32 s14, 0
	s_cbranch_scc1 .LBB0_78
; %bb.77:                               ;   in Loop: Header=BB0_79 Depth=2
	s_sleep 1
	s_cbranch_execnz .LBB0_79
	s_branch .LBB0_81
.LBB0_78:                               ;   in Loop: Header=BB0_3 Depth=1
	s_branch .LBB0_81
.LBB0_79:                               ;   Parent Loop BB0_3 Depth=1
                                        ; =>  This Inner Loop Header: Depth=2
	v_mov_b32_e32 v0, 1
	s_and_saveexec_b64 s[14:15], s[4:5]
	s_cbranch_execz .LBB0_76
; %bb.80:                               ;   in Loop: Header=BB0_79 Depth=2
	global_load_dword v0, v[34:35], off offset:20 glc
	s_waitcnt vmcnt(0)
	buffer_wbinvl1_vol
	v_and_b32_e32 v0, 1, v0
	s_branch .LBB0_76
.LBB0_81:                               ;   in Loop: Header=BB0_3 Depth=1
	global_load_dwordx4 v[10:13], v[6:7], off
	s_and_saveexec_b64 s[14:15], s[4:5]
	s_cbranch_execz .LBB0_2
; %bb.82:                               ;   in Loop: Header=BB0_3 Depth=1
	global_load_dwordx2 v[6:7], v3, s[10:11] offset:40
	global_load_dwordx2 v[16:17], v3, s[10:11] offset:24 glc
	global_load_dwordx2 v[12:13], v3, s[10:11]
	s_waitcnt vmcnt(2)
	v_readfirstlane_b32 s16, v6
	v_readfirstlane_b32 s17, v7
	s_add_u32 s18, s16, 1
	s_addc_u32 s19, s17, 0
	s_add_u32 s4, s18, s12
	s_addc_u32 s5, s19, s13
	s_cmp_eq_u64 s[4:5], 0
	s_cselect_b32 s5, s19, s5
	s_cselect_b32 s4, s18, s4
	s_and_b64 s[12:13], s[4:5], s[16:17]
	s_mul_i32 s13, s13, 24
	s_mul_hi_u32 s16, s12, 24
	s_mul_i32 s12, s12, 24
	s_add_i32 s13, s16, s13
	v_mov_b32_e32 v0, s13
	s_waitcnt vmcnt(0)
	v_add_co_u32_e32 v6, vcc, s12, v12
	v_addc_co_u32_e32 v7, vcc, v13, v0, vcc
	v_mov_b32_e32 v14, s4
	global_store_dwordx2 v[6:7], v[16:17], off
	v_mov_b32_e32 v15, s5
	s_waitcnt vmcnt(0)
	global_atomic_cmpswap_x2 v[14:15], v3, v[14:17], s[10:11] offset:24 glc
	s_waitcnt vmcnt(0)
	v_cmp_ne_u64_e32 vcc, v[14:15], v[16:17]
	s_and_b64 exec, exec, vcc
	s_cbranch_execz .LBB0_2
; %bb.83:                               ;   in Loop: Header=BB0_3 Depth=1
	s_mov_b64 s[12:13], 0
.LBB0_84:                               ;   Parent Loop BB0_3 Depth=1
                                        ; =>  This Inner Loop Header: Depth=2
	s_sleep 1
	global_store_dwordx2 v[6:7], v[14:15], off
	v_mov_b32_e32 v12, s4
	v_mov_b32_e32 v13, s5
	s_waitcnt vmcnt(0)
	global_atomic_cmpswap_x2 v[12:13], v3, v[12:15], s[10:11] offset:24 glc
	s_waitcnt vmcnt(0)
	v_cmp_eq_u64_e32 vcc, v[12:13], v[14:15]
	v_mov_b32_e32 v15, v13
	s_or_b64 s[12:13], vcc, s[12:13]
	v_mov_b32_e32 v14, v12
	s_andn2_b64 exec, exec, s[12:13]
	s_cbranch_execnz .LBB0_84
	s_branch .LBB0_2
.LBB0_85:
	s_or_b64 exec, exec, s[6:7]
	s_branch .LBB0_113
.LBB0_86:
	s_load_dwordx2 s[6:7], s[8:9], 0x50
	v_mbcnt_hi_u32_b32 v3, -1, v37
	v_readfirstlane_b32 s4, v3
	v_mov_b32_e32 v8, 0
	v_mov_b32_e32 v9, 0
	v_cmp_eq_u32_e64 s[4:5], s4, v3
	s_and_saveexec_b64 s[8:9], s[4:5]
	s_cbranch_execz .LBB0_92
; %bb.87:
	v_mov_b32_e32 v0, 0
	s_waitcnt lgkmcnt(0)
	global_load_dwordx2 v[6:7], v0, s[6:7] offset:24 glc
	s_waitcnt vmcnt(0)
	buffer_wbinvl1_vol
	global_load_dwordx2 v[4:5], v0, s[6:7] offset:40
	global_load_dwordx2 v[8:9], v0, s[6:7]
	s_waitcnt vmcnt(1)
	v_and_b32_e32 v2, v4, v6
	v_and_b32_e32 v4, v5, v7
	v_mul_lo_u32 v4, v4, 24
	v_mul_hi_u32 v5, v2, 24
	v_mul_lo_u32 v2, v2, 24
	v_add_u32_e32 v5, v5, v4
	s_waitcnt vmcnt(0)
	v_add_co_u32_e32 v4, vcc, v8, v2
	v_addc_co_u32_e32 v5, vcc, v9, v5, vcc
	global_load_dwordx2 v[4:5], v[4:5], off glc
	s_waitcnt vmcnt(0)
	global_atomic_cmpswap_x2 v[8:9], v0, v[4:7], s[6:7] offset:24 glc
	s_waitcnt vmcnt(0)
	buffer_wbinvl1_vol
	v_cmp_ne_u64_e32 vcc, v[8:9], v[6:7]
	s_and_saveexec_b64 s[10:11], vcc
	s_cbranch_execz .LBB0_91
; %bb.88:
	s_mov_b64 s[12:13], 0
.LBB0_89:                               ; =>This Inner Loop Header: Depth=1
	s_sleep 1
	global_load_dwordx2 v[4:5], v0, s[6:7] offset:40
	global_load_dwordx2 v[10:11], v0, s[6:7]
	v_mov_b32_e32 v6, v8
	v_mov_b32_e32 v7, v9
	s_waitcnt vmcnt(1)
	v_and_b32_e32 v2, v4, v6
	s_waitcnt vmcnt(0)
	v_mad_u64_u32 v[8:9], s[14:15], v2, 24, v[10:11]
	v_and_b32_e32 v4, v5, v7
	v_mov_b32_e32 v2, v9
	v_mad_u64_u32 v[4:5], s[14:15], v4, 24, v[2:3]
	v_mov_b32_e32 v9, v4
	global_load_dwordx2 v[4:5], v[8:9], off glc
	s_waitcnt vmcnt(0)
	global_atomic_cmpswap_x2 v[8:9], v0, v[4:7], s[6:7] offset:24 glc
	s_waitcnt vmcnt(0)
	buffer_wbinvl1_vol
	v_cmp_eq_u64_e32 vcc, v[8:9], v[6:7]
	s_or_b64 s[12:13], vcc, s[12:13]
	s_andn2_b64 exec, exec, s[12:13]
	s_cbranch_execnz .LBB0_89
; %bb.90:
	s_or_b64 exec, exec, s[12:13]
.LBB0_91:
	s_or_b64 exec, exec, s[10:11]
.LBB0_92:
	s_or_b64 exec, exec, s[8:9]
	v_mov_b32_e32 v2, 0
	s_waitcnt lgkmcnt(0)
	global_load_dwordx2 v[10:11], v2, s[6:7] offset:40
	global_load_dwordx4 v[4:7], v2, s[6:7]
	v_readfirstlane_b32 s9, v9
	v_readfirstlane_b32 s8, v8
	s_mov_b64 s[10:11], exec
	s_waitcnt vmcnt(1)
	v_readfirstlane_b32 s12, v10
	v_readfirstlane_b32 s13, v11
	s_and_b64 s[12:13], s[12:13], s[8:9]
	s_mul_i32 s14, s13, 24
	s_mul_hi_u32 s15, s12, 24
	s_mul_i32 s16, s12, 24
	s_add_i32 s14, s15, s14
	v_mov_b32_e32 v0, s14
	s_waitcnt vmcnt(0)
	v_add_co_u32_e32 v8, vcc, s16, v4
	v_addc_co_u32_e32 v9, vcc, v5, v0, vcc
	s_and_saveexec_b64 s[14:15], s[4:5]
	s_cbranch_execz .LBB0_94
; %bb.93:
	v_mov_b32_e32 v10, s10
	v_mov_b32_e32 v11, s11
	;; [unrolled: 1-line block ×4, first 2 shown]
	global_store_dwordx4 v[8:9], v[10:13], off offset:8
.LBB0_94:
	s_or_b64 exec, exec, s[14:15]
	s_lshl_b64 s[10:11], s[12:13], 12
	v_mov_b32_e32 v0, s11
	v_add_co_u32_e32 v6, vcc, s10, v6
	v_addc_co_u32_e32 v7, vcc, v7, v0, vcc
	s_movk_i32 s10, 0xff1f
	v_and_or_b32 v0, v36, s10, 32
	v_lshlrev_b32_e32 v10, 6, v3
	s_mov_b32 s12, 0
	v_mov_b32_e32 v3, v2
	v_readfirstlane_b32 s10, v6
	v_readfirstlane_b32 s11, v7
	s_mov_b32 s13, s12
	s_mov_b32 s14, s12
	;; [unrolled: 1-line block ×3, first 2 shown]
	s_nop 1
	global_store_dwordx4 v10, v[0:3], s[10:11]
	s_nop 0
	v_mov_b32_e32 v0, s12
	v_mov_b32_e32 v1, s13
	;; [unrolled: 1-line block ×4, first 2 shown]
	global_store_dwordx4 v10, v[0:3], s[10:11] offset:16
	global_store_dwordx4 v10, v[0:3], s[10:11] offset:32
	;; [unrolled: 1-line block ×3, first 2 shown]
	s_and_saveexec_b64 s[10:11], s[4:5]
	s_cbranch_execz .LBB0_102
; %bb.95:
	v_mov_b32_e32 v6, 0
	global_load_dwordx2 v[12:13], v6, s[6:7] offset:32 glc
	global_load_dwordx2 v[0:1], v6, s[6:7] offset:40
	v_mov_b32_e32 v10, s8
	v_mov_b32_e32 v11, s9
	s_waitcnt vmcnt(0)
	v_and_b32_e32 v0, s8, v0
	v_and_b32_e32 v1, s9, v1
	v_mul_lo_u32 v1, v1, 24
	v_mul_hi_u32 v2, v0, 24
	v_mul_lo_u32 v0, v0, 24
	v_add_u32_e32 v1, v2, v1
	v_add_co_u32_e32 v4, vcc, v4, v0
	v_addc_co_u32_e32 v5, vcc, v5, v1, vcc
	global_store_dwordx2 v[4:5], v[12:13], off
	s_waitcnt vmcnt(0)
	global_atomic_cmpswap_x2 v[2:3], v6, v[10:13], s[6:7] offset:32 glc
	s_waitcnt vmcnt(0)
	v_cmp_ne_u64_e32 vcc, v[2:3], v[12:13]
	s_and_saveexec_b64 s[12:13], vcc
	s_cbranch_execz .LBB0_98
; %bb.96:
	s_mov_b64 s[14:15], 0
.LBB0_97:                               ; =>This Inner Loop Header: Depth=1
	s_sleep 1
	global_store_dwordx2 v[4:5], v[2:3], off
	v_mov_b32_e32 v0, s8
	v_mov_b32_e32 v1, s9
	s_waitcnt vmcnt(0)
	global_atomic_cmpswap_x2 v[0:1], v6, v[0:3], s[6:7] offset:32 glc
	s_waitcnt vmcnt(0)
	v_cmp_eq_u64_e32 vcc, v[0:1], v[2:3]
	v_mov_b32_e32 v3, v1
	s_or_b64 s[14:15], vcc, s[14:15]
	v_mov_b32_e32 v2, v0
	s_andn2_b64 exec, exec, s[14:15]
	s_cbranch_execnz .LBB0_97
.LBB0_98:
	s_or_b64 exec, exec, s[12:13]
	v_mov_b32_e32 v3, 0
	global_load_dwordx2 v[0:1], v3, s[6:7] offset:16
	s_mov_b64 s[12:13], exec
	v_mbcnt_lo_u32_b32 v2, s12, 0
	v_mbcnt_hi_u32_b32 v2, s13, v2
	v_cmp_eq_u32_e32 vcc, 0, v2
	s_and_saveexec_b64 s[14:15], vcc
	s_cbranch_execz .LBB0_100
; %bb.99:
	s_bcnt1_i32_b64 s12, s[12:13]
	v_mov_b32_e32 v2, s12
	s_waitcnt vmcnt(0)
	global_atomic_add_x2 v[0:1], v[2:3], off offset:8
.LBB0_100:
	s_or_b64 exec, exec, s[14:15]
	s_waitcnt vmcnt(0)
	global_load_dwordx2 v[2:3], v[0:1], off offset:16
	s_waitcnt vmcnt(0)
	v_cmp_eq_u64_e32 vcc, 0, v[2:3]
	s_cbranch_vccnz .LBB0_102
; %bb.101:
	global_load_dword v0, v[0:1], off offset:24
	v_mov_b32_e32 v1, 0
	s_waitcnt vmcnt(0)
	v_readfirstlane_b32 s12, v0
	s_and_b32 m0, s12, 0xffffff
	global_store_dwordx2 v[2:3], v[0:1], off
	s_sendmsg sendmsg(MSG_INTERRUPT)
.LBB0_102:
	s_or_b64 exec, exec, s[10:11]
	s_branch .LBB0_106
.LBB0_103:                              ;   in Loop: Header=BB0_106 Depth=1
	s_or_b64 exec, exec, s[10:11]
	v_readfirstlane_b32 s10, v0
	s_cmp_eq_u32 s10, 0
	s_cbranch_scc1 .LBB0_105
; %bb.104:                              ;   in Loop: Header=BB0_106 Depth=1
	s_sleep 1
	s_cbranch_execnz .LBB0_106
	s_branch .LBB0_108
.LBB0_105:
	s_branch .LBB0_108
.LBB0_106:                              ; =>This Inner Loop Header: Depth=1
	v_mov_b32_e32 v0, 1
	s_and_saveexec_b64 s[10:11], s[4:5]
	s_cbranch_execz .LBB0_103
; %bb.107:                              ;   in Loop: Header=BB0_106 Depth=1
	global_load_dword v0, v[8:9], off offset:20 glc
	s_waitcnt vmcnt(0)
	buffer_wbinvl1_vol
	v_and_b32_e32 v0, 1, v0
	s_branch .LBB0_103
.LBB0_108:
	s_and_saveexec_b64 s[10:11], s[4:5]
	s_cbranch_execz .LBB0_111
; %bb.109:
	v_mov_b32_e32 v6, 0
	global_load_dwordx2 v[0:1], v6, s[6:7] offset:40
	global_load_dwordx2 v[9:10], v6, s[6:7] offset:24 glc
	global_load_dwordx2 v[2:3], v6, s[6:7]
	s_waitcnt vmcnt(2)
	v_readfirstlane_b32 s12, v0
	v_readfirstlane_b32 s13, v1
	s_add_u32 s14, s12, 1
	s_addc_u32 s15, s13, 0
	s_add_u32 s4, s14, s8
	s_addc_u32 s5, s15, s9
	s_cmp_eq_u64 s[4:5], 0
	s_cselect_b32 s5, s15, s5
	s_cselect_b32 s4, s14, s4
	s_and_b64 s[8:9], s[4:5], s[12:13]
	s_mul_i32 s9, s9, 24
	s_mul_hi_u32 s12, s8, 24
	s_mul_i32 s8, s8, 24
	s_add_i32 s9, s12, s9
	v_mov_b32_e32 v0, s9
	s_waitcnt vmcnt(0)
	v_add_co_u32_e32 v4, vcc, s8, v2
	v_addc_co_u32_e32 v5, vcc, v3, v0, vcc
	v_mov_b32_e32 v7, s4
	global_store_dwordx2 v[4:5], v[9:10], off
	v_mov_b32_e32 v8, s5
	s_waitcnt vmcnt(0)
	global_atomic_cmpswap_x2 v[2:3], v6, v[7:10], s[6:7] offset:24 glc
	s_mov_b64 s[8:9], 0
	s_waitcnt vmcnt(0)
	v_cmp_ne_u64_e32 vcc, v[2:3], v[9:10]
	s_and_b64 exec, exec, vcc
	s_cbranch_execz .LBB0_111
.LBB0_110:                              ; =>This Inner Loop Header: Depth=1
	s_sleep 1
	global_store_dwordx2 v[4:5], v[2:3], off
	v_mov_b32_e32 v0, s4
	v_mov_b32_e32 v1, s5
	s_waitcnt vmcnt(0)
	global_atomic_cmpswap_x2 v[0:1], v6, v[0:3], s[6:7] offset:24 glc
	s_waitcnt vmcnt(0)
	v_cmp_eq_u64_e32 vcc, v[0:1], v[2:3]
	v_mov_b32_e32 v3, v1
	s_or_b64 s[8:9], vcc, s[8:9]
	v_mov_b32_e32 v2, v0
	s_andn2_b64 exec, exec, s[8:9]
	s_cbranch_execnz .LBB0_110
.LBB0_111:
	s_or_b64 exec, exec, s[10:11]
	s_waitcnt vmcnt(0) lgkmcnt(0)
	s_setpc_b64 s[30:31]
.LBB0_112:
	s_cbranch_execnz .LBB0_86
.LBB0_113:
	s_waitcnt vmcnt(0) lgkmcnt(0)
	s_setpc_b64 s[30:31]
.Lfunc_end0:
	.size	__ockl_fprintf_append_string_n, .Lfunc_end0-__ockl_fprintf_append_string_n
                                        ; -- End function
	.set .L__ockl_fprintf_append_string_n.num_vgpr, 40
	.set .L__ockl_fprintf_append_string_n.num_agpr, 0
	.set .L__ockl_fprintf_append_string_n.numbered_sgpr, 32
	.set .L__ockl_fprintf_append_string_n.num_named_barrier, 0
	.set .L__ockl_fprintf_append_string_n.private_seg_size, 0
	.set .L__ockl_fprintf_append_string_n.uses_vcc, 1
	.set .L__ockl_fprintf_append_string_n.uses_flat_scratch, 0
	.set .L__ockl_fprintf_append_string_n.has_dyn_sized_stack, 0
	.set .L__ockl_fprintf_append_string_n.has_recursion, 0
	.set .L__ockl_fprintf_append_string_n.has_indirect_call, 0
	.section	.AMDGPU.csdata,"",@progbits
; Function info:
; codeLenInByte = 3900
; TotalNumSgprs: 36
; NumVgprs: 40
; ScratchSize: 0
; MemoryBound: 0
	.text
	.p2align	2                               ; -- Begin function __assert_fail
	.type	__assert_fail,@function
__assert_fail:                          ; @__assert_fail
; %bb.0:
	s_waitcnt vmcnt(0) expcnt(0) lgkmcnt(0)
	s_mov_b32 s25, s33
	s_mov_b32 s33, s32
	s_or_saveexec_b64 s[4:5], -1
	buffer_store_dword v40, off, s[0:3], s33 offset:48 ; 4-byte Folded Spill
	s_mov_b64 exec, s[4:5]
	v_writelane_b32 v40, s30, 0
	s_addk_i32 s32, 0x1000
	v_writelane_b32 v40, s31, 1
	v_mov_b32_e32 v8, 0
	s_getpc_b64 s[4:5]
	s_add_u32 s4, s4, __const.__assert_fail.fmt@rel32@lo+35
	s_addc_u32 s5, s5, __const.__assert_fail.fmt@rel32@hi+43
	v_mov_b32_e32 v5, v1
	v_mov_b32_e32 v4, v0
	global_load_dwordx4 v[0:3], v8, s[4:5]
	s_getpc_b64 s[16:17]
	s_add_u32 s16, s16, __const.__assert_fail.fmt@rel32@lo+4
	s_addc_u32 s17, s17, __const.__assert_fail.fmt@rel32@hi+12
	s_getpc_b64 s[18:19]
	s_add_u32 s18, s18, __const.__assert_fail.fmt@rel32@lo+20
	s_addc_u32 s19, s19, __const.__assert_fail.fmt@rel32@hi+28
	v_mbcnt_lo_u32_b32 v9, -1, 0
	s_load_dwordx4 s[4:7], s[16:17], 0x0
	s_load_dwordx4 s[12:15], s[18:19], 0x0
	s_load_dwordx2 s[10:11], s[8:9], 0x50
	v_mbcnt_hi_u32_b32 v34, -1, v9
	v_mov_b32_e32 v6, 0
	v_readfirstlane_b32 s16, v34
	v_mov_b32_e32 v7, 0
	s_waitcnt lgkmcnt(0)
	v_mov_b32_e32 v9, s7
	v_mov_b32_e32 v11, s5
	;; [unrolled: 1-line block ×3, first 2 shown]
	v_cmp_eq_u32_e64 s[4:5], s16, v34
	v_mov_b32_e32 v10, s6
	v_mov_b32_e32 v13, s15
	;; [unrolled: 1-line block ×5, first 2 shown]
	buffer_store_dword v9, off, s[0:3], s33 offset:12
	buffer_store_dword v10, off, s[0:3], s33 offset:8
	buffer_store_dword v11, off, s[0:3], s33 offset:4
	buffer_store_dword v12, off, s[0:3], s33
	buffer_store_dword v13, off, s[0:3], s33 offset:28
	buffer_store_dword v14, off, s[0:3], s33 offset:24
	;; [unrolled: 1-line block ×4, first 2 shown]
	s_waitcnt vmcnt(8)
	buffer_store_dword v3, off, s[0:3], s33 offset:43
	buffer_store_dword v2, off, s[0:3], s33 offset:39
	;; [unrolled: 1-line block ×4, first 2 shown]
	s_and_saveexec_b64 s[6:7], s[4:5]
	s_cbranch_execz .LBB1_6
; %bb.1:
	global_load_dwordx2 v[2:3], v8, s[10:11] offset:24 glc
	s_waitcnt vmcnt(0)
	buffer_wbinvl1_vol
	global_load_dwordx2 v[0:1], v8, s[10:11] offset:40
	global_load_dwordx2 v[6:7], v8, s[10:11]
	s_waitcnt vmcnt(1)
	v_and_b32_e32 v0, v0, v2
	v_and_b32_e32 v1, v1, v3
	v_mul_lo_u32 v1, v1, 24
	v_mul_hi_u32 v9, v0, 24
	v_mul_lo_u32 v0, v0, 24
	v_add_u32_e32 v1, v9, v1
	s_waitcnt vmcnt(0)
	v_add_co_u32_e32 v0, vcc, v6, v0
	v_addc_co_u32_e32 v1, vcc, v7, v1, vcc
	global_load_dwordx2 v[0:1], v[0:1], off glc
	s_waitcnt vmcnt(0)
	global_atomic_cmpswap_x2 v[6:7], v8, v[0:3], s[10:11] offset:24 glc
	s_waitcnt vmcnt(0)
	buffer_wbinvl1_vol
	v_cmp_ne_u64_e32 vcc, v[6:7], v[2:3]
	s_and_saveexec_b64 s[12:13], vcc
	s_cbranch_execz .LBB1_5
; %bb.2:
	s_mov_b64 s[14:15], 0
	v_mov_b32_e32 v0, 0
.LBB1_3:                                ; =>This Inner Loop Header: Depth=1
	s_sleep 1
	global_load_dwordx2 v[1:2], v0, s[10:11] offset:40
	global_load_dwordx2 v[9:10], v0, s[10:11]
	v_mov_b32_e32 v12, v7
	v_mov_b32_e32 v11, v6
	s_waitcnt vmcnt(1)
	v_and_b32_e32 v1, v1, v11
	s_waitcnt vmcnt(0)
	v_mad_u64_u32 v[6:7], s[16:17], v1, 24, v[9:10]
	v_and_b32_e32 v2, v2, v12
	v_mov_b32_e32 v1, v7
	v_mad_u64_u32 v[1:2], s[16:17], v2, 24, v[1:2]
	v_mov_b32_e32 v7, v1
	global_load_dwordx2 v[9:10], v[6:7], off glc
	s_waitcnt vmcnt(0)
	global_atomic_cmpswap_x2 v[6:7], v0, v[9:12], s[10:11] offset:24 glc
	s_waitcnt vmcnt(0)
	buffer_wbinvl1_vol
	v_cmp_eq_u64_e32 vcc, v[6:7], v[11:12]
	s_or_b64 s[14:15], vcc, s[14:15]
	s_andn2_b64 exec, exec, s[14:15]
	s_cbranch_execnz .LBB1_3
; %bb.4:
	s_or_b64 exec, exec, s[14:15]
.LBB1_5:
	s_or_b64 exec, exec, s[12:13]
.LBB1_6:
	s_or_b64 exec, exec, s[6:7]
	global_load_dwordx2 v[9:10], v8, s[10:11] offset:40
	global_load_dwordx4 v[0:3], v8, s[10:11]
	v_readfirstlane_b32 s7, v7
	v_readfirstlane_b32 s6, v6
	s_mov_b64 s[12:13], exec
	s_waitcnt vmcnt(1)
	v_readfirstlane_b32 s14, v9
	v_readfirstlane_b32 s15, v10
	s_and_b64 s[14:15], s[14:15], s[6:7]
	s_mul_i32 s16, s15, 24
	s_mul_hi_u32 s17, s14, 24
	s_mul_i32 s18, s14, 24
	s_add_i32 s16, s17, s16
	v_mov_b32_e32 v6, s16
	s_waitcnt vmcnt(0)
	v_add_co_u32_e32 v10, vcc, s18, v0
	v_addc_co_u32_e32 v11, vcc, v1, v6, vcc
	s_and_saveexec_b64 s[16:17], s[4:5]
	s_cbranch_execz .LBB1_8
; %bb.7:
	v_mov_b32_e32 v6, s12
	v_mov_b32_e32 v7, s13
	;; [unrolled: 1-line block ×4, first 2 shown]
	global_store_dwordx4 v[10:11], v[6:9], off offset:8
.LBB1_8:
	s_or_b64 exec, exec, s[16:17]
	s_lshl_b64 s[12:13], s[14:15], 12
	v_mov_b32_e32 v6, s13
	v_add_co_u32_e32 v2, vcc, s12, v2
	s_mov_b32 s12, 0
	v_addc_co_u32_e32 v3, vcc, v3, v6, vcc
	v_lshlrev_b32_e32 v35, 6, v34
	s_mov_b32 s15, s12
	v_mov_b32_e32 v7, 0
	v_add_co_u32_e32 v12, vcc, v2, v35
	s_mov_b32 s13, s12
	s_mov_b32 s14, s12
	v_mov_b32_e32 v17, s15
	v_addc_co_u32_e32 v13, vcc, 0, v3, vcc
	v_mov_b32_e32 v6, 33
	v_mov_b32_e32 v8, 1
	;; [unrolled: 1-line block ×3, first 2 shown]
	v_readfirstlane_b32 s16, v2
	v_readfirstlane_b32 s17, v3
	v_mov_b32_e32 v16, s14
	v_mov_b32_e32 v15, s13
	;; [unrolled: 1-line block ×3, first 2 shown]
	s_nop 1
	global_store_dwordx4 v35, v[6:9], s[16:17]
	global_store_dwordx4 v35, v[14:17], s[16:17] offset:16
	global_store_dwordx4 v35, v[14:17], s[16:17] offset:32
	;; [unrolled: 1-line block ×3, first 2 shown]
	s_and_saveexec_b64 s[12:13], s[4:5]
	s_cbranch_execz .LBB1_16
; %bb.9:
	global_load_dwordx2 v[16:17], v7, s[10:11] offset:32 glc
	global_load_dwordx2 v[2:3], v7, s[10:11] offset:40
	v_mov_b32_e32 v14, s6
	v_mov_b32_e32 v15, s7
	s_waitcnt vmcnt(0)
	v_and_b32_e32 v2, s6, v2
	v_and_b32_e32 v3, s7, v3
	v_mul_lo_u32 v3, v3, 24
	v_mul_hi_u32 v6, v2, 24
	v_mul_lo_u32 v2, v2, 24
	v_add_u32_e32 v3, v6, v3
	v_add_co_u32_e32 v8, vcc, v0, v2
	v_addc_co_u32_e32 v9, vcc, v1, v3, vcc
	global_store_dwordx2 v[8:9], v[16:17], off
	s_waitcnt vmcnt(0)
	global_atomic_cmpswap_x2 v[2:3], v7, v[14:17], s[10:11] offset:32 glc
	s_waitcnt vmcnt(0)
	v_cmp_ne_u64_e32 vcc, v[2:3], v[16:17]
	s_and_saveexec_b64 s[14:15], vcc
	s_cbranch_execz .LBB1_12
; %bb.10:
	s_mov_b64 s[16:17], 0
	v_mov_b32_e32 v6, 0
.LBB1_11:                               ; =>This Inner Loop Header: Depth=1
	s_sleep 1
	global_store_dwordx2 v[8:9], v[2:3], off
	v_mov_b32_e32 v0, s6
	v_mov_b32_e32 v1, s7
	s_waitcnt vmcnt(0)
	global_atomic_cmpswap_x2 v[0:1], v6, v[0:3], s[10:11] offset:32 glc
	s_waitcnt vmcnt(0)
	v_cmp_eq_u64_e32 vcc, v[0:1], v[2:3]
	v_mov_b32_e32 v3, v1
	s_or_b64 s[16:17], vcc, s[16:17]
	v_mov_b32_e32 v2, v0
	s_andn2_b64 exec, exec, s[16:17]
	s_cbranch_execnz .LBB1_11
.LBB1_12:
	s_or_b64 exec, exec, s[14:15]
	v_mov_b32_e32 v3, 0
	global_load_dwordx2 v[0:1], v3, s[10:11] offset:16
	s_mov_b64 s[14:15], exec
	v_mbcnt_lo_u32_b32 v2, s14, 0
	v_mbcnt_hi_u32_b32 v2, s15, v2
	v_cmp_eq_u32_e32 vcc, 0, v2
	s_and_saveexec_b64 s[16:17], vcc
	s_cbranch_execz .LBB1_14
; %bb.13:
	s_bcnt1_i32_b64 s14, s[14:15]
	v_mov_b32_e32 v2, s14
	s_waitcnt vmcnt(0)
	global_atomic_add_x2 v[0:1], v[2:3], off offset:8
.LBB1_14:
	s_or_b64 exec, exec, s[16:17]
	s_waitcnt vmcnt(0)
	global_load_dwordx2 v[2:3], v[0:1], off offset:16
	s_waitcnt vmcnt(0)
	v_cmp_eq_u64_e32 vcc, 0, v[2:3]
	s_cbranch_vccnz .LBB1_16
; %bb.15:
	global_load_dword v0, v[0:1], off offset:24
	v_mov_b32_e32 v1, 0
	s_waitcnt vmcnt(0)
	v_readfirstlane_b32 s14, v0
	s_and_b32 m0, s14, 0xffffff
	global_store_dwordx2 v[2:3], v[0:1], off
	s_sendmsg sendmsg(MSG_INTERRUPT)
.LBB1_16:
	s_or_b64 exec, exec, s[12:13]
	s_branch .LBB1_20
.LBB1_17:                               ;   in Loop: Header=BB1_20 Depth=1
	s_or_b64 exec, exec, s[12:13]
	v_readfirstlane_b32 s12, v0
	s_cmp_eq_u32 s12, 0
	s_cbranch_scc1 .LBB1_19
; %bb.18:                               ;   in Loop: Header=BB1_20 Depth=1
	s_sleep 1
	s_cbranch_execnz .LBB1_20
	s_branch .LBB1_22
.LBB1_19:
	s_branch .LBB1_22
.LBB1_20:                               ; =>This Inner Loop Header: Depth=1
	v_mov_b32_e32 v0, 1
	s_and_saveexec_b64 s[12:13], s[4:5]
	s_cbranch_execz .LBB1_17
; %bb.21:                               ;   in Loop: Header=BB1_20 Depth=1
	global_load_dword v0, v[10:11], off offset:20 glc
	s_waitcnt vmcnt(0)
	buffer_wbinvl1_vol
	v_and_b32_e32 v0, 1, v0
	s_branch .LBB1_17
.LBB1_22:
	global_load_dwordx2 v[6:7], v[12:13], off
	s_and_saveexec_b64 s[12:13], s[4:5]
	s_cbranch_execz .LBB1_25
; %bb.23:
	v_mov_b32_e32 v10, 0
	global_load_dwordx2 v[0:1], v10, s[10:11] offset:40
	global_load_dwordx2 v[13:14], v10, s[10:11] offset:24 glc
	global_load_dwordx2 v[2:3], v10, s[10:11]
	s_waitcnt vmcnt(2)
	v_readfirstlane_b32 s14, v0
	v_readfirstlane_b32 s15, v1
	s_add_u32 s16, s14, 1
	s_addc_u32 s17, s15, 0
	s_add_u32 s4, s16, s6
	s_addc_u32 s5, s17, s7
	s_cmp_eq_u64 s[4:5], 0
	s_cselect_b32 s5, s17, s5
	s_cselect_b32 s4, s16, s4
	s_and_b64 s[6:7], s[4:5], s[14:15]
	s_mul_i32 s7, s7, 24
	s_mul_hi_u32 s14, s6, 24
	s_mul_i32 s6, s6, 24
	s_add_i32 s7, s14, s7
	v_mov_b32_e32 v0, s7
	s_waitcnt vmcnt(0)
	v_add_co_u32_e32 v8, vcc, s6, v2
	v_addc_co_u32_e32 v9, vcc, v3, v0, vcc
	v_mov_b32_e32 v11, s4
	global_store_dwordx2 v[8:9], v[13:14], off
	v_mov_b32_e32 v12, s5
	s_waitcnt vmcnt(0)
	global_atomic_cmpswap_x2 v[2:3], v10, v[11:14], s[10:11] offset:24 glc
	s_mov_b64 s[6:7], 0
	s_waitcnt vmcnt(0)
	v_cmp_ne_u64_e32 vcc, v[2:3], v[13:14]
	s_and_b64 exec, exec, vcc
	s_cbranch_execz .LBB1_25
.LBB1_24:                               ; =>This Inner Loop Header: Depth=1
	s_sleep 1
	global_store_dwordx2 v[8:9], v[2:3], off
	v_mov_b32_e32 v0, s4
	v_mov_b32_e32 v1, s5
	s_waitcnt vmcnt(0)
	global_atomic_cmpswap_x2 v[0:1], v10, v[0:3], s[10:11] offset:24 glc
	s_waitcnt vmcnt(0)
	v_cmp_eq_u64_e32 vcc, v[0:1], v[2:3]
	v_mov_b32_e32 v3, v1
	s_or_b64 s[6:7], vcc, s[6:7]
	v_mov_b32_e32 v2, v0
	s_andn2_b64 exec, exec, s[6:7]
	s_cbranch_execnz .LBB1_24
.LBB1_25:
	s_or_b64 exec, exec, s[12:13]
	s_lshr_b32 s6, s33, 6
	s_mov_b64 s[4:5], 0
.LBB1_26:                               ; =>This Inner Loop Header: Depth=1
	v_mov_b32_e32 v0, s6
	buffer_load_ubyte v1, v0, s[0:3], 0 offen
	s_add_i32 s6, s6, 1
	v_mov_b32_e32 v0, s6
	s_waitcnt vmcnt(0)
	v_cmp_eq_u16_e32 vcc, 0, v1
	s_or_b64 s[4:5], vcc, s[4:5]
	s_andn2_b64 exec, exec, s[4:5]
	s_cbranch_execnz .LBB1_26
; %bb.27:
	s_or_b64 exec, exec, s[4:5]
	s_lshr_b32 s4, s33, 6
	s_cmp_lg_u32 s4, -1
	s_cbranch_scc0 .LBB1_112
; %bb.28:
	v_lshrrev_b32_e64 v1, 6, s33
	v_subrev_u32_e32 v28, v1, v0
	v_ashrrev_i32_e32 v29, 31, v28
	v_and_b32_e32 v36, 2, v6
	v_mov_b32_e32 v31, 0
	v_and_b32_e32 v0, -3, v6
	v_mov_b32_e32 v1, v7
	s_mov_b64 s[12:13], 0
	v_lshrrev_b32_e64 v37, 6, s33
	s_mov_b32 s20, 0
	s_movk_i32 s21, 0x1e0
	v_mov_b32_e32 v10, 2
	v_mov_b32_e32 v11, 1
	s_branch .LBB1_30
.LBB1_29:                               ;   in Loop: Header=BB1_30 Depth=1
	s_or_b64 exec, exec, s[6:7]
	v_sub_co_u32_e32 v28, vcc, v28, v38
	v_subb_co_u32_e32 v29, vcc, v29, v39, vcc
	v_cmp_eq_u64_e32 vcc, 0, v[28:29]
	v_add_u32_e32 v37, v37, v38
	s_or_b64 s[12:13], vcc, s[12:13]
	s_andn2_b64 exec, exec, s[12:13]
	s_cbranch_execz .LBB1_113
.LBB1_30:                               ; =>This Loop Header: Depth=1
                                        ;     Child Loop BB1_33 Depth 2
                                        ;     Child Loop BB1_41 Depth 2
	;; [unrolled: 1-line block ×11, first 2 shown]
	v_cmp_gt_u64_e32 vcc, 56, v[28:29]
	v_cmp_gt_u64_e64 s[4:5], 8, v[28:29]
	v_cndmask_b32_e32 v38, 56, v28, vcc
	v_add_u32_e32 v9, 8, v37
	s_and_saveexec_b64 s[6:7], s[4:5]
	s_xor_b64 s[6:7], exec, s[6:7]
	s_cbranch_execz .LBB1_36
; %bb.31:                               ;   in Loop: Header=BB1_30 Depth=1
	v_mov_b32_e32 v2, 0
	v_cmp_ne_u64_e64 s[4:5], 0, v[28:29]
	v_mov_b32_e32 v3, 0
	s_and_saveexec_b64 s[14:15], s[4:5]
	s_cbranch_execz .LBB1_35
; %bb.32:                               ;   in Loop: Header=BB1_30 Depth=1
	v_mov_b32_e32 v2, 0
	s_mov_b32 s22, 0
	s_mov_b64 s[16:17], 0
	v_mov_b32_e32 v3, 0
	s_mov_b64 s[18:19], 0
.LBB1_33:                               ;   Parent Loop BB1_30 Depth=1
                                        ; =>  This Inner Loop Header: Depth=2
	v_add_u32_e32 v8, s22, v37
	buffer_load_ubyte v8, v8, s[0:3], 0 offen
	v_mov_b32_e32 v9, s20
	s_add_i32 s22, s22, 1
	v_cmp_eq_u32_e64 s[4:5], s22, v38
	s_waitcnt vmcnt(0)
	v_and_b32_e32 v8, 0xffff, v8
	v_lshlrev_b64 v[8:9], s18, v[8:9]
	s_add_u32 s18, s18, 8
	s_addc_u32 s19, s19, 0
	v_or_b32_e32 v3, v9, v3
	s_or_b64 s[16:17], s[4:5], s[16:17]
	v_or_b32_e32 v2, v8, v2
	s_andn2_b64 exec, exec, s[16:17]
	s_cbranch_execnz .LBB1_33
; %bb.34:                               ;   in Loop: Header=BB1_30 Depth=1
	s_or_b64 exec, exec, s[16:17]
.LBB1_35:                               ;   in Loop: Header=BB1_30 Depth=1
	s_or_b64 exec, exec, s[14:15]
	v_mov_b32_e32 v9, v37
.LBB1_36:                               ;   in Loop: Header=BB1_30 Depth=1
	s_or_saveexec_b64 s[4:5], s[6:7]
	v_mov_b32_e32 v14, 0
	s_xor_b64 exec, exec, s[4:5]
	s_cbranch_execz .LBB1_38
; %bb.37:                               ;   in Loop: Header=BB1_30 Depth=1
	buffer_load_dword v2, v37, s[0:3], 0 offen
	buffer_load_dword v3, v37, s[0:3], 0 offen offset:4
	v_add_u32_e32 v14, -8, v38
.LBB1_38:                               ;   in Loop: Header=BB1_30 Depth=1
	s_or_b64 exec, exec, s[4:5]
	v_cmp_gt_u32_e64 s[4:5], 8, v14
	v_add_u32_e32 v8, 8, v9
                                        ; implicit-def: $vgpr12_vgpr13
	s_and_saveexec_b64 s[6:7], s[4:5]
	s_xor_b64 s[6:7], exec, s[6:7]
	s_cbranch_execz .LBB1_44
; %bb.39:                               ;   in Loop: Header=BB1_30 Depth=1
	v_mov_b32_e32 v12, 0
	v_mov_b32_e32 v13, 0
	v_cmp_ne_u32_e64 s[4:5], 0, v14
	s_and_saveexec_b64 s[14:15], s[4:5]
	s_cbranch_execz .LBB1_43
; %bb.40:                               ;   in Loop: Header=BB1_30 Depth=1
	v_mov_b32_e32 v12, 0
	s_mov_b32 s22, 0
	s_mov_b64 s[16:17], 0
	v_mov_b32_e32 v13, 0
	s_mov_b64 s[18:19], 0
.LBB1_41:                               ;   Parent Loop BB1_30 Depth=1
                                        ; =>  This Inner Loop Header: Depth=2
	v_add_u32_e32 v8, s22, v9
	buffer_load_ubyte v8, v8, s[0:3], 0 offen
	v_mov_b32_e32 v16, s20
	s_add_i32 s22, s22, 1
	v_cmp_eq_u32_e64 s[4:5], s22, v14
	s_waitcnt vmcnt(0)
	v_and_b32_e32 v15, 0xffff, v8
	v_lshlrev_b64 v[15:16], s18, v[15:16]
	s_add_u32 s18, s18, 8
	s_addc_u32 s19, s19, 0
	v_or_b32_e32 v13, v16, v13
	s_or_b64 s[16:17], s[4:5], s[16:17]
	v_or_b32_e32 v12, v15, v12
	s_andn2_b64 exec, exec, s[16:17]
	s_cbranch_execnz .LBB1_41
; %bb.42:                               ;   in Loop: Header=BB1_30 Depth=1
	s_or_b64 exec, exec, s[16:17]
.LBB1_43:                               ;   in Loop: Header=BB1_30 Depth=1
	s_or_b64 exec, exec, s[14:15]
	v_mov_b32_e32 v8, v9
                                        ; implicit-def: $vgpr14
.LBB1_44:                               ;   in Loop: Header=BB1_30 Depth=1
	s_or_saveexec_b64 s[4:5], s[6:7]
	v_mov_b32_e32 v16, 0
	s_xor_b64 exec, exec, s[4:5]
	s_cbranch_execz .LBB1_46
; %bb.45:                               ;   in Loop: Header=BB1_30 Depth=1
	buffer_load_dword v12, v9, s[0:3], 0 offen
	buffer_load_dword v13, v9, s[0:3], 0 offen offset:4
	v_add_u32_e32 v16, -8, v14
.LBB1_46:                               ;   in Loop: Header=BB1_30 Depth=1
	s_or_b64 exec, exec, s[4:5]
	v_cmp_gt_u32_e64 s[4:5], 8, v16
	v_add_u32_e32 v9, 8, v8
	s_and_saveexec_b64 s[6:7], s[4:5]
	s_xor_b64 s[6:7], exec, s[6:7]
	s_cbranch_execz .LBB1_52
; %bb.47:                               ;   in Loop: Header=BB1_30 Depth=1
	v_mov_b32_e32 v14, 0
	v_mov_b32_e32 v15, 0
	v_cmp_ne_u32_e64 s[4:5], 0, v16
	s_and_saveexec_b64 s[14:15], s[4:5]
	s_cbranch_execz .LBB1_51
; %bb.48:                               ;   in Loop: Header=BB1_30 Depth=1
	v_mov_b32_e32 v14, 0
	s_mov_b32 s22, 0
	s_mov_b64 s[16:17], 0
	v_mov_b32_e32 v15, 0
	s_mov_b64 s[18:19], 0
.LBB1_49:                               ;   Parent Loop BB1_30 Depth=1
                                        ; =>  This Inner Loop Header: Depth=2
	v_add_u32_e32 v9, s22, v8
	buffer_load_ubyte v9, v9, s[0:3], 0 offen
	v_mov_b32_e32 v18, s20
	s_add_i32 s22, s22, 1
	v_cmp_eq_u32_e64 s[4:5], s22, v16
	s_waitcnt vmcnt(0)
	v_and_b32_e32 v17, 0xffff, v9
	v_lshlrev_b64 v[17:18], s18, v[17:18]
	s_add_u32 s18, s18, 8
	s_addc_u32 s19, s19, 0
	v_or_b32_e32 v15, v18, v15
	s_or_b64 s[16:17], s[4:5], s[16:17]
	v_or_b32_e32 v14, v17, v14
	s_andn2_b64 exec, exec, s[16:17]
	s_cbranch_execnz .LBB1_49
; %bb.50:                               ;   in Loop: Header=BB1_30 Depth=1
	s_or_b64 exec, exec, s[16:17]
.LBB1_51:                               ;   in Loop: Header=BB1_30 Depth=1
	s_or_b64 exec, exec, s[14:15]
	v_mov_b32_e32 v9, v8
                                        ; implicit-def: $vgpr16
.LBB1_52:                               ;   in Loop: Header=BB1_30 Depth=1
	s_or_saveexec_b64 s[4:5], s[6:7]
	v_mov_b32_e32 v18, 0
	s_xor_b64 exec, exec, s[4:5]
	s_cbranch_execz .LBB1_54
; %bb.53:                               ;   in Loop: Header=BB1_30 Depth=1
	buffer_load_dword v14, v8, s[0:3], 0 offen
	buffer_load_dword v15, v8, s[0:3], 0 offen offset:4
	v_add_u32_e32 v18, -8, v16
.LBB1_54:                               ;   in Loop: Header=BB1_30 Depth=1
	s_or_b64 exec, exec, s[4:5]
	v_cmp_gt_u32_e64 s[4:5], 8, v18
	v_add_u32_e32 v8, 8, v9
                                        ; implicit-def: $vgpr16_vgpr17
	s_and_saveexec_b64 s[6:7], s[4:5]
	s_xor_b64 s[6:7], exec, s[6:7]
	s_cbranch_execz .LBB1_60
; %bb.55:                               ;   in Loop: Header=BB1_30 Depth=1
	v_mov_b32_e32 v16, 0
	v_mov_b32_e32 v17, 0
	v_cmp_ne_u32_e64 s[4:5], 0, v18
	s_and_saveexec_b64 s[14:15], s[4:5]
	s_cbranch_execz .LBB1_59
; %bb.56:                               ;   in Loop: Header=BB1_30 Depth=1
	v_mov_b32_e32 v16, 0
	s_mov_b32 s22, 0
	s_mov_b64 s[16:17], 0
	v_mov_b32_e32 v17, 0
	s_mov_b64 s[18:19], 0
.LBB1_57:                               ;   Parent Loop BB1_30 Depth=1
                                        ; =>  This Inner Loop Header: Depth=2
	v_add_u32_e32 v8, s22, v9
	buffer_load_ubyte v8, v8, s[0:3], 0 offen
	v_mov_b32_e32 v20, s20
	s_add_i32 s22, s22, 1
	v_cmp_eq_u32_e64 s[4:5], s22, v18
	s_waitcnt vmcnt(0)
	v_and_b32_e32 v19, 0xffff, v8
	v_lshlrev_b64 v[19:20], s18, v[19:20]
	s_add_u32 s18, s18, 8
	s_addc_u32 s19, s19, 0
	v_or_b32_e32 v17, v20, v17
	s_or_b64 s[16:17], s[4:5], s[16:17]
	v_or_b32_e32 v16, v19, v16
	s_andn2_b64 exec, exec, s[16:17]
	s_cbranch_execnz .LBB1_57
; %bb.58:                               ;   in Loop: Header=BB1_30 Depth=1
	s_or_b64 exec, exec, s[16:17]
.LBB1_59:                               ;   in Loop: Header=BB1_30 Depth=1
	s_or_b64 exec, exec, s[14:15]
	v_mov_b32_e32 v8, v9
                                        ; implicit-def: $vgpr18
.LBB1_60:                               ;   in Loop: Header=BB1_30 Depth=1
	s_or_saveexec_b64 s[4:5], s[6:7]
	v_mov_b32_e32 v20, 0
	s_xor_b64 exec, exec, s[4:5]
	s_cbranch_execz .LBB1_62
; %bb.61:                               ;   in Loop: Header=BB1_30 Depth=1
	buffer_load_dword v16, v9, s[0:3], 0 offen
	buffer_load_dword v17, v9, s[0:3], 0 offen offset:4
	v_add_u32_e32 v20, -8, v18
.LBB1_62:                               ;   in Loop: Header=BB1_30 Depth=1
	s_or_b64 exec, exec, s[4:5]
	v_cmp_gt_u32_e64 s[4:5], 8, v20
	v_add_u32_e32 v9, 8, v8
	s_and_saveexec_b64 s[6:7], s[4:5]
	s_xor_b64 s[6:7], exec, s[6:7]
	s_cbranch_execz .LBB1_68
; %bb.63:                               ;   in Loop: Header=BB1_30 Depth=1
	v_mov_b32_e32 v18, 0
	v_mov_b32_e32 v19, 0
	v_cmp_ne_u32_e64 s[4:5], 0, v20
	s_and_saveexec_b64 s[14:15], s[4:5]
	s_cbranch_execz .LBB1_67
; %bb.64:                               ;   in Loop: Header=BB1_30 Depth=1
	v_mov_b32_e32 v18, 0
	s_mov_b32 s22, 0
	s_mov_b64 s[16:17], 0
	v_mov_b32_e32 v19, 0
	s_mov_b64 s[18:19], 0
.LBB1_65:                               ;   Parent Loop BB1_30 Depth=1
                                        ; =>  This Inner Loop Header: Depth=2
	v_add_u32_e32 v9, s22, v8
	buffer_load_ubyte v9, v9, s[0:3], 0 offen
	v_mov_b32_e32 v22, s20
	s_add_i32 s22, s22, 1
	v_cmp_eq_u32_e64 s[4:5], s22, v20
	s_waitcnt vmcnt(0)
	v_and_b32_e32 v21, 0xffff, v9
	v_lshlrev_b64 v[21:22], s18, v[21:22]
	s_add_u32 s18, s18, 8
	s_addc_u32 s19, s19, 0
	v_or_b32_e32 v19, v22, v19
	s_or_b64 s[16:17], s[4:5], s[16:17]
	v_or_b32_e32 v18, v21, v18
	s_andn2_b64 exec, exec, s[16:17]
	s_cbranch_execnz .LBB1_65
; %bb.66:                               ;   in Loop: Header=BB1_30 Depth=1
	s_or_b64 exec, exec, s[16:17]
.LBB1_67:                               ;   in Loop: Header=BB1_30 Depth=1
	s_or_b64 exec, exec, s[14:15]
	v_mov_b32_e32 v9, v8
                                        ; implicit-def: $vgpr20
.LBB1_68:                               ;   in Loop: Header=BB1_30 Depth=1
	s_or_saveexec_b64 s[4:5], s[6:7]
	v_mov_b32_e32 v22, 0
	s_xor_b64 exec, exec, s[4:5]
	s_cbranch_execz .LBB1_70
; %bb.69:                               ;   in Loop: Header=BB1_30 Depth=1
	buffer_load_dword v18, v8, s[0:3], 0 offen
	buffer_load_dword v19, v8, s[0:3], 0 offen offset:4
	v_add_u32_e32 v22, -8, v20
.LBB1_70:                               ;   in Loop: Header=BB1_30 Depth=1
	s_or_b64 exec, exec, s[4:5]
	v_cmp_gt_u32_e64 s[4:5], 8, v22
	v_add_u32_e32 v8, 8, v9
                                        ; implicit-def: $vgpr20_vgpr21
	s_and_saveexec_b64 s[6:7], s[4:5]
	s_xor_b64 s[6:7], exec, s[6:7]
	s_cbranch_execz .LBB1_76
; %bb.71:                               ;   in Loop: Header=BB1_30 Depth=1
	v_mov_b32_e32 v20, 0
	v_mov_b32_e32 v21, 0
	v_cmp_ne_u32_e64 s[4:5], 0, v22
	s_and_saveexec_b64 s[14:15], s[4:5]
	s_cbranch_execz .LBB1_75
; %bb.72:                               ;   in Loop: Header=BB1_30 Depth=1
	v_mov_b32_e32 v20, 0
	s_mov_b32 s22, 0
	s_mov_b64 s[16:17], 0
	v_mov_b32_e32 v21, 0
	s_mov_b64 s[18:19], 0
.LBB1_73:                               ;   Parent Loop BB1_30 Depth=1
                                        ; =>  This Inner Loop Header: Depth=2
	v_add_u32_e32 v8, s22, v9
	buffer_load_ubyte v8, v8, s[0:3], 0 offen
	v_mov_b32_e32 v24, s20
	s_add_i32 s22, s22, 1
	v_cmp_eq_u32_e64 s[4:5], s22, v22
	s_waitcnt vmcnt(0)
	v_and_b32_e32 v23, 0xffff, v8
	v_lshlrev_b64 v[23:24], s18, v[23:24]
	s_add_u32 s18, s18, 8
	s_addc_u32 s19, s19, 0
	v_or_b32_e32 v21, v24, v21
	s_or_b64 s[16:17], s[4:5], s[16:17]
	v_or_b32_e32 v20, v23, v20
	s_andn2_b64 exec, exec, s[16:17]
	s_cbranch_execnz .LBB1_73
; %bb.74:                               ;   in Loop: Header=BB1_30 Depth=1
	s_or_b64 exec, exec, s[16:17]
.LBB1_75:                               ;   in Loop: Header=BB1_30 Depth=1
	s_or_b64 exec, exec, s[14:15]
	v_mov_b32_e32 v8, v9
                                        ; implicit-def: $vgpr22
.LBB1_76:                               ;   in Loop: Header=BB1_30 Depth=1
	s_or_saveexec_b64 s[4:5], s[6:7]
	v_mov_b32_e32 v24, 0
	s_xor_b64 exec, exec, s[4:5]
	s_cbranch_execz .LBB1_78
; %bb.77:                               ;   in Loop: Header=BB1_30 Depth=1
	buffer_load_dword v20, v9, s[0:3], 0 offen
	buffer_load_dword v21, v9, s[0:3], 0 offen offset:4
	v_add_u32_e32 v24, -8, v22
.LBB1_78:                               ;   in Loop: Header=BB1_30 Depth=1
	s_or_b64 exec, exec, s[4:5]
	v_cmp_gt_u32_e64 s[4:5], 8, v24
	s_and_saveexec_b64 s[6:7], s[4:5]
	s_xor_b64 s[6:7], exec, s[6:7]
	s_cbranch_execz .LBB1_84
; %bb.79:                               ;   in Loop: Header=BB1_30 Depth=1
	v_mov_b32_e32 v22, 0
	v_mov_b32_e32 v23, 0
	v_cmp_ne_u32_e64 s[4:5], 0, v24
	s_and_saveexec_b64 s[14:15], s[4:5]
	s_cbranch_execz .LBB1_83
; %bb.80:                               ;   in Loop: Header=BB1_30 Depth=1
	v_mov_b32_e32 v22, 0
	s_mov_b64 s[16:17], 0
	v_mov_b32_e32 v23, 0
	s_mov_b64 s[18:19], 0
.LBB1_81:                               ;   Parent Loop BB1_30 Depth=1
                                        ; =>  This Inner Loop Header: Depth=2
	buffer_load_ubyte v9, v8, s[0:3], 0 offen
	v_mov_b32_e32 v26, s20
	v_add_u32_e32 v24, -1, v24
	v_cmp_eq_u32_e64 s[4:5], 0, v24
	v_add_u32_e32 v8, 1, v8
	s_waitcnt vmcnt(0)
	v_and_b32_e32 v25, 0xffff, v9
	v_lshlrev_b64 v[25:26], s18, v[25:26]
	s_add_u32 s18, s18, 8
	s_addc_u32 s19, s19, 0
	v_or_b32_e32 v23, v26, v23
	s_or_b64 s[16:17], s[4:5], s[16:17]
	v_or_b32_e32 v22, v25, v22
	s_andn2_b64 exec, exec, s[16:17]
	s_cbranch_execnz .LBB1_81
; %bb.82:                               ;   in Loop: Header=BB1_30 Depth=1
	s_or_b64 exec, exec, s[16:17]
.LBB1_83:                               ;   in Loop: Header=BB1_30 Depth=1
	s_or_b64 exec, exec, s[14:15]
                                        ; implicit-def: $vgpr8
.LBB1_84:                               ;   in Loop: Header=BB1_30 Depth=1
	s_andn2_saveexec_b64 s[4:5], s[6:7]
	s_cbranch_execz .LBB1_86
; %bb.85:                               ;   in Loop: Header=BB1_30 Depth=1
	buffer_load_dword v22, v8, s[0:3], 0 offen
	buffer_load_dword v23, v8, s[0:3], 0 offen offset:4
.LBB1_86:                               ;   in Loop: Header=BB1_30 Depth=1
	s_or_b64 exec, exec, s[4:5]
	v_readfirstlane_b32 s4, v34
	v_mov_b32_e32 v8, 0
	v_mov_b32_e32 v9, 0
	v_cmp_eq_u32_e64 s[4:5], s4, v34
	s_and_saveexec_b64 s[14:15], s[4:5]
	s_cbranch_execz .LBB1_92
; %bb.87:                               ;   in Loop: Header=BB1_30 Depth=1
	global_load_dwordx2 v[26:27], v31, s[10:11] offset:24 glc
	s_waitcnt vmcnt(0)
	buffer_wbinvl1_vol
	global_load_dwordx2 v[8:9], v31, s[10:11] offset:40
	global_load_dwordx2 v[24:25], v31, s[10:11]
	s_waitcnt vmcnt(1)
	v_and_b32_e32 v8, v8, v26
	v_and_b32_e32 v9, v9, v27
	v_mul_lo_u32 v9, v9, 24
	v_mul_hi_u32 v30, v8, 24
	v_mul_lo_u32 v8, v8, 24
	v_add_u32_e32 v9, v30, v9
	s_waitcnt vmcnt(0)
	v_add_co_u32_e64 v8, s[6:7], v24, v8
	v_addc_co_u32_e64 v9, s[6:7], v25, v9, s[6:7]
	global_load_dwordx2 v[24:25], v[8:9], off glc
	s_waitcnt vmcnt(0)
	global_atomic_cmpswap_x2 v[8:9], v31, v[24:27], s[10:11] offset:24 glc
	s_waitcnt vmcnt(0)
	buffer_wbinvl1_vol
	v_cmp_ne_u64_e64 s[6:7], v[8:9], v[26:27]
	s_and_saveexec_b64 s[16:17], s[6:7]
	s_cbranch_execz .LBB1_91
; %bb.88:                               ;   in Loop: Header=BB1_30 Depth=1
	s_mov_b64 s[18:19], 0
.LBB1_89:                               ;   Parent Loop BB1_30 Depth=1
                                        ; =>  This Inner Loop Header: Depth=2
	s_sleep 1
	global_load_dwordx2 v[24:25], v31, s[10:11] offset:40
	global_load_dwordx2 v[32:33], v31, s[10:11]
	v_mov_b32_e32 v27, v9
	v_mov_b32_e32 v26, v8
	s_waitcnt vmcnt(1)
	v_and_b32_e32 v8, v24, v26
	s_waitcnt vmcnt(0)
	v_mad_u64_u32 v[8:9], s[6:7], v8, 24, v[32:33]
	v_and_b32_e32 v24, v25, v27
	v_mad_u64_u32 v[24:25], s[6:7], v24, 24, v[9:10]
	v_mov_b32_e32 v9, v24
	global_load_dwordx2 v[24:25], v[8:9], off glc
	s_waitcnt vmcnt(0)
	global_atomic_cmpswap_x2 v[8:9], v31, v[24:27], s[10:11] offset:24 glc
	s_waitcnt vmcnt(0)
	buffer_wbinvl1_vol
	v_cmp_eq_u64_e64 s[6:7], v[8:9], v[26:27]
	s_or_b64 s[18:19], s[6:7], s[18:19]
	s_andn2_b64 exec, exec, s[18:19]
	s_cbranch_execnz .LBB1_89
; %bb.90:                               ;   in Loop: Header=BB1_30 Depth=1
	s_or_b64 exec, exec, s[18:19]
.LBB1_91:                               ;   in Loop: Header=BB1_30 Depth=1
	s_or_b64 exec, exec, s[16:17]
.LBB1_92:                               ;   in Loop: Header=BB1_30 Depth=1
	s_or_b64 exec, exec, s[14:15]
	global_load_dwordx2 v[32:33], v31, s[10:11] offset:40
	global_load_dwordx4 v[24:27], v31, s[10:11]
	v_readfirstlane_b32 s15, v9
	v_readfirstlane_b32 s14, v8
	s_mov_b64 s[16:17], exec
	s_waitcnt vmcnt(1)
	v_readfirstlane_b32 s6, v32
	v_readfirstlane_b32 s7, v33
	s_and_b64 s[18:19], s[6:7], s[14:15]
	s_mul_i32 s6, s19, 24
	s_mul_hi_u32 s7, s18, 24
	s_mul_i32 s22, s18, 24
	s_add_i32 s6, s7, s6
	v_mov_b32_e32 v8, s6
	s_waitcnt vmcnt(0)
	v_add_co_u32_e64 v32, s[6:7], s22, v24
	v_addc_co_u32_e64 v33, s[6:7], v25, v8, s[6:7]
	s_and_saveexec_b64 s[6:7], s[4:5]
	s_cbranch_execz .LBB1_94
; %bb.93:                               ;   in Loop: Header=BB1_30 Depth=1
	v_mov_b32_e32 v8, s16
	v_mov_b32_e32 v9, s17
	global_store_dwordx4 v[32:33], v[8:11], off offset:8
.LBB1_94:                               ;   in Loop: Header=BB1_30 Depth=1
	s_or_b64 exec, exec, s[6:7]
	s_lshl_b64 s[6:7], s[18:19], 12
	v_cndmask_b32_e32 v39, 0, v29, vcc
	v_mov_b32_e32 v8, s7
	v_add_co_u32_e32 v26, vcc, s6, v26
	v_addc_co_u32_e32 v27, vcc, v27, v8, vcc
	v_cmp_gt_u64_e32 vcc, 57, v[28:29]
	v_and_b32_e32 v0, 0xffffff1f, v0
	v_cndmask_b32_e32 v8, 0, v36, vcc
	v_lshl_add_u32 v9, v38, 2, 28
	v_or_b32_e32 v0, v0, v8
	v_and_or_b32 v0, v9, s21, v0
	v_readfirstlane_b32 s6, v26
	v_readfirstlane_b32 s7, v27
	s_nop 4
	global_store_dwordx4 v35, v[0:3], s[6:7]
	global_store_dwordx4 v35, v[12:15], s[6:7] offset:16
	global_store_dwordx4 v35, v[16:19], s[6:7] offset:32
	global_store_dwordx4 v35, v[20:23], s[6:7] offset:48
	s_and_saveexec_b64 s[6:7], s[4:5]
	s_cbranch_execz .LBB1_102
; %bb.95:                               ;   in Loop: Header=BB1_30 Depth=1
	global_load_dwordx2 v[14:15], v31, s[10:11] offset:32 glc
	global_load_dwordx2 v[0:1], v31, s[10:11] offset:40
	v_mov_b32_e32 v12, s14
	v_mov_b32_e32 v13, s15
	s_waitcnt vmcnt(0)
	v_readfirstlane_b32 s16, v0
	v_readfirstlane_b32 s17, v1
	s_and_b64 s[16:17], s[16:17], s[14:15]
	s_mul_i32 s17, s17, 24
	s_mul_hi_u32 s18, s16, 24
	s_mul_i32 s16, s16, 24
	s_add_i32 s17, s18, s17
	v_mov_b32_e32 v0, s17
	v_add_co_u32_e32 v8, vcc, s16, v24
	v_addc_co_u32_e32 v9, vcc, v25, v0, vcc
	global_store_dwordx2 v[8:9], v[14:15], off
	s_waitcnt vmcnt(0)
	global_atomic_cmpswap_x2 v[2:3], v31, v[12:15], s[10:11] offset:32 glc
	s_waitcnt vmcnt(0)
	v_cmp_ne_u64_e32 vcc, v[2:3], v[14:15]
	s_and_saveexec_b64 s[16:17], vcc
	s_cbranch_execz .LBB1_98
; %bb.96:                               ;   in Loop: Header=BB1_30 Depth=1
	s_mov_b64 s[18:19], 0
.LBB1_97:                               ;   Parent Loop BB1_30 Depth=1
                                        ; =>  This Inner Loop Header: Depth=2
	s_sleep 1
	global_store_dwordx2 v[8:9], v[2:3], off
	v_mov_b32_e32 v0, s14
	v_mov_b32_e32 v1, s15
	s_waitcnt vmcnt(0)
	global_atomic_cmpswap_x2 v[0:1], v31, v[0:3], s[10:11] offset:32 glc
	s_waitcnt vmcnt(0)
	v_cmp_eq_u64_e32 vcc, v[0:1], v[2:3]
	v_mov_b32_e32 v3, v1
	s_or_b64 s[18:19], vcc, s[18:19]
	v_mov_b32_e32 v2, v0
	s_andn2_b64 exec, exec, s[18:19]
	s_cbranch_execnz .LBB1_97
.LBB1_98:                               ;   in Loop: Header=BB1_30 Depth=1
	s_or_b64 exec, exec, s[16:17]
	global_load_dwordx2 v[0:1], v31, s[10:11] offset:16
	s_mov_b64 s[18:19], exec
	v_mbcnt_lo_u32_b32 v2, s18, 0
	v_mbcnt_hi_u32_b32 v2, s19, v2
	v_cmp_eq_u32_e32 vcc, 0, v2
	s_and_saveexec_b64 s[16:17], vcc
	s_cbranch_execz .LBB1_100
; %bb.99:                               ;   in Loop: Header=BB1_30 Depth=1
	s_bcnt1_i32_b64 s18, s[18:19]
	v_mov_b32_e32 v30, s18
	s_waitcnt vmcnt(0)
	global_atomic_add_x2 v[0:1], v[30:31], off offset:8
.LBB1_100:                              ;   in Loop: Header=BB1_30 Depth=1
	s_or_b64 exec, exec, s[16:17]
	s_waitcnt vmcnt(0)
	global_load_dwordx2 v[2:3], v[0:1], off offset:16
	s_waitcnt vmcnt(0)
	v_cmp_eq_u64_e32 vcc, 0, v[2:3]
	s_cbranch_vccnz .LBB1_102
; %bb.101:                              ;   in Loop: Header=BB1_30 Depth=1
	global_load_dword v30, v[0:1], off offset:24
	s_waitcnt vmcnt(0)
	v_readfirstlane_b32 s16, v30
	s_and_b32 m0, s16, 0xffffff
	global_store_dwordx2 v[2:3], v[30:31], off
	s_sendmsg sendmsg(MSG_INTERRUPT)
.LBB1_102:                              ;   in Loop: Header=BB1_30 Depth=1
	s_or_b64 exec, exec, s[6:7]
	v_add_co_u32_e32 v0, vcc, v26, v35
	v_addc_co_u32_e32 v1, vcc, 0, v27, vcc
	s_branch .LBB1_106
.LBB1_103:                              ;   in Loop: Header=BB1_106 Depth=2
	s_or_b64 exec, exec, s[6:7]
	v_readfirstlane_b32 s6, v2
	s_cmp_eq_u32 s6, 0
	s_cbranch_scc1 .LBB1_105
; %bb.104:                              ;   in Loop: Header=BB1_106 Depth=2
	s_sleep 1
	s_cbranch_execnz .LBB1_106
	s_branch .LBB1_108
.LBB1_105:                              ;   in Loop: Header=BB1_30 Depth=1
	s_branch .LBB1_108
.LBB1_106:                              ;   Parent Loop BB1_30 Depth=1
                                        ; =>  This Inner Loop Header: Depth=2
	v_mov_b32_e32 v2, 1
	s_and_saveexec_b64 s[6:7], s[4:5]
	s_cbranch_execz .LBB1_103
; %bb.107:                              ;   in Loop: Header=BB1_106 Depth=2
	global_load_dword v2, v[32:33], off offset:20 glc
	s_waitcnt vmcnt(0)
	buffer_wbinvl1_vol
	v_and_b32_e32 v2, 1, v2
	s_branch .LBB1_103
.LBB1_108:                              ;   in Loop: Header=BB1_30 Depth=1
	global_load_dwordx2 v[0:1], v[0:1], off
	s_and_saveexec_b64 s[6:7], s[4:5]
	s_cbranch_execz .LBB1_29
; %bb.109:                              ;   in Loop: Header=BB1_30 Depth=1
	global_load_dwordx2 v[2:3], v31, s[10:11] offset:40
	global_load_dwordx2 v[16:17], v31, s[10:11] offset:24 glc
	global_load_dwordx2 v[8:9], v31, s[10:11]
	s_waitcnt vmcnt(2)
	v_readfirstlane_b32 s16, v2
	v_readfirstlane_b32 s17, v3
	s_add_u32 s18, s16, 1
	s_addc_u32 s19, s17, 0
	s_add_u32 s4, s18, s14
	s_addc_u32 s5, s19, s15
	s_cmp_eq_u64 s[4:5], 0
	s_cselect_b32 s5, s19, s5
	s_cselect_b32 s4, s18, s4
	s_and_b64 s[14:15], s[4:5], s[16:17]
	s_mul_i32 s15, s15, 24
	s_mul_hi_u32 s16, s14, 24
	s_mul_i32 s14, s14, 24
	s_add_i32 s15, s16, s15
	v_mov_b32_e32 v3, s15
	s_waitcnt vmcnt(0)
	v_add_co_u32_e32 v2, vcc, s14, v8
	v_addc_co_u32_e32 v3, vcc, v9, v3, vcc
	v_mov_b32_e32 v14, s4
	global_store_dwordx2 v[2:3], v[16:17], off
	v_mov_b32_e32 v15, s5
	s_waitcnt vmcnt(0)
	global_atomic_cmpswap_x2 v[14:15], v31, v[14:17], s[10:11] offset:24 glc
	s_waitcnt vmcnt(0)
	v_cmp_ne_u64_e32 vcc, v[14:15], v[16:17]
	s_and_b64 exec, exec, vcc
	s_cbranch_execz .LBB1_29
; %bb.110:                              ;   in Loop: Header=BB1_30 Depth=1
	s_mov_b64 s[14:15], 0
.LBB1_111:                              ;   Parent Loop BB1_30 Depth=1
                                        ; =>  This Inner Loop Header: Depth=2
	s_sleep 1
	global_store_dwordx2 v[2:3], v[14:15], off
	v_mov_b32_e32 v12, s4
	v_mov_b32_e32 v13, s5
	s_waitcnt vmcnt(0)
	global_atomic_cmpswap_x2 v[8:9], v31, v[12:15], s[10:11] offset:24 glc
	s_waitcnt vmcnt(0)
	v_cmp_eq_u64_e32 vcc, v[8:9], v[14:15]
	v_mov_b32_e32 v15, v9
	s_or_b64 s[14:15], vcc, s[14:15]
	v_mov_b32_e32 v14, v8
	s_andn2_b64 exec, exec, s[14:15]
	s_cbranch_execnz .LBB1_111
	s_branch .LBB1_29
.LBB1_112:
                                        ; implicit-def: $vgpr0_vgpr1
	s_cbranch_execnz .LBB1_114
	s_branch .LBB1_140
.LBB1_113:
	s_or_b64 exec, exec, s[12:13]
	s_branch .LBB1_140
.LBB1_114:
	v_readfirstlane_b32 s4, v34
	v_mov_b32_e32 v9, 0
	v_mov_b32_e32 v10, 0
	v_cmp_eq_u32_e64 s[4:5], s4, v34
	s_and_saveexec_b64 s[6:7], s[4:5]
	s_cbranch_execz .LBB1_120
; %bb.115:
	s_waitcnt vmcnt(0)
	v_mov_b32_e32 v0, 0
	global_load_dwordx2 v[11:12], v0, s[10:11] offset:24 glc
	s_waitcnt vmcnt(0)
	buffer_wbinvl1_vol
	global_load_dwordx2 v[1:2], v0, s[10:11] offset:40
	global_load_dwordx2 v[8:9], v0, s[10:11]
	s_waitcnt vmcnt(1)
	v_and_b32_e32 v1, v1, v11
	v_and_b32_e32 v2, v2, v12
	v_mul_lo_u32 v2, v2, 24
	v_mul_hi_u32 v3, v1, 24
	v_mul_lo_u32 v1, v1, 24
	v_add_u32_e32 v2, v3, v2
	s_waitcnt vmcnt(0)
	v_add_co_u32_e32 v1, vcc, v8, v1
	v_addc_co_u32_e32 v2, vcc, v9, v2, vcc
	global_load_dwordx2 v[9:10], v[1:2], off glc
	s_waitcnt vmcnt(0)
	global_atomic_cmpswap_x2 v[9:10], v0, v[9:12], s[10:11] offset:24 glc
	s_waitcnt vmcnt(0)
	buffer_wbinvl1_vol
	v_cmp_ne_u64_e32 vcc, v[9:10], v[11:12]
	s_and_saveexec_b64 s[12:13], vcc
	s_cbranch_execz .LBB1_119
; %bb.116:
	s_mov_b64 s[14:15], 0
.LBB1_117:                              ; =>This Inner Loop Header: Depth=1
	s_sleep 1
	global_load_dwordx2 v[1:2], v0, s[10:11] offset:40
	global_load_dwordx2 v[13:14], v0, s[10:11]
	v_mov_b32_e32 v12, v10
	v_mov_b32_e32 v11, v9
	s_waitcnt vmcnt(1)
	v_and_b32_e32 v1, v1, v11
	s_waitcnt vmcnt(0)
	v_mad_u64_u32 v[8:9], s[16:17], v1, 24, v[13:14]
	v_and_b32_e32 v2, v2, v12
	v_mov_b32_e32 v1, v9
	v_mad_u64_u32 v[1:2], s[16:17], v2, 24, v[1:2]
	v_mov_b32_e32 v9, v1
	global_load_dwordx2 v[9:10], v[8:9], off glc
	s_waitcnt vmcnt(0)
	global_atomic_cmpswap_x2 v[9:10], v0, v[9:12], s[10:11] offset:24 glc
	s_waitcnt vmcnt(0)
	buffer_wbinvl1_vol
	v_cmp_eq_u64_e32 vcc, v[9:10], v[11:12]
	s_or_b64 s[14:15], vcc, s[14:15]
	s_andn2_b64 exec, exec, s[14:15]
	s_cbranch_execnz .LBB1_117
; %bb.118:
	s_or_b64 exec, exec, s[14:15]
.LBB1_119:
	s_or_b64 exec, exec, s[12:13]
.LBB1_120:
	s_or_b64 exec, exec, s[6:7]
	v_mov_b32_e32 v8, 0
	global_load_dwordx2 v[11:12], v8, s[10:11] offset:40
	global_load_dwordx4 v[0:3], v8, s[10:11]
	v_readfirstlane_b32 s7, v10
	v_readfirstlane_b32 s6, v9
	s_mov_b64 s[12:13], exec
	s_waitcnt vmcnt(1)
	v_readfirstlane_b32 s14, v11
	v_readfirstlane_b32 s15, v12
	s_and_b64 s[14:15], s[14:15], s[6:7]
	s_mul_i32 s16, s15, 24
	s_mul_hi_u32 s17, s14, 24
	s_mul_i32 s18, s14, 24
	s_add_i32 s16, s17, s16
	v_mov_b32_e32 v9, s16
	s_waitcnt vmcnt(0)
	v_add_co_u32_e32 v10, vcc, s18, v0
	v_addc_co_u32_e32 v11, vcc, v1, v9, vcc
	s_and_saveexec_b64 s[16:17], s[4:5]
	s_cbranch_execz .LBB1_122
; %bb.121:
	v_mov_b32_e32 v12, s12
	v_mov_b32_e32 v13, s13
	;; [unrolled: 1-line block ×4, first 2 shown]
	global_store_dwordx4 v[10:11], v[12:15], off offset:8
.LBB1_122:
	s_or_b64 exec, exec, s[16:17]
	s_lshl_b64 s[12:13], s[14:15], 12
	v_mov_b32_e32 v9, s13
	v_add_co_u32_e32 v2, vcc, s12, v2
	v_addc_co_u32_e32 v3, vcc, v3, v9, vcc
	s_movk_i32 s12, 0xff1f
	v_and_or_b32 v6, v6, s12, 32
	s_mov_b32 s12, 0
	v_mov_b32_e32 v9, v8
	v_readfirstlane_b32 s16, v2
	v_readfirstlane_b32 s17, v3
	v_add_co_u32_e32 v12, vcc, v2, v35
	s_mov_b32 s13, s12
	s_mov_b32 s14, s12
	;; [unrolled: 1-line block ×3, first 2 shown]
	s_nop 0
	global_store_dwordx4 v35, v[6:9], s[16:17]
	v_addc_co_u32_e32 v13, vcc, 0, v3, vcc
	v_mov_b32_e32 v6, s12
	v_mov_b32_e32 v7, s13
	;; [unrolled: 1-line block ×4, first 2 shown]
	global_store_dwordx4 v35, v[6:9], s[16:17] offset:16
	global_store_dwordx4 v35, v[6:9], s[16:17] offset:32
	;; [unrolled: 1-line block ×3, first 2 shown]
	s_and_saveexec_b64 s[12:13], s[4:5]
	s_cbranch_execz .LBB1_130
; %bb.123:
	v_mov_b32_e32 v8, 0
	global_load_dwordx2 v[16:17], v8, s[10:11] offset:32 glc
	global_load_dwordx2 v[2:3], v8, s[10:11] offset:40
	v_mov_b32_e32 v14, s6
	v_mov_b32_e32 v15, s7
	s_waitcnt vmcnt(0)
	v_readfirstlane_b32 s14, v2
	v_readfirstlane_b32 s15, v3
	s_and_b64 s[14:15], s[14:15], s[6:7]
	s_mul_i32 s15, s15, 24
	s_mul_hi_u32 s16, s14, 24
	s_mul_i32 s14, s14, 24
	s_add_i32 s15, s16, s15
	v_mov_b32_e32 v2, s15
	v_add_co_u32_e32 v6, vcc, s14, v0
	v_addc_co_u32_e32 v7, vcc, v1, v2, vcc
	global_store_dwordx2 v[6:7], v[16:17], off
	s_waitcnt vmcnt(0)
	global_atomic_cmpswap_x2 v[2:3], v8, v[14:17], s[10:11] offset:32 glc
	s_waitcnt vmcnt(0)
	v_cmp_ne_u64_e32 vcc, v[2:3], v[16:17]
	s_and_saveexec_b64 s[14:15], vcc
	s_cbranch_execz .LBB1_126
; %bb.124:
	s_mov_b64 s[16:17], 0
.LBB1_125:                              ; =>This Inner Loop Header: Depth=1
	s_sleep 1
	global_store_dwordx2 v[6:7], v[2:3], off
	v_mov_b32_e32 v0, s6
	v_mov_b32_e32 v1, s7
	s_waitcnt vmcnt(0)
	global_atomic_cmpswap_x2 v[0:1], v8, v[0:3], s[10:11] offset:32 glc
	s_waitcnt vmcnt(0)
	v_cmp_eq_u64_e32 vcc, v[0:1], v[2:3]
	v_mov_b32_e32 v3, v1
	s_or_b64 s[16:17], vcc, s[16:17]
	v_mov_b32_e32 v2, v0
	s_andn2_b64 exec, exec, s[16:17]
	s_cbranch_execnz .LBB1_125
.LBB1_126:
	s_or_b64 exec, exec, s[14:15]
	v_mov_b32_e32 v3, 0
	global_load_dwordx2 v[0:1], v3, s[10:11] offset:16
	s_mov_b64 s[14:15], exec
	v_mbcnt_lo_u32_b32 v2, s14, 0
	v_mbcnt_hi_u32_b32 v2, s15, v2
	v_cmp_eq_u32_e32 vcc, 0, v2
	s_and_saveexec_b64 s[16:17], vcc
	s_cbranch_execz .LBB1_128
; %bb.127:
	s_bcnt1_i32_b64 s14, s[14:15]
	v_mov_b32_e32 v2, s14
	s_waitcnt vmcnt(0)
	global_atomic_add_x2 v[0:1], v[2:3], off offset:8
.LBB1_128:
	s_or_b64 exec, exec, s[16:17]
	s_waitcnt vmcnt(0)
	global_load_dwordx2 v[2:3], v[0:1], off offset:16
	s_waitcnt vmcnt(0)
	v_cmp_eq_u64_e32 vcc, 0, v[2:3]
	s_cbranch_vccnz .LBB1_130
; %bb.129:
	global_load_dword v0, v[0:1], off offset:24
	v_mov_b32_e32 v1, 0
	s_waitcnt vmcnt(0)
	v_readfirstlane_b32 s14, v0
	s_and_b32 m0, s14, 0xffffff
	global_store_dwordx2 v[2:3], v[0:1], off
	s_sendmsg sendmsg(MSG_INTERRUPT)
.LBB1_130:
	s_or_b64 exec, exec, s[12:13]
	s_branch .LBB1_134
.LBB1_131:                              ;   in Loop: Header=BB1_134 Depth=1
	s_or_b64 exec, exec, s[12:13]
	v_readfirstlane_b32 s12, v0
	s_cmp_eq_u32 s12, 0
	s_cbranch_scc1 .LBB1_133
; %bb.132:                              ;   in Loop: Header=BB1_134 Depth=1
	s_sleep 1
	s_cbranch_execnz .LBB1_134
	s_branch .LBB1_136
.LBB1_133:
	s_branch .LBB1_136
.LBB1_134:                              ; =>This Inner Loop Header: Depth=1
	v_mov_b32_e32 v0, 1
	s_and_saveexec_b64 s[12:13], s[4:5]
	s_cbranch_execz .LBB1_131
; %bb.135:                              ;   in Loop: Header=BB1_134 Depth=1
	global_load_dword v0, v[10:11], off offset:20 glc
	s_waitcnt vmcnt(0)
	buffer_wbinvl1_vol
	v_and_b32_e32 v0, 1, v0
	s_branch .LBB1_131
.LBB1_136:
	global_load_dwordx2 v[0:1], v[12:13], off
	s_and_saveexec_b64 s[12:13], s[4:5]
	s_cbranch_execz .LBB1_139
; %bb.137:
	v_mov_b32_e32 v10, 0
	global_load_dwordx2 v[2:3], v10, s[10:11] offset:40
	global_load_dwordx2 v[13:14], v10, s[10:11] offset:24 glc
	global_load_dwordx2 v[6:7], v10, s[10:11]
	s_waitcnt vmcnt(2)
	v_readfirstlane_b32 s14, v2
	v_readfirstlane_b32 s15, v3
	s_add_u32 s16, s14, 1
	s_addc_u32 s17, s15, 0
	s_add_u32 s4, s16, s6
	s_addc_u32 s5, s17, s7
	s_cmp_eq_u64 s[4:5], 0
	s_cselect_b32 s5, s17, s5
	s_cselect_b32 s4, s16, s4
	s_and_b64 s[6:7], s[4:5], s[14:15]
	s_mul_i32 s7, s7, 24
	s_mul_hi_u32 s14, s6, 24
	s_mul_i32 s6, s6, 24
	s_add_i32 s7, s14, s7
	v_mov_b32_e32 v3, s7
	s_waitcnt vmcnt(0)
	v_add_co_u32_e32 v2, vcc, s6, v6
	v_addc_co_u32_e32 v3, vcc, v7, v3, vcc
	v_mov_b32_e32 v11, s4
	global_store_dwordx2 v[2:3], v[13:14], off
	v_mov_b32_e32 v12, s5
	s_waitcnt vmcnt(0)
	global_atomic_cmpswap_x2 v[8:9], v10, v[11:14], s[10:11] offset:24 glc
	s_mov_b64 s[6:7], 0
	s_waitcnt vmcnt(0)
	v_cmp_ne_u64_e32 vcc, v[8:9], v[13:14]
	s_and_b64 exec, exec, vcc
	s_cbranch_execz .LBB1_139
.LBB1_138:                              ; =>This Inner Loop Header: Depth=1
	s_sleep 1
	global_store_dwordx2 v[2:3], v[8:9], off
	v_mov_b32_e32 v6, s4
	v_mov_b32_e32 v7, s5
	s_waitcnt vmcnt(0)
	global_atomic_cmpswap_x2 v[6:7], v10, v[6:9], s[10:11] offset:24 glc
	s_waitcnt vmcnt(0)
	v_cmp_eq_u64_e32 vcc, v[6:7], v[8:9]
	v_mov_b32_e32 v9, v7
	s_or_b64 s[6:7], vcc, s[6:7]
	v_mov_b32_e32 v8, v6
	s_andn2_b64 exec, exec, s[6:7]
	s_cbranch_execnz .LBB1_138
.LBB1_139:
	s_or_b64 exec, exec, s[12:13]
.LBB1_140:
	s_getpc_b64 s[6:7]
	s_add_u32 s6, s6, .str.4@rel32@lo+4
	s_addc_u32 s7, s7, .str.4@rel32@hi+12
	s_cmp_lg_u64 s[6:7], 0
	s_cbranch_scc0 .LBB1_225
; %bb.141:
	s_getpc_b64 s[4:5]
	s_add_u32 s4, s4, .str.4@rel32@lo+80
	s_addc_u32 s5, s5, .str.4@rel32@hi+88
	s_sub_i32 s12, s4, s6
	s_ashr_i32 s13, s12, 31
	s_waitcnt vmcnt(0)
	v_and_b32_e32 v32, 2, v0
	v_mov_b32_e32 v3, 0
	v_and_b32_e32 v6, -3, v0
	v_mov_b32_e32 v7, v1
	v_mov_b32_e32 v12, 2
	;; [unrolled: 1-line block ×3, first 2 shown]
	s_branch .LBB1_143
.LBB1_142:                              ;   in Loop: Header=BB1_143 Depth=1
	s_or_b64 exec, exec, s[18:19]
	s_sub_u32 s12, s12, s14
	s_subb_u32 s13, s13, s15
	s_add_u32 s6, s6, s14
	s_addc_u32 s7, s7, s15
	s_cmp_lg_u64 s[12:13], 0
	s_cbranch_scc0 .LBB1_226
.LBB1_143:                              ; =>This Loop Header: Depth=1
                                        ;     Child Loop BB1_146 Depth 2
                                        ;     Child Loop BB1_154 Depth 2
                                        ;     Child Loop BB1_162 Depth 2
                                        ;     Child Loop BB1_170 Depth 2
                                        ;     Child Loop BB1_178 Depth 2
                                        ;     Child Loop BB1_186 Depth 2
                                        ;     Child Loop BB1_194 Depth 2
                                        ;     Child Loop BB1_202 Depth 2
                                        ;     Child Loop BB1_210 Depth 2
                                        ;     Child Loop BB1_219 Depth 2
                                        ;     Child Loop BB1_224 Depth 2
	v_cmp_lt_u64_e64 s[4:5], s[12:13], 56
	v_cmp_gt_u64_e64 s[16:17], s[12:13], 7
	s_and_b64 s[4:5], s[4:5], exec
	s_cselect_b32 s15, s13, 0
	s_cselect_b32 s14, s12, 56
	s_add_u32 s4, s6, 8
	s_addc_u32 s5, s7, 0
	s_and_b64 vcc, exec, s[16:17]
	s_cbranch_vccnz .LBB1_147
; %bb.144:                              ;   in Loop: Header=BB1_143 Depth=1
	s_cmp_eq_u64 s[12:13], 0
	s_cbranch_scc1 .LBB1_148
; %bb.145:                              ;   in Loop: Header=BB1_143 Depth=1
	v_mov_b32_e32 v8, 0
	s_lshl_b64 s[4:5], s[14:15], 3
	s_mov_b64 s[16:17], 0
	v_mov_b32_e32 v9, 0
	s_mov_b64 s[18:19], s[6:7]
.LBB1_146:                              ;   Parent Loop BB1_143 Depth=1
                                        ; =>  This Inner Loop Header: Depth=2
	global_load_ubyte v2, v3, s[18:19]
	s_waitcnt vmcnt(0)
	v_and_b32_e32 v2, 0xffff, v2
	v_lshlrev_b64 v[10:11], s16, v[2:3]
	s_add_u32 s16, s16, 8
	s_addc_u32 s17, s17, 0
	s_add_u32 s18, s18, 1
	s_addc_u32 s19, s19, 0
	v_or_b32_e32 v8, v10, v8
	s_cmp_lg_u32 s4, s16
	v_or_b32_e32 v9, v11, v9
	s_cbranch_scc1 .LBB1_146
	s_branch .LBB1_149
.LBB1_147:                              ;   in Loop: Header=BB1_143 Depth=1
	s_mov_b32 s20, 0
	s_branch .LBB1_150
.LBB1_148:                              ;   in Loop: Header=BB1_143 Depth=1
	v_mov_b32_e32 v8, 0
	v_mov_b32_e32 v9, 0
.LBB1_149:                              ;   in Loop: Header=BB1_143 Depth=1
	s_mov_b64 s[4:5], s[6:7]
	s_mov_b32 s20, 0
	s_cbranch_execnz .LBB1_151
.LBB1_150:                              ;   in Loop: Header=BB1_143 Depth=1
	global_load_dwordx2 v[8:9], v3, s[6:7]
	s_add_i32 s20, s14, -8
.LBB1_151:                              ;   in Loop: Header=BB1_143 Depth=1
	s_add_u32 s16, s4, 8
	s_addc_u32 s17, s5, 0
	s_cmp_gt_u32 s20, 7
	s_cbranch_scc1 .LBB1_155
; %bb.152:                              ;   in Loop: Header=BB1_143 Depth=1
	s_cmp_eq_u32 s20, 0
	s_cbranch_scc1 .LBB1_156
; %bb.153:                              ;   in Loop: Header=BB1_143 Depth=1
	v_mov_b32_e32 v14, 0
	s_mov_b64 s[16:17], 0
	v_mov_b32_e32 v15, 0
	s_mov_b64 s[18:19], 0
.LBB1_154:                              ;   Parent Loop BB1_143 Depth=1
                                        ; =>  This Inner Loop Header: Depth=2
	s_add_u32 s22, s4, s18
	s_addc_u32 s23, s5, s19
	global_load_ubyte v2, v3, s[22:23]
	s_add_u32 s18, s18, 1
	s_addc_u32 s19, s19, 0
	s_waitcnt vmcnt(0)
	v_and_b32_e32 v2, 0xffff, v2
	v_lshlrev_b64 v[10:11], s16, v[2:3]
	s_add_u32 s16, s16, 8
	s_addc_u32 s17, s17, 0
	v_or_b32_e32 v14, v10, v14
	s_cmp_lg_u32 s20, s18
	v_or_b32_e32 v15, v11, v15
	s_cbranch_scc1 .LBB1_154
	s_branch .LBB1_157
.LBB1_155:                              ;   in Loop: Header=BB1_143 Depth=1
                                        ; implicit-def: $vgpr14_vgpr15
	s_mov_b32 s21, 0
	s_branch .LBB1_158
.LBB1_156:                              ;   in Loop: Header=BB1_143 Depth=1
	v_mov_b32_e32 v14, 0
	v_mov_b32_e32 v15, 0
.LBB1_157:                              ;   in Loop: Header=BB1_143 Depth=1
	s_mov_b64 s[16:17], s[4:5]
	s_mov_b32 s21, 0
	s_cbranch_execnz .LBB1_159
.LBB1_158:                              ;   in Loop: Header=BB1_143 Depth=1
	global_load_dwordx2 v[14:15], v3, s[4:5]
	s_add_i32 s21, s20, -8
.LBB1_159:                              ;   in Loop: Header=BB1_143 Depth=1
	s_add_u32 s4, s16, 8
	s_addc_u32 s5, s17, 0
	s_cmp_gt_u32 s21, 7
	s_cbranch_scc1 .LBB1_163
; %bb.160:                              ;   in Loop: Header=BB1_143 Depth=1
	s_cmp_eq_u32 s21, 0
	s_cbranch_scc1 .LBB1_164
; %bb.161:                              ;   in Loop: Header=BB1_143 Depth=1
	v_mov_b32_e32 v16, 0
	s_mov_b64 s[4:5], 0
	v_mov_b32_e32 v17, 0
	s_mov_b64 s[18:19], 0
.LBB1_162:                              ;   Parent Loop BB1_143 Depth=1
                                        ; =>  This Inner Loop Header: Depth=2
	s_add_u32 s22, s16, s18
	s_addc_u32 s23, s17, s19
	global_load_ubyte v2, v3, s[22:23]
	s_add_u32 s18, s18, 1
	s_addc_u32 s19, s19, 0
	s_waitcnt vmcnt(0)
	v_and_b32_e32 v2, 0xffff, v2
	v_lshlrev_b64 v[10:11], s4, v[2:3]
	s_add_u32 s4, s4, 8
	s_addc_u32 s5, s5, 0
	v_or_b32_e32 v16, v10, v16
	s_cmp_lg_u32 s21, s18
	v_or_b32_e32 v17, v11, v17
	s_cbranch_scc1 .LBB1_162
	s_branch .LBB1_165
.LBB1_163:                              ;   in Loop: Header=BB1_143 Depth=1
	s_mov_b32 s20, 0
	s_branch .LBB1_166
.LBB1_164:                              ;   in Loop: Header=BB1_143 Depth=1
	v_mov_b32_e32 v16, 0
	v_mov_b32_e32 v17, 0
.LBB1_165:                              ;   in Loop: Header=BB1_143 Depth=1
	s_mov_b64 s[4:5], s[16:17]
	s_mov_b32 s20, 0
	s_cbranch_execnz .LBB1_167
.LBB1_166:                              ;   in Loop: Header=BB1_143 Depth=1
	global_load_dwordx2 v[16:17], v3, s[16:17]
	s_add_i32 s20, s21, -8
.LBB1_167:                              ;   in Loop: Header=BB1_143 Depth=1
	s_add_u32 s16, s4, 8
	s_addc_u32 s17, s5, 0
	s_cmp_gt_u32 s20, 7
	s_cbranch_scc1 .LBB1_171
; %bb.168:                              ;   in Loop: Header=BB1_143 Depth=1
	s_cmp_eq_u32 s20, 0
	s_cbranch_scc1 .LBB1_172
; %bb.169:                              ;   in Loop: Header=BB1_143 Depth=1
	v_mov_b32_e32 v18, 0
	s_mov_b64 s[16:17], 0
	v_mov_b32_e32 v19, 0
	s_mov_b64 s[18:19], 0
.LBB1_170:                              ;   Parent Loop BB1_143 Depth=1
                                        ; =>  This Inner Loop Header: Depth=2
	s_add_u32 s22, s4, s18
	s_addc_u32 s23, s5, s19
	global_load_ubyte v2, v3, s[22:23]
	s_add_u32 s18, s18, 1
	s_addc_u32 s19, s19, 0
	s_waitcnt vmcnt(0)
	v_and_b32_e32 v2, 0xffff, v2
	v_lshlrev_b64 v[10:11], s16, v[2:3]
	s_add_u32 s16, s16, 8
	s_addc_u32 s17, s17, 0
	v_or_b32_e32 v18, v10, v18
	s_cmp_lg_u32 s20, s18
	v_or_b32_e32 v19, v11, v19
	s_cbranch_scc1 .LBB1_170
	s_branch .LBB1_173
.LBB1_171:                              ;   in Loop: Header=BB1_143 Depth=1
                                        ; implicit-def: $vgpr18_vgpr19
	s_mov_b32 s21, 0
	s_branch .LBB1_174
.LBB1_172:                              ;   in Loop: Header=BB1_143 Depth=1
	v_mov_b32_e32 v18, 0
	v_mov_b32_e32 v19, 0
.LBB1_173:                              ;   in Loop: Header=BB1_143 Depth=1
	s_mov_b64 s[16:17], s[4:5]
	s_mov_b32 s21, 0
	s_cbranch_execnz .LBB1_175
.LBB1_174:                              ;   in Loop: Header=BB1_143 Depth=1
	global_load_dwordx2 v[18:19], v3, s[4:5]
	s_add_i32 s21, s20, -8
.LBB1_175:                              ;   in Loop: Header=BB1_143 Depth=1
	s_add_u32 s4, s16, 8
	s_addc_u32 s5, s17, 0
	s_cmp_gt_u32 s21, 7
	s_cbranch_scc1 .LBB1_179
; %bb.176:                              ;   in Loop: Header=BB1_143 Depth=1
	s_cmp_eq_u32 s21, 0
	s_cbranch_scc1 .LBB1_180
; %bb.177:                              ;   in Loop: Header=BB1_143 Depth=1
	v_mov_b32_e32 v20, 0
	s_mov_b64 s[4:5], 0
	v_mov_b32_e32 v21, 0
	s_mov_b64 s[18:19], 0
.LBB1_178:                              ;   Parent Loop BB1_143 Depth=1
                                        ; =>  This Inner Loop Header: Depth=2
	s_add_u32 s22, s16, s18
	s_addc_u32 s23, s17, s19
	global_load_ubyte v2, v3, s[22:23]
	s_add_u32 s18, s18, 1
	s_addc_u32 s19, s19, 0
	s_waitcnt vmcnt(0)
	v_and_b32_e32 v2, 0xffff, v2
	v_lshlrev_b64 v[10:11], s4, v[2:3]
	s_add_u32 s4, s4, 8
	s_addc_u32 s5, s5, 0
	v_or_b32_e32 v20, v10, v20
	s_cmp_lg_u32 s21, s18
	v_or_b32_e32 v21, v11, v21
	s_cbranch_scc1 .LBB1_178
	s_branch .LBB1_181
.LBB1_179:                              ;   in Loop: Header=BB1_143 Depth=1
	s_mov_b32 s20, 0
	s_branch .LBB1_182
.LBB1_180:                              ;   in Loop: Header=BB1_143 Depth=1
	v_mov_b32_e32 v20, 0
	v_mov_b32_e32 v21, 0
.LBB1_181:                              ;   in Loop: Header=BB1_143 Depth=1
	s_mov_b64 s[4:5], s[16:17]
	s_mov_b32 s20, 0
	s_cbranch_execnz .LBB1_183
.LBB1_182:                              ;   in Loop: Header=BB1_143 Depth=1
	global_load_dwordx2 v[20:21], v3, s[16:17]
	s_add_i32 s20, s21, -8
.LBB1_183:                              ;   in Loop: Header=BB1_143 Depth=1
	s_add_u32 s16, s4, 8
	s_addc_u32 s17, s5, 0
	s_cmp_gt_u32 s20, 7
	s_cbranch_scc1 .LBB1_187
; %bb.184:                              ;   in Loop: Header=BB1_143 Depth=1
	s_cmp_eq_u32 s20, 0
	s_cbranch_scc1 .LBB1_188
; %bb.185:                              ;   in Loop: Header=BB1_143 Depth=1
	v_mov_b32_e32 v22, 0
	s_mov_b64 s[16:17], 0
	v_mov_b32_e32 v23, 0
	s_mov_b64 s[18:19], 0
.LBB1_186:                              ;   Parent Loop BB1_143 Depth=1
                                        ; =>  This Inner Loop Header: Depth=2
	s_add_u32 s22, s4, s18
	s_addc_u32 s23, s5, s19
	global_load_ubyte v2, v3, s[22:23]
	s_add_u32 s18, s18, 1
	s_addc_u32 s19, s19, 0
	s_waitcnt vmcnt(0)
	v_and_b32_e32 v2, 0xffff, v2
	v_lshlrev_b64 v[10:11], s16, v[2:3]
	s_add_u32 s16, s16, 8
	s_addc_u32 s17, s17, 0
	v_or_b32_e32 v22, v10, v22
	s_cmp_lg_u32 s20, s18
	v_or_b32_e32 v23, v11, v23
	s_cbranch_scc1 .LBB1_186
	s_branch .LBB1_189
.LBB1_187:                              ;   in Loop: Header=BB1_143 Depth=1
                                        ; implicit-def: $vgpr22_vgpr23
	s_mov_b32 s21, 0
	s_branch .LBB1_190
.LBB1_188:                              ;   in Loop: Header=BB1_143 Depth=1
	v_mov_b32_e32 v22, 0
	v_mov_b32_e32 v23, 0
.LBB1_189:                              ;   in Loop: Header=BB1_143 Depth=1
	s_mov_b64 s[16:17], s[4:5]
	s_mov_b32 s21, 0
	s_cbranch_execnz .LBB1_191
.LBB1_190:                              ;   in Loop: Header=BB1_143 Depth=1
	global_load_dwordx2 v[22:23], v3, s[4:5]
	s_add_i32 s21, s20, -8
.LBB1_191:                              ;   in Loop: Header=BB1_143 Depth=1
	s_cmp_gt_u32 s21, 7
	s_cbranch_scc1 .LBB1_195
; %bb.192:                              ;   in Loop: Header=BB1_143 Depth=1
	s_cmp_eq_u32 s21, 0
	s_cbranch_scc1 .LBB1_196
; %bb.193:                              ;   in Loop: Header=BB1_143 Depth=1
	v_mov_b32_e32 v24, 0
	s_mov_b64 s[4:5], 0
	v_mov_b32_e32 v25, 0
	s_mov_b64 s[18:19], s[16:17]
.LBB1_194:                              ;   Parent Loop BB1_143 Depth=1
                                        ; =>  This Inner Loop Header: Depth=2
	global_load_ubyte v2, v3, s[18:19]
	s_add_i32 s21, s21, -1
	s_waitcnt vmcnt(0)
	v_and_b32_e32 v2, 0xffff, v2
	v_lshlrev_b64 v[10:11], s4, v[2:3]
	s_add_u32 s4, s4, 8
	s_addc_u32 s5, s5, 0
	s_add_u32 s18, s18, 1
	s_addc_u32 s19, s19, 0
	v_or_b32_e32 v24, v10, v24
	s_cmp_lg_u32 s21, 0
	v_or_b32_e32 v25, v11, v25
	s_cbranch_scc1 .LBB1_194
	s_branch .LBB1_197
.LBB1_195:                              ;   in Loop: Header=BB1_143 Depth=1
	s_branch .LBB1_198
.LBB1_196:                              ;   in Loop: Header=BB1_143 Depth=1
	v_mov_b32_e32 v24, 0
	v_mov_b32_e32 v25, 0
.LBB1_197:                              ;   in Loop: Header=BB1_143 Depth=1
	s_cbranch_execnz .LBB1_199
.LBB1_198:                              ;   in Loop: Header=BB1_143 Depth=1
	global_load_dwordx2 v[24:25], v3, s[16:17]
.LBB1_199:                              ;   in Loop: Header=BB1_143 Depth=1
	v_readfirstlane_b32 s4, v34
	v_mov_b32_e32 v10, 0
	v_mov_b32_e32 v11, 0
	v_cmp_eq_u32_e64 s[4:5], s4, v34
	s_and_saveexec_b64 s[16:17], s[4:5]
	s_cbranch_execz .LBB1_205
; %bb.200:                              ;   in Loop: Header=BB1_143 Depth=1
	global_load_dwordx2 v[28:29], v3, s[10:11] offset:24 glc
	s_waitcnt vmcnt(0)
	buffer_wbinvl1_vol
	global_load_dwordx2 v[10:11], v3, s[10:11] offset:40
	global_load_dwordx2 v[26:27], v3, s[10:11]
	s_waitcnt vmcnt(1)
	v_and_b32_e32 v2, v10, v28
	v_and_b32_e32 v10, v11, v29
	v_mul_lo_u32 v10, v10, 24
	v_mul_hi_u32 v11, v2, 24
	v_mul_lo_u32 v2, v2, 24
	v_add_u32_e32 v11, v11, v10
	s_waitcnt vmcnt(0)
	v_add_co_u32_e32 v10, vcc, v26, v2
	v_addc_co_u32_e32 v11, vcc, v27, v11, vcc
	global_load_dwordx2 v[26:27], v[10:11], off glc
	s_waitcnt vmcnt(0)
	global_atomic_cmpswap_x2 v[10:11], v3, v[26:29], s[10:11] offset:24 glc
	s_waitcnt vmcnt(0)
	buffer_wbinvl1_vol
	v_cmp_ne_u64_e32 vcc, v[10:11], v[28:29]
	s_and_saveexec_b64 s[18:19], vcc
	s_cbranch_execz .LBB1_204
; %bb.201:                              ;   in Loop: Header=BB1_143 Depth=1
	s_mov_b64 s[20:21], 0
.LBB1_202:                              ;   Parent Loop BB1_143 Depth=1
                                        ; =>  This Inner Loop Header: Depth=2
	s_sleep 1
	global_load_dwordx2 v[26:27], v3, s[10:11] offset:40
	global_load_dwordx2 v[30:31], v3, s[10:11]
	v_mov_b32_e32 v29, v11
	v_mov_b32_e32 v28, v10
	s_waitcnt vmcnt(1)
	v_and_b32_e32 v2, v26, v28
	s_waitcnt vmcnt(0)
	v_mad_u64_u32 v[10:11], s[22:23], v2, 24, v[30:31]
	v_and_b32_e32 v26, v27, v29
	v_mov_b32_e32 v2, v11
	v_mad_u64_u32 v[26:27], s[22:23], v26, 24, v[2:3]
	v_mov_b32_e32 v11, v26
	global_load_dwordx2 v[26:27], v[10:11], off glc
	s_waitcnt vmcnt(0)
	global_atomic_cmpswap_x2 v[10:11], v3, v[26:29], s[10:11] offset:24 glc
	s_waitcnt vmcnt(0)
	buffer_wbinvl1_vol
	v_cmp_eq_u64_e32 vcc, v[10:11], v[28:29]
	s_or_b64 s[20:21], vcc, s[20:21]
	s_andn2_b64 exec, exec, s[20:21]
	s_cbranch_execnz .LBB1_202
; %bb.203:                              ;   in Loop: Header=BB1_143 Depth=1
	s_or_b64 exec, exec, s[20:21]
.LBB1_204:                              ;   in Loop: Header=BB1_143 Depth=1
	s_or_b64 exec, exec, s[18:19]
.LBB1_205:                              ;   in Loop: Header=BB1_143 Depth=1
	s_or_b64 exec, exec, s[16:17]
	global_load_dwordx2 v[30:31], v3, s[10:11] offset:40
	global_load_dwordx4 v[26:29], v3, s[10:11]
	v_readfirstlane_b32 s17, v11
	v_readfirstlane_b32 s16, v10
	s_mov_b64 s[18:19], exec
	s_waitcnt vmcnt(1)
	v_readfirstlane_b32 s20, v30
	v_readfirstlane_b32 s21, v31
	s_and_b64 s[20:21], s[20:21], s[16:17]
	s_mul_i32 s22, s21, 24
	s_mul_hi_u32 s23, s20, 24
	s_mul_i32 s24, s20, 24
	s_add_i32 s22, s23, s22
	v_mov_b32_e32 v2, s22
	s_waitcnt vmcnt(0)
	v_add_co_u32_e32 v30, vcc, s24, v26
	v_addc_co_u32_e32 v31, vcc, v27, v2, vcc
	s_and_saveexec_b64 s[22:23], s[4:5]
	s_cbranch_execz .LBB1_207
; %bb.206:                              ;   in Loop: Header=BB1_143 Depth=1
	v_mov_b32_e32 v10, s18
	v_mov_b32_e32 v11, s19
	global_store_dwordx4 v[30:31], v[10:13], off offset:8
.LBB1_207:                              ;   in Loop: Header=BB1_143 Depth=1
	s_or_b64 exec, exec, s[22:23]
	s_lshl_b64 s[18:19], s[20:21], 12
	v_mov_b32_e32 v2, s19
	v_add_co_u32_e32 v28, vcc, s18, v28
	v_addc_co_u32_e32 v29, vcc, v29, v2, vcc
	v_cmp_lt_u64_e64 vcc, s[12:13], 57
	s_lshl_b32 s18, s14, 2
	v_cndmask_b32_e32 v2, 0, v32, vcc
	s_add_i32 s18, s18, 28
	v_and_b32_e32 v6, 0xffffff1f, v6
	s_and_b32 s18, s18, 0x1e0
	v_or_b32_e32 v2, v6, v2
	v_or_b32_e32 v6, s18, v2
	v_readfirstlane_b32 s18, v28
	v_readfirstlane_b32 s19, v29
	s_nop 4
	global_store_dwordx4 v35, v[6:9], s[18:19]
	global_store_dwordx4 v35, v[14:17], s[18:19] offset:16
	global_store_dwordx4 v35, v[18:21], s[18:19] offset:32
	;; [unrolled: 1-line block ×3, first 2 shown]
	s_and_saveexec_b64 s[18:19], s[4:5]
	s_cbranch_execz .LBB1_215
; %bb.208:                              ;   in Loop: Header=BB1_143 Depth=1
	global_load_dwordx2 v[16:17], v3, s[10:11] offset:32 glc
	global_load_dwordx2 v[6:7], v3, s[10:11] offset:40
	v_mov_b32_e32 v14, s16
	v_mov_b32_e32 v15, s17
	s_waitcnt vmcnt(0)
	v_readfirstlane_b32 s20, v6
	v_readfirstlane_b32 s21, v7
	s_and_b64 s[20:21], s[20:21], s[16:17]
	s_mul_i32 s21, s21, 24
	s_mul_hi_u32 s22, s20, 24
	s_mul_i32 s20, s20, 24
	s_add_i32 s21, s22, s21
	v_mov_b32_e32 v2, s21
	v_add_co_u32_e32 v10, vcc, s20, v26
	v_addc_co_u32_e32 v11, vcc, v27, v2, vcc
	global_store_dwordx2 v[10:11], v[16:17], off
	s_waitcnt vmcnt(0)
	global_atomic_cmpswap_x2 v[8:9], v3, v[14:17], s[10:11] offset:32 glc
	s_waitcnt vmcnt(0)
	v_cmp_ne_u64_e32 vcc, v[8:9], v[16:17]
	s_and_saveexec_b64 s[20:21], vcc
	s_cbranch_execz .LBB1_211
; %bb.209:                              ;   in Loop: Header=BB1_143 Depth=1
	s_mov_b64 s[22:23], 0
.LBB1_210:                              ;   Parent Loop BB1_143 Depth=1
                                        ; =>  This Inner Loop Header: Depth=2
	s_sleep 1
	global_store_dwordx2 v[10:11], v[8:9], off
	v_mov_b32_e32 v6, s16
	v_mov_b32_e32 v7, s17
	s_waitcnt vmcnt(0)
	global_atomic_cmpswap_x2 v[6:7], v3, v[6:9], s[10:11] offset:32 glc
	s_waitcnt vmcnt(0)
	v_cmp_eq_u64_e32 vcc, v[6:7], v[8:9]
	v_mov_b32_e32 v9, v7
	s_or_b64 s[22:23], vcc, s[22:23]
	v_mov_b32_e32 v8, v6
	s_andn2_b64 exec, exec, s[22:23]
	s_cbranch_execnz .LBB1_210
.LBB1_211:                              ;   in Loop: Header=BB1_143 Depth=1
	s_or_b64 exec, exec, s[20:21]
	global_load_dwordx2 v[6:7], v3, s[10:11] offset:16
	s_mov_b64 s[22:23], exec
	v_mbcnt_lo_u32_b32 v2, s22, 0
	v_mbcnt_hi_u32_b32 v2, s23, v2
	v_cmp_eq_u32_e32 vcc, 0, v2
	s_and_saveexec_b64 s[20:21], vcc
	s_cbranch_execz .LBB1_213
; %bb.212:                              ;   in Loop: Header=BB1_143 Depth=1
	s_bcnt1_i32_b64 s22, s[22:23]
	v_mov_b32_e32 v2, s22
	s_waitcnt vmcnt(0)
	global_atomic_add_x2 v[6:7], v[2:3], off offset:8
.LBB1_213:                              ;   in Loop: Header=BB1_143 Depth=1
	s_or_b64 exec, exec, s[20:21]
	s_waitcnt vmcnt(0)
	global_load_dwordx2 v[8:9], v[6:7], off offset:16
	s_waitcnt vmcnt(0)
	v_cmp_eq_u64_e32 vcc, 0, v[8:9]
	s_cbranch_vccnz .LBB1_215
; %bb.214:                              ;   in Loop: Header=BB1_143 Depth=1
	global_load_dword v2, v[6:7], off offset:24
	s_waitcnt vmcnt(0)
	v_readfirstlane_b32 s20, v2
	s_and_b32 m0, s20, 0xffffff
	global_store_dwordx2 v[8:9], v[2:3], off
	s_sendmsg sendmsg(MSG_INTERRUPT)
.LBB1_215:                              ;   in Loop: Header=BB1_143 Depth=1
	s_or_b64 exec, exec, s[18:19]
	v_add_co_u32_e32 v6, vcc, v28, v35
	v_addc_co_u32_e32 v7, vcc, 0, v29, vcc
	s_branch .LBB1_219
.LBB1_216:                              ;   in Loop: Header=BB1_219 Depth=2
	s_or_b64 exec, exec, s[18:19]
	v_readfirstlane_b32 s18, v2
	s_cmp_eq_u32 s18, 0
	s_cbranch_scc1 .LBB1_218
; %bb.217:                              ;   in Loop: Header=BB1_219 Depth=2
	s_sleep 1
	s_cbranch_execnz .LBB1_219
	s_branch .LBB1_221
.LBB1_218:                              ;   in Loop: Header=BB1_143 Depth=1
	s_branch .LBB1_221
.LBB1_219:                              ;   Parent Loop BB1_143 Depth=1
                                        ; =>  This Inner Loop Header: Depth=2
	v_mov_b32_e32 v2, 1
	s_and_saveexec_b64 s[18:19], s[4:5]
	s_cbranch_execz .LBB1_216
; %bb.220:                              ;   in Loop: Header=BB1_219 Depth=2
	global_load_dword v2, v[30:31], off offset:20 glc
	s_waitcnt vmcnt(0)
	buffer_wbinvl1_vol
	v_and_b32_e32 v2, 1, v2
	s_branch .LBB1_216
.LBB1_221:                              ;   in Loop: Header=BB1_143 Depth=1
	global_load_dwordx2 v[6:7], v[6:7], off
	s_and_saveexec_b64 s[18:19], s[4:5]
	s_cbranch_execz .LBB1_142
; %bb.222:                              ;   in Loop: Header=BB1_143 Depth=1
	global_load_dwordx2 v[8:9], v3, s[10:11] offset:40
	global_load_dwordx2 v[18:19], v3, s[10:11] offset:24 glc
	global_load_dwordx2 v[10:11], v3, s[10:11]
	s_waitcnt vmcnt(2)
	v_readfirstlane_b32 s20, v8
	v_readfirstlane_b32 s21, v9
	s_add_u32 s22, s20, 1
	s_addc_u32 s23, s21, 0
	s_add_u32 s4, s22, s16
	s_addc_u32 s5, s23, s17
	s_cmp_eq_u64 s[4:5], 0
	s_cselect_b32 s5, s23, s5
	s_cselect_b32 s4, s22, s4
	s_and_b64 s[16:17], s[4:5], s[20:21]
	s_mul_i32 s17, s17, 24
	s_mul_hi_u32 s20, s16, 24
	s_mul_i32 s16, s16, 24
	s_add_i32 s17, s20, s17
	v_mov_b32_e32 v2, s17
	s_waitcnt vmcnt(0)
	v_add_co_u32_e32 v14, vcc, s16, v10
	v_addc_co_u32_e32 v15, vcc, v11, v2, vcc
	v_mov_b32_e32 v16, s4
	global_store_dwordx2 v[14:15], v[18:19], off
	v_mov_b32_e32 v17, s5
	s_waitcnt vmcnt(0)
	global_atomic_cmpswap_x2 v[10:11], v3, v[16:19], s[10:11] offset:24 glc
	s_waitcnt vmcnt(0)
	v_cmp_ne_u64_e32 vcc, v[10:11], v[18:19]
	s_and_b64 exec, exec, vcc
	s_cbranch_execz .LBB1_142
; %bb.223:                              ;   in Loop: Header=BB1_143 Depth=1
	s_mov_b64 s[16:17], 0
.LBB1_224:                              ;   Parent Loop BB1_143 Depth=1
                                        ; =>  This Inner Loop Header: Depth=2
	s_sleep 1
	global_store_dwordx2 v[14:15], v[10:11], off
	v_mov_b32_e32 v8, s4
	v_mov_b32_e32 v9, s5
	s_waitcnt vmcnt(0)
	global_atomic_cmpswap_x2 v[8:9], v3, v[8:11], s[10:11] offset:24 glc
	s_waitcnt vmcnt(0)
	v_cmp_eq_u64_e32 vcc, v[8:9], v[10:11]
	v_mov_b32_e32 v11, v9
	s_or_b64 s[16:17], vcc, s[16:17]
	v_mov_b32_e32 v10, v8
	s_andn2_b64 exec, exec, s[16:17]
	s_cbranch_execnz .LBB1_224
	s_branch .LBB1_142
.LBB1_225:
                                        ; implicit-def: $vgpr6_vgpr7
	s_cbranch_execnz .LBB1_227
	s_branch .LBB1_253
.LBB1_226:
	s_branch .LBB1_253
.LBB1_227:
	v_readfirstlane_b32 s4, v34
	v_mov_b32_e32 v10, 0
	v_mov_b32_e32 v11, 0
	v_cmp_eq_u32_e64 s[4:5], s4, v34
	s_and_saveexec_b64 s[6:7], s[4:5]
	s_cbranch_execz .LBB1_233
; %bb.228:
	v_mov_b32_e32 v2, 0
	global_load_dwordx2 v[8:9], v2, s[10:11] offset:24 glc
	s_waitcnt vmcnt(0)
	buffer_wbinvl1_vol
	global_load_dwordx2 v[6:7], v2, s[10:11] offset:40
	global_load_dwordx2 v[10:11], v2, s[10:11]
	s_waitcnt vmcnt(1)
	v_and_b32_e32 v3, v6, v8
	v_and_b32_e32 v6, v7, v9
	v_mul_lo_u32 v6, v6, 24
	v_mul_hi_u32 v7, v3, 24
	v_mul_lo_u32 v3, v3, 24
	v_add_u32_e32 v7, v7, v6
	s_waitcnt vmcnt(0)
	v_add_co_u32_e32 v6, vcc, v10, v3
	v_addc_co_u32_e32 v7, vcc, v11, v7, vcc
	global_load_dwordx2 v[6:7], v[6:7], off glc
	s_waitcnt vmcnt(0)
	global_atomic_cmpswap_x2 v[10:11], v2, v[6:9], s[10:11] offset:24 glc
	s_waitcnt vmcnt(0)
	buffer_wbinvl1_vol
	v_cmp_ne_u64_e32 vcc, v[10:11], v[8:9]
	s_and_saveexec_b64 s[12:13], vcc
	s_cbranch_execz .LBB1_232
; %bb.229:
	s_mov_b64 s[14:15], 0
.LBB1_230:                              ; =>This Inner Loop Header: Depth=1
	s_sleep 1
	global_load_dwordx2 v[6:7], v2, s[10:11] offset:40
	global_load_dwordx2 v[12:13], v2, s[10:11]
	v_mov_b32_e32 v8, v10
	v_mov_b32_e32 v9, v11
	s_waitcnt vmcnt(1)
	v_and_b32_e32 v3, v6, v8
	s_waitcnt vmcnt(0)
	v_mad_u64_u32 v[10:11], s[16:17], v3, 24, v[12:13]
	v_and_b32_e32 v6, v7, v9
	v_mov_b32_e32 v3, v11
	v_mad_u64_u32 v[6:7], s[16:17], v6, 24, v[3:4]
	v_mov_b32_e32 v11, v6
	global_load_dwordx2 v[6:7], v[10:11], off glc
	s_waitcnt vmcnt(0)
	global_atomic_cmpswap_x2 v[10:11], v2, v[6:9], s[10:11] offset:24 glc
	s_waitcnt vmcnt(0)
	buffer_wbinvl1_vol
	v_cmp_eq_u64_e32 vcc, v[10:11], v[8:9]
	s_or_b64 s[14:15], vcc, s[14:15]
	s_andn2_b64 exec, exec, s[14:15]
	s_cbranch_execnz .LBB1_230
; %bb.231:
	s_or_b64 exec, exec, s[14:15]
.LBB1_232:
	s_or_b64 exec, exec, s[12:13]
.LBB1_233:
	s_or_b64 exec, exec, s[6:7]
	v_mov_b32_e32 v2, 0
	global_load_dwordx2 v[12:13], v2, s[10:11] offset:40
	global_load_dwordx4 v[6:9], v2, s[10:11]
	v_readfirstlane_b32 s7, v11
	v_readfirstlane_b32 s6, v10
	s_mov_b64 s[12:13], exec
	s_waitcnt vmcnt(1)
	v_readfirstlane_b32 s14, v12
	v_readfirstlane_b32 s15, v13
	s_and_b64 s[14:15], s[14:15], s[6:7]
	s_mul_i32 s16, s15, 24
	s_mul_hi_u32 s17, s14, 24
	s_mul_i32 s18, s14, 24
	s_add_i32 s16, s17, s16
	v_mov_b32_e32 v3, s16
	s_waitcnt vmcnt(0)
	v_add_co_u32_e32 v10, vcc, s18, v6
	v_addc_co_u32_e32 v11, vcc, v7, v3, vcc
	s_and_saveexec_b64 s[16:17], s[4:5]
	s_cbranch_execz .LBB1_235
; %bb.234:
	v_mov_b32_e32 v12, s12
	v_mov_b32_e32 v13, s13
	v_mov_b32_e32 v14, 2
	v_mov_b32_e32 v15, 1
	global_store_dwordx4 v[10:11], v[12:15], off offset:8
.LBB1_235:
	s_or_b64 exec, exec, s[16:17]
	s_lshl_b64 s[12:13], s[14:15], 12
	v_mov_b32_e32 v3, s13
	v_add_co_u32_e32 v12, vcc, s12, v8
	v_addc_co_u32_e32 v13, vcc, v9, v3, vcc
	s_movk_i32 s12, 0xff1f
	v_and_or_b32 v0, v0, s12, 32
	s_mov_b32 s12, 0
	v_mov_b32_e32 v3, v2
	v_readfirstlane_b32 s16, v12
	v_readfirstlane_b32 s17, v13
	v_add_co_u32_e32 v8, vcc, v12, v35
	s_mov_b32 s13, s12
	s_mov_b32 s14, s12
	;; [unrolled: 1-line block ×3, first 2 shown]
	s_nop 0
	global_store_dwordx4 v35, v[0:3], s[16:17]
	v_addc_co_u32_e32 v9, vcc, 0, v13, vcc
	v_mov_b32_e32 v0, s12
	v_mov_b32_e32 v1, s13
	;; [unrolled: 1-line block ×4, first 2 shown]
	global_store_dwordx4 v35, v[0:3], s[16:17] offset:16
	global_store_dwordx4 v35, v[0:3], s[16:17] offset:32
	;; [unrolled: 1-line block ×3, first 2 shown]
	s_and_saveexec_b64 s[12:13], s[4:5]
	s_cbranch_execz .LBB1_243
; %bb.236:
	v_mov_b32_e32 v12, 0
	global_load_dwordx2 v[15:16], v12, s[10:11] offset:32 glc
	global_load_dwordx2 v[0:1], v12, s[10:11] offset:40
	v_mov_b32_e32 v13, s6
	v_mov_b32_e32 v14, s7
	s_waitcnt vmcnt(0)
	v_readfirstlane_b32 s14, v0
	v_readfirstlane_b32 s15, v1
	s_and_b64 s[14:15], s[14:15], s[6:7]
	s_mul_i32 s15, s15, 24
	s_mul_hi_u32 s16, s14, 24
	s_mul_i32 s14, s14, 24
	s_add_i32 s15, s16, s15
	v_mov_b32_e32 v0, s15
	v_add_co_u32_e32 v6, vcc, s14, v6
	v_addc_co_u32_e32 v7, vcc, v7, v0, vcc
	global_store_dwordx2 v[6:7], v[15:16], off
	s_waitcnt vmcnt(0)
	global_atomic_cmpswap_x2 v[2:3], v12, v[13:16], s[10:11] offset:32 glc
	s_waitcnt vmcnt(0)
	v_cmp_ne_u64_e32 vcc, v[2:3], v[15:16]
	s_and_saveexec_b64 s[14:15], vcc
	s_cbranch_execz .LBB1_239
; %bb.237:
	s_mov_b64 s[16:17], 0
.LBB1_238:                              ; =>This Inner Loop Header: Depth=1
	s_sleep 1
	global_store_dwordx2 v[6:7], v[2:3], off
	v_mov_b32_e32 v0, s6
	v_mov_b32_e32 v1, s7
	s_waitcnt vmcnt(0)
	global_atomic_cmpswap_x2 v[0:1], v12, v[0:3], s[10:11] offset:32 glc
	s_waitcnt vmcnt(0)
	v_cmp_eq_u64_e32 vcc, v[0:1], v[2:3]
	v_mov_b32_e32 v3, v1
	s_or_b64 s[16:17], vcc, s[16:17]
	v_mov_b32_e32 v2, v0
	s_andn2_b64 exec, exec, s[16:17]
	s_cbranch_execnz .LBB1_238
.LBB1_239:
	s_or_b64 exec, exec, s[14:15]
	v_mov_b32_e32 v3, 0
	global_load_dwordx2 v[0:1], v3, s[10:11] offset:16
	s_mov_b64 s[14:15], exec
	v_mbcnt_lo_u32_b32 v2, s14, 0
	v_mbcnt_hi_u32_b32 v2, s15, v2
	v_cmp_eq_u32_e32 vcc, 0, v2
	s_and_saveexec_b64 s[16:17], vcc
	s_cbranch_execz .LBB1_241
; %bb.240:
	s_bcnt1_i32_b64 s14, s[14:15]
	v_mov_b32_e32 v2, s14
	s_waitcnt vmcnt(0)
	global_atomic_add_x2 v[0:1], v[2:3], off offset:8
.LBB1_241:
	s_or_b64 exec, exec, s[16:17]
	s_waitcnt vmcnt(0)
	global_load_dwordx2 v[2:3], v[0:1], off offset:16
	s_waitcnt vmcnt(0)
	v_cmp_eq_u64_e32 vcc, 0, v[2:3]
	s_cbranch_vccnz .LBB1_243
; %bb.242:
	global_load_dword v0, v[0:1], off offset:24
	v_mov_b32_e32 v1, 0
	s_waitcnt vmcnt(0)
	v_readfirstlane_b32 s14, v0
	s_and_b32 m0, s14, 0xffffff
	global_store_dwordx2 v[2:3], v[0:1], off
	s_sendmsg sendmsg(MSG_INTERRUPT)
.LBB1_243:
	s_or_b64 exec, exec, s[12:13]
	s_branch .LBB1_247
.LBB1_244:                              ;   in Loop: Header=BB1_247 Depth=1
	s_or_b64 exec, exec, s[12:13]
	v_readfirstlane_b32 s12, v0
	s_cmp_eq_u32 s12, 0
	s_cbranch_scc1 .LBB1_246
; %bb.245:                              ;   in Loop: Header=BB1_247 Depth=1
	s_sleep 1
	s_cbranch_execnz .LBB1_247
	s_branch .LBB1_249
.LBB1_246:
	s_branch .LBB1_249
.LBB1_247:                              ; =>This Inner Loop Header: Depth=1
	v_mov_b32_e32 v0, 1
	s_and_saveexec_b64 s[12:13], s[4:5]
	s_cbranch_execz .LBB1_244
; %bb.248:                              ;   in Loop: Header=BB1_247 Depth=1
	global_load_dword v0, v[10:11], off offset:20 glc
	s_waitcnt vmcnt(0)
	buffer_wbinvl1_vol
	v_and_b32_e32 v0, 1, v0
	s_branch .LBB1_244
.LBB1_249:
	global_load_dwordx2 v[6:7], v[8:9], off
	s_and_saveexec_b64 s[12:13], s[4:5]
	s_cbranch_execz .LBB1_252
; %bb.250:
	v_mov_b32_e32 v10, 0
	global_load_dwordx2 v[0:1], v10, s[10:11] offset:40
	global_load_dwordx2 v[13:14], v10, s[10:11] offset:24 glc
	global_load_dwordx2 v[2:3], v10, s[10:11]
	s_waitcnt vmcnt(2)
	v_readfirstlane_b32 s14, v0
	v_readfirstlane_b32 s15, v1
	s_add_u32 s16, s14, 1
	s_addc_u32 s17, s15, 0
	s_add_u32 s4, s16, s6
	s_addc_u32 s5, s17, s7
	s_cmp_eq_u64 s[4:5], 0
	s_cselect_b32 s5, s17, s5
	s_cselect_b32 s4, s16, s4
	s_and_b64 s[6:7], s[4:5], s[14:15]
	s_mul_i32 s7, s7, 24
	s_mul_hi_u32 s14, s6, 24
	s_mul_i32 s6, s6, 24
	s_add_i32 s7, s14, s7
	v_mov_b32_e32 v0, s7
	s_waitcnt vmcnt(0)
	v_add_co_u32_e32 v8, vcc, s6, v2
	v_addc_co_u32_e32 v9, vcc, v3, v0, vcc
	v_mov_b32_e32 v11, s4
	global_store_dwordx2 v[8:9], v[13:14], off
	v_mov_b32_e32 v12, s5
	s_waitcnt vmcnt(0)
	global_atomic_cmpswap_x2 v[2:3], v10, v[11:14], s[10:11] offset:24 glc
	s_mov_b64 s[6:7], 0
	s_waitcnt vmcnt(0)
	v_cmp_ne_u64_e32 vcc, v[2:3], v[13:14]
	s_and_b64 exec, exec, vcc
	s_cbranch_execz .LBB1_252
.LBB1_251:                              ; =>This Inner Loop Header: Depth=1
	s_sleep 1
	global_store_dwordx2 v[8:9], v[2:3], off
	v_mov_b32_e32 v0, s4
	v_mov_b32_e32 v1, s5
	s_waitcnt vmcnt(0)
	global_atomic_cmpswap_x2 v[0:1], v10, v[0:3], s[10:11] offset:24 glc
	s_waitcnt vmcnt(0)
	v_cmp_eq_u64_e32 vcc, v[0:1], v[2:3]
	v_mov_b32_e32 v3, v1
	s_or_b64 s[6:7], vcc, s[6:7]
	v_mov_b32_e32 v2, v0
	s_andn2_b64 exec, exec, s[6:7]
	s_cbranch_execnz .LBB1_251
.LBB1_252:
	s_or_b64 exec, exec, s[12:13]
.LBB1_253:
	v_readfirstlane_b32 s4, v34
	v_mov_b32_e32 v10, 0
	v_mov_b32_e32 v11, 0
	v_cmp_eq_u32_e64 s[4:5], s4, v34
	s_and_saveexec_b64 s[6:7], s[4:5]
	s_cbranch_execz .LBB1_259
; %bb.254:
	s_waitcnt vmcnt(0)
	v_mov_b32_e32 v0, 0
	global_load_dwordx2 v[12:13], v0, s[10:11] offset:24 glc
	s_waitcnt vmcnt(0)
	buffer_wbinvl1_vol
	global_load_dwordx2 v[1:2], v0, s[10:11] offset:40
	global_load_dwordx2 v[8:9], v0, s[10:11]
	s_waitcnt vmcnt(1)
	v_and_b32_e32 v1, v1, v12
	v_and_b32_e32 v2, v2, v13
	v_mul_lo_u32 v2, v2, 24
	v_mul_hi_u32 v3, v1, 24
	v_mul_lo_u32 v1, v1, 24
	v_add_u32_e32 v2, v3, v2
	s_waitcnt vmcnt(0)
	v_add_co_u32_e32 v1, vcc, v8, v1
	v_addc_co_u32_e32 v2, vcc, v9, v2, vcc
	global_load_dwordx2 v[10:11], v[1:2], off glc
	s_waitcnt vmcnt(0)
	global_atomic_cmpswap_x2 v[10:11], v0, v[10:13], s[10:11] offset:24 glc
	s_waitcnt vmcnt(0)
	buffer_wbinvl1_vol
	v_cmp_ne_u64_e32 vcc, v[10:11], v[12:13]
	s_and_saveexec_b64 s[12:13], vcc
	s_cbranch_execz .LBB1_258
; %bb.255:
	s_mov_b64 s[14:15], 0
.LBB1_256:                              ; =>This Inner Loop Header: Depth=1
	s_sleep 1
	global_load_dwordx2 v[1:2], v0, s[10:11] offset:40
	global_load_dwordx2 v[8:9], v0, s[10:11]
	v_mov_b32_e32 v13, v11
	v_mov_b32_e32 v12, v10
	s_waitcnt vmcnt(1)
	v_and_b32_e32 v1, v1, v12
	s_waitcnt vmcnt(0)
	v_mad_u64_u32 v[8:9], s[16:17], v1, 24, v[8:9]
	v_and_b32_e32 v2, v2, v13
	v_mov_b32_e32 v1, v9
	v_mad_u64_u32 v[1:2], s[16:17], v2, 24, v[1:2]
	v_mov_b32_e32 v9, v1
	global_load_dwordx2 v[10:11], v[8:9], off glc
	s_waitcnt vmcnt(0)
	global_atomic_cmpswap_x2 v[10:11], v0, v[10:13], s[10:11] offset:24 glc
	s_waitcnt vmcnt(0)
	buffer_wbinvl1_vol
	v_cmp_eq_u64_e32 vcc, v[10:11], v[12:13]
	s_or_b64 s[14:15], vcc, s[14:15]
	s_andn2_b64 exec, exec, s[14:15]
	s_cbranch_execnz .LBB1_256
; %bb.257:
	s_or_b64 exec, exec, s[14:15]
.LBB1_258:
	s_or_b64 exec, exec, s[12:13]
.LBB1_259:
	s_or_b64 exec, exec, s[6:7]
	v_mov_b32_e32 v9, 0
	global_load_dwordx2 v[12:13], v9, s[10:11] offset:40
	global_load_dwordx4 v[0:3], v9, s[10:11]
	v_readfirstlane_b32 s7, v11
	v_readfirstlane_b32 s6, v10
	s_mov_b64 s[12:13], exec
	s_waitcnt vmcnt(1)
	v_readfirstlane_b32 s14, v12
	v_readfirstlane_b32 s15, v13
	s_and_b64 s[14:15], s[14:15], s[6:7]
	s_mul_i32 s16, s15, 24
	s_mul_hi_u32 s17, s14, 24
	s_mul_i32 s18, s14, 24
	s_add_i32 s16, s17, s16
	v_mov_b32_e32 v8, s16
	s_waitcnt vmcnt(0)
	v_add_co_u32_e32 v10, vcc, s18, v0
	v_addc_co_u32_e32 v11, vcc, v1, v8, vcc
	s_and_saveexec_b64 s[16:17], s[4:5]
	s_cbranch_execz .LBB1_261
; %bb.260:
	v_mov_b32_e32 v12, s12
	v_mov_b32_e32 v13, s13
	v_mov_b32_e32 v14, 2
	v_mov_b32_e32 v15, 1
	global_store_dwordx4 v[10:11], v[12:15], off offset:8
.LBB1_261:
	s_or_b64 exec, exec, s[16:17]
	s_lshl_b64 s[12:13], s[14:15], 12
	v_mov_b32_e32 v8, s13
	v_add_co_u32_e32 v2, vcc, s12, v2
	v_addc_co_u32_e32 v3, vcc, v3, v8, vcc
	s_movk_i32 s12, 0xff1f
	v_and_or_b32 v6, v6, s12, 32
	s_mov_b32 s12, 0
	v_mov_b32_e32 v8, 0x331
	v_readfirstlane_b32 s16, v2
	v_readfirstlane_b32 s17, v3
	v_add_co_u32_e32 v12, vcc, v2, v35
	s_mov_b32 s13, s12
	s_mov_b32 s14, s12
	;; [unrolled: 1-line block ×3, first 2 shown]
	s_nop 0
	global_store_dwordx4 v35, v[6:9], s[16:17]
	v_addc_co_u32_e32 v13, vcc, 0, v3, vcc
	v_mov_b32_e32 v6, s12
	v_mov_b32_e32 v7, s13
	;; [unrolled: 1-line block ×4, first 2 shown]
	global_store_dwordx4 v35, v[6:9], s[16:17] offset:16
	global_store_dwordx4 v35, v[6:9], s[16:17] offset:32
	;; [unrolled: 1-line block ×3, first 2 shown]
	s_and_saveexec_b64 s[12:13], s[4:5]
	s_cbranch_execz .LBB1_269
; %bb.262:
	v_mov_b32_e32 v8, 0
	global_load_dwordx2 v[16:17], v8, s[10:11] offset:32 glc
	global_load_dwordx2 v[2:3], v8, s[10:11] offset:40
	v_mov_b32_e32 v14, s6
	v_mov_b32_e32 v15, s7
	s_waitcnt vmcnt(0)
	v_readfirstlane_b32 s14, v2
	v_readfirstlane_b32 s15, v3
	s_and_b64 s[14:15], s[14:15], s[6:7]
	s_mul_i32 s15, s15, 24
	s_mul_hi_u32 s16, s14, 24
	s_mul_i32 s14, s14, 24
	s_add_i32 s15, s16, s15
	v_mov_b32_e32 v2, s15
	v_add_co_u32_e32 v6, vcc, s14, v0
	v_addc_co_u32_e32 v7, vcc, v1, v2, vcc
	global_store_dwordx2 v[6:7], v[16:17], off
	s_waitcnt vmcnt(0)
	global_atomic_cmpswap_x2 v[2:3], v8, v[14:17], s[10:11] offset:32 glc
	s_waitcnt vmcnt(0)
	v_cmp_ne_u64_e32 vcc, v[2:3], v[16:17]
	s_and_saveexec_b64 s[14:15], vcc
	s_cbranch_execz .LBB1_265
; %bb.263:
	s_mov_b64 s[16:17], 0
.LBB1_264:                              ; =>This Inner Loop Header: Depth=1
	s_sleep 1
	global_store_dwordx2 v[6:7], v[2:3], off
	v_mov_b32_e32 v0, s6
	v_mov_b32_e32 v1, s7
	s_waitcnt vmcnt(0)
	global_atomic_cmpswap_x2 v[0:1], v8, v[0:3], s[10:11] offset:32 glc
	s_waitcnt vmcnt(0)
	v_cmp_eq_u64_e32 vcc, v[0:1], v[2:3]
	v_mov_b32_e32 v3, v1
	s_or_b64 s[16:17], vcc, s[16:17]
	v_mov_b32_e32 v2, v0
	s_andn2_b64 exec, exec, s[16:17]
	s_cbranch_execnz .LBB1_264
.LBB1_265:
	s_or_b64 exec, exec, s[14:15]
	v_mov_b32_e32 v3, 0
	global_load_dwordx2 v[0:1], v3, s[10:11] offset:16
	s_mov_b64 s[14:15], exec
	v_mbcnt_lo_u32_b32 v2, s14, 0
	v_mbcnt_hi_u32_b32 v2, s15, v2
	v_cmp_eq_u32_e32 vcc, 0, v2
	s_and_saveexec_b64 s[16:17], vcc
	s_cbranch_execz .LBB1_267
; %bb.266:
	s_bcnt1_i32_b64 s14, s[14:15]
	v_mov_b32_e32 v2, s14
	s_waitcnt vmcnt(0)
	global_atomic_add_x2 v[0:1], v[2:3], off offset:8
.LBB1_267:
	s_or_b64 exec, exec, s[16:17]
	s_waitcnt vmcnt(0)
	global_load_dwordx2 v[2:3], v[0:1], off offset:16
	s_waitcnt vmcnt(0)
	v_cmp_eq_u64_e32 vcc, 0, v[2:3]
	s_cbranch_vccnz .LBB1_269
; %bb.268:
	global_load_dword v0, v[0:1], off offset:24
	v_mov_b32_e32 v1, 0
	s_waitcnt vmcnt(0)
	v_readfirstlane_b32 s14, v0
	s_and_b32 m0, s14, 0xffffff
	global_store_dwordx2 v[2:3], v[0:1], off
	s_sendmsg sendmsg(MSG_INTERRUPT)
.LBB1_269:
	s_or_b64 exec, exec, s[12:13]
	s_branch .LBB1_273
.LBB1_270:                              ;   in Loop: Header=BB1_273 Depth=1
	s_or_b64 exec, exec, s[12:13]
	v_readfirstlane_b32 s12, v0
	s_cmp_eq_u32 s12, 0
	s_cbranch_scc1 .LBB1_272
; %bb.271:                              ;   in Loop: Header=BB1_273 Depth=1
	s_sleep 1
	s_cbranch_execnz .LBB1_273
	s_branch .LBB1_275
.LBB1_272:
	s_branch .LBB1_275
.LBB1_273:                              ; =>This Inner Loop Header: Depth=1
	v_mov_b32_e32 v0, 1
	s_and_saveexec_b64 s[12:13], s[4:5]
	s_cbranch_execz .LBB1_270
; %bb.274:                              ;   in Loop: Header=BB1_273 Depth=1
	global_load_dword v0, v[10:11], off offset:20 glc
	s_waitcnt vmcnt(0)
	buffer_wbinvl1_vol
	v_and_b32_e32 v0, 1, v0
	s_branch .LBB1_270
.LBB1_275:
	global_load_dwordx2 v[0:1], v[12:13], off
	s_and_saveexec_b64 s[12:13], s[4:5]
	s_cbranch_execz .LBB1_278
; %bb.276:
	v_mov_b32_e32 v10, 0
	global_load_dwordx2 v[2:3], v10, s[10:11] offset:40
	global_load_dwordx2 v[13:14], v10, s[10:11] offset:24 glc
	global_load_dwordx2 v[6:7], v10, s[10:11]
	s_waitcnt vmcnt(2)
	v_readfirstlane_b32 s14, v2
	v_readfirstlane_b32 s15, v3
	s_add_u32 s16, s14, 1
	s_addc_u32 s17, s15, 0
	s_add_u32 s4, s16, s6
	s_addc_u32 s5, s17, s7
	s_cmp_eq_u64 s[4:5], 0
	s_cselect_b32 s5, s17, s5
	s_cselect_b32 s4, s16, s4
	s_and_b64 s[6:7], s[4:5], s[14:15]
	s_mul_i32 s7, s7, 24
	s_mul_hi_u32 s14, s6, 24
	s_mul_i32 s6, s6, 24
	s_add_i32 s7, s14, s7
	v_mov_b32_e32 v3, s7
	s_waitcnt vmcnt(0)
	v_add_co_u32_e32 v2, vcc, s6, v6
	v_addc_co_u32_e32 v3, vcc, v7, v3, vcc
	v_mov_b32_e32 v11, s4
	global_store_dwordx2 v[2:3], v[13:14], off
	v_mov_b32_e32 v12, s5
	s_waitcnt vmcnt(0)
	global_atomic_cmpswap_x2 v[8:9], v10, v[11:14], s[10:11] offset:24 glc
	s_mov_b64 s[6:7], 0
	s_waitcnt vmcnt(0)
	v_cmp_ne_u64_e32 vcc, v[8:9], v[13:14]
	s_and_b64 exec, exec, vcc
	s_cbranch_execz .LBB1_278
.LBB1_277:                              ; =>This Inner Loop Header: Depth=1
	s_sleep 1
	global_store_dwordx2 v[2:3], v[8:9], off
	v_mov_b32_e32 v6, s4
	v_mov_b32_e32 v7, s5
	s_waitcnt vmcnt(0)
	global_atomic_cmpswap_x2 v[6:7], v10, v[6:9], s[10:11] offset:24 glc
	s_waitcnt vmcnt(0)
	v_cmp_eq_u64_e32 vcc, v[6:7], v[8:9]
	v_mov_b32_e32 v9, v7
	s_or_b64 s[6:7], vcc, s[6:7]
	v_mov_b32_e32 v8, v6
	s_andn2_b64 exec, exec, s[6:7]
	s_cbranch_execnz .LBB1_277
.LBB1_278:
	s_or_b64 exec, exec, s[12:13]
	v_mov_b32_e32 v7, v5
	s_mov_b64 s[4:5], 0
	v_mov_b32_e32 v6, v4
.LBB1_279:                              ; =>This Inner Loop Header: Depth=1
	global_load_ubyte v8, v[6:7], off
	v_add_co_u32_e32 v2, vcc, 1, v6
	v_addc_co_u32_e32 v3, vcc, 0, v7, vcc
	v_mov_b32_e32 v7, v3
	v_mov_b32_e32 v6, v2
	s_waitcnt vmcnt(0)
	v_cmp_eq_u16_e32 vcc, 0, v8
	s_or_b64 s[4:5], vcc, s[4:5]
	s_andn2_b64 exec, exec, s[4:5]
	s_cbranch_execnz .LBB1_279
; %bb.280:
	s_or_b64 exec, exec, s[4:5]
	v_cmp_ne_u64_e32 vcc, 0, v[4:5]
	s_mov_b64 s[12:13], 0
	s_and_saveexec_b64 s[4:5], vcc
	s_xor_b64 s[6:7], exec, s[4:5]
	s_cbranch_execz .LBB1_366
; %bb.281:
	v_sub_u32_e32 v26, v2, v4
	v_ashrrev_i32_e32 v27, 31, v26
	v_and_b32_e32 v36, 2, v0
	v_mov_b32_e32 v29, 0
	v_and_b32_e32 v0, -3, v0
	s_mov_b32 s22, 0
	s_movk_i32 s23, 0x1e0
	v_mov_b32_e32 v8, 2
	v_mov_b32_e32 v9, 1
	s_branch .LBB1_283
.LBB1_282:                              ;   in Loop: Header=BB1_283 Depth=1
	s_or_b64 exec, exec, s[16:17]
	v_sub_co_u32_e32 v26, vcc, v26, v30
	v_subb_co_u32_e32 v27, vcc, v27, v31, vcc
	v_cmp_eq_u64_e32 vcc, 0, v[26:27]
	s_or_b64 s[12:13], vcc, s[12:13]
	v_add_co_u32_e32 v4, vcc, v4, v30
	v_addc_co_u32_e32 v5, vcc, v5, v31, vcc
	s_andn2_b64 exec, exec, s[12:13]
	s_cbranch_execz .LBB1_365
.LBB1_283:                              ; =>This Loop Header: Depth=1
                                        ;     Child Loop BB1_286 Depth 2
                                        ;     Child Loop BB1_294 Depth 2
	;; [unrolled: 1-line block ×11, first 2 shown]
	v_cmp_gt_u64_e32 vcc, 56, v[26:27]
	v_add_co_u32_e64 v12, s[4:5], 8, v4
	v_cndmask_b32_e32 v31, 0, v27, vcc
	v_cndmask_b32_e32 v30, 56, v26, vcc
	v_cmp_gt_u64_e32 vcc, 8, v[26:27]
	v_addc_co_u32_e64 v13, s[4:5], 0, v5, s[4:5]
	s_and_saveexec_b64 s[4:5], vcc
	s_xor_b64 s[4:5], exec, s[4:5]
	s_cbranch_execz .LBB1_289
; %bb.284:                              ;   in Loop: Header=BB1_283 Depth=1
	v_mov_b32_e32 v2, 0
	v_cmp_ne_u64_e32 vcc, 0, v[26:27]
	v_mov_b32_e32 v3, 0
	s_and_saveexec_b64 s[14:15], vcc
	s_cbranch_execz .LBB1_288
; %bb.285:                              ;   in Loop: Header=BB1_283 Depth=1
	v_lshlrev_b64 v[6:7], 3, v[30:31]
	v_mov_b32_e32 v2, 0
	v_mov_b32_e32 v11, v5
	s_mov_b64 s[16:17], 0
	v_mov_b32_e32 v3, 0
	v_mov_b32_e32 v10, v4
	s_mov_b64 s[18:19], 0
.LBB1_286:                              ;   Parent Loop BB1_283 Depth=1
                                        ; =>  This Inner Loop Header: Depth=2
	global_load_ubyte v7, v[10:11], off
	v_mov_b32_e32 v13, s22
	v_add_co_u32_e32 v10, vcc, 1, v10
	v_addc_co_u32_e32 v11, vcc, 0, v11, vcc
	s_waitcnt vmcnt(0)
	v_and_b32_e32 v12, 0xffff, v7
	v_lshlrev_b64 v[12:13], s18, v[12:13]
	s_add_u32 s18, s18, 8
	s_addc_u32 s19, s19, 0
	v_cmp_eq_u32_e32 vcc, s18, v6
	v_or_b32_e32 v3, v13, v3
	s_or_b64 s[16:17], vcc, s[16:17]
	v_or_b32_e32 v2, v12, v2
	s_andn2_b64 exec, exec, s[16:17]
	s_cbranch_execnz .LBB1_286
; %bb.287:                              ;   in Loop: Header=BB1_283 Depth=1
	s_or_b64 exec, exec, s[16:17]
.LBB1_288:                              ;   in Loop: Header=BB1_283 Depth=1
	s_or_b64 exec, exec, s[14:15]
	v_mov_b32_e32 v13, v5
	v_mov_b32_e32 v12, v4
.LBB1_289:                              ;   in Loop: Header=BB1_283 Depth=1
	s_or_saveexec_b64 s[4:5], s[4:5]
	v_mov_b32_e32 v14, 0
	s_xor_b64 exec, exec, s[4:5]
	s_cbranch_execz .LBB1_291
; %bb.290:                              ;   in Loop: Header=BB1_283 Depth=1
	global_load_dwordx2 v[2:3], v[4:5], off
	v_add_u32_e32 v14, -8, v30
.LBB1_291:                              ;   in Loop: Header=BB1_283 Depth=1
	s_or_b64 exec, exec, s[4:5]
	v_add_co_u32_e64 v6, s[4:5], 8, v12
	v_cmp_gt_u32_e32 vcc, 8, v14
	v_addc_co_u32_e64 v7, s[4:5], 0, v13, s[4:5]
                                        ; implicit-def: $vgpr10_vgpr11
	s_and_saveexec_b64 s[4:5], vcc
	s_xor_b64 s[4:5], exec, s[4:5]
	s_cbranch_execz .LBB1_297
; %bb.292:                              ;   in Loop: Header=BB1_283 Depth=1
	v_mov_b32_e32 v10, 0
	v_mov_b32_e32 v11, 0
	v_cmp_ne_u32_e32 vcc, 0, v14
	s_and_saveexec_b64 s[14:15], vcc
	s_cbranch_execz .LBB1_296
; %bb.293:                              ;   in Loop: Header=BB1_283 Depth=1
	v_mov_b32_e32 v10, 0
	s_mov_b64 s[16:17], 0
	v_mov_b32_e32 v11, 0
	s_mov_b64 s[18:19], 0
	s_mov_b64 s[20:21], 0
.LBB1_294:                              ;   Parent Loop BB1_283 Depth=1
                                        ; =>  This Inner Loop Header: Depth=2
	v_mov_b32_e32 v7, s21
	v_add_co_u32_e32 v6, vcc, s20, v12
	v_addc_co_u32_e32 v7, vcc, v13, v7, vcc
	global_load_ubyte v6, v[6:7], off
	s_add_u32 s20, s20, 1
	v_mov_b32_e32 v7, s22
	s_addc_u32 s21, s21, 0
	v_cmp_eq_u32_e32 vcc, s20, v14
	s_waitcnt vmcnt(0)
	v_and_b32_e32 v6, 0xffff, v6
	v_lshlrev_b64 v[6:7], s18, v[6:7]
	s_add_u32 s18, s18, 8
	s_addc_u32 s19, s19, 0
	v_or_b32_e32 v11, v7, v11
	s_or_b64 s[16:17], vcc, s[16:17]
	v_or_b32_e32 v10, v6, v10
	s_andn2_b64 exec, exec, s[16:17]
	s_cbranch_execnz .LBB1_294
; %bb.295:                              ;   in Loop: Header=BB1_283 Depth=1
	s_or_b64 exec, exec, s[16:17]
.LBB1_296:                              ;   in Loop: Header=BB1_283 Depth=1
	s_or_b64 exec, exec, s[14:15]
	v_mov_b32_e32 v6, v12
	v_mov_b32_e32 v7, v13
                                        ; implicit-def: $vgpr14
.LBB1_297:                              ;   in Loop: Header=BB1_283 Depth=1
	s_or_saveexec_b64 s[4:5], s[4:5]
	v_mov_b32_e32 v15, 0
	s_xor_b64 exec, exec, s[4:5]
	s_cbranch_execz .LBB1_299
; %bb.298:                              ;   in Loop: Header=BB1_283 Depth=1
	global_load_dwordx2 v[10:11], v[12:13], off
	v_add_u32_e32 v15, -8, v14
.LBB1_299:                              ;   in Loop: Header=BB1_283 Depth=1
	s_or_b64 exec, exec, s[4:5]
	v_add_co_u32_e64 v16, s[4:5], 8, v6
	v_cmp_gt_u32_e32 vcc, 8, v15
	v_addc_co_u32_e64 v17, s[4:5], 0, v7, s[4:5]
	s_and_saveexec_b64 s[4:5], vcc
	s_xor_b64 s[4:5], exec, s[4:5]
	s_cbranch_execz .LBB1_305
; %bb.300:                              ;   in Loop: Header=BB1_283 Depth=1
	v_mov_b32_e32 v12, 0
	v_mov_b32_e32 v13, 0
	v_cmp_ne_u32_e32 vcc, 0, v15
	s_and_saveexec_b64 s[14:15], vcc
	s_cbranch_execz .LBB1_304
; %bb.301:                              ;   in Loop: Header=BB1_283 Depth=1
	v_mov_b32_e32 v12, 0
	s_mov_b64 s[16:17], 0
	v_mov_b32_e32 v13, 0
	s_mov_b64 s[18:19], 0
	s_mov_b64 s[20:21], 0
.LBB1_302:                              ;   Parent Loop BB1_283 Depth=1
                                        ; =>  This Inner Loop Header: Depth=2
	v_mov_b32_e32 v14, s21
	v_add_co_u32_e32 v16, vcc, s20, v6
	v_addc_co_u32_e32 v17, vcc, v7, v14, vcc
	global_load_ubyte v14, v[16:17], off
	s_add_u32 s20, s20, 1
	v_mov_b32_e32 v17, s22
	s_addc_u32 s21, s21, 0
	v_cmp_eq_u32_e32 vcc, s20, v15
	s_waitcnt vmcnt(0)
	v_and_b32_e32 v16, 0xffff, v14
	v_lshlrev_b64 v[16:17], s18, v[16:17]
	s_add_u32 s18, s18, 8
	s_addc_u32 s19, s19, 0
	v_or_b32_e32 v13, v17, v13
	s_or_b64 s[16:17], vcc, s[16:17]
	v_or_b32_e32 v12, v16, v12
	s_andn2_b64 exec, exec, s[16:17]
	s_cbranch_execnz .LBB1_302
; %bb.303:                              ;   in Loop: Header=BB1_283 Depth=1
	s_or_b64 exec, exec, s[16:17]
.LBB1_304:                              ;   in Loop: Header=BB1_283 Depth=1
	s_or_b64 exec, exec, s[14:15]
	v_mov_b32_e32 v17, v7
	v_mov_b32_e32 v16, v6
                                        ; implicit-def: $vgpr15
.LBB1_305:                              ;   in Loop: Header=BB1_283 Depth=1
	s_or_saveexec_b64 s[4:5], s[4:5]
	v_mov_b32_e32 v18, 0
	s_xor_b64 exec, exec, s[4:5]
	s_cbranch_execz .LBB1_307
; %bb.306:                              ;   in Loop: Header=BB1_283 Depth=1
	global_load_dwordx2 v[12:13], v[6:7], off
	v_add_u32_e32 v18, -8, v15
.LBB1_307:                              ;   in Loop: Header=BB1_283 Depth=1
	s_or_b64 exec, exec, s[4:5]
	v_add_co_u32_e64 v6, s[4:5], 8, v16
	v_cmp_gt_u32_e32 vcc, 8, v18
	v_addc_co_u32_e64 v7, s[4:5], 0, v17, s[4:5]
                                        ; implicit-def: $vgpr14_vgpr15
	s_and_saveexec_b64 s[4:5], vcc
	s_xor_b64 s[4:5], exec, s[4:5]
	s_cbranch_execz .LBB1_313
; %bb.308:                              ;   in Loop: Header=BB1_283 Depth=1
	v_mov_b32_e32 v14, 0
	v_mov_b32_e32 v15, 0
	v_cmp_ne_u32_e32 vcc, 0, v18
	s_and_saveexec_b64 s[14:15], vcc
	s_cbranch_execz .LBB1_312
; %bb.309:                              ;   in Loop: Header=BB1_283 Depth=1
	v_mov_b32_e32 v14, 0
	s_mov_b64 s[16:17], 0
	v_mov_b32_e32 v15, 0
	s_mov_b64 s[18:19], 0
	s_mov_b64 s[20:21], 0
.LBB1_310:                              ;   Parent Loop BB1_283 Depth=1
                                        ; =>  This Inner Loop Header: Depth=2
	v_mov_b32_e32 v7, s21
	v_add_co_u32_e32 v6, vcc, s20, v16
	v_addc_co_u32_e32 v7, vcc, v17, v7, vcc
	global_load_ubyte v6, v[6:7], off
	s_add_u32 s20, s20, 1
	v_mov_b32_e32 v7, s22
	s_addc_u32 s21, s21, 0
	v_cmp_eq_u32_e32 vcc, s20, v18
	s_waitcnt vmcnt(0)
	v_and_b32_e32 v6, 0xffff, v6
	v_lshlrev_b64 v[6:7], s18, v[6:7]
	s_add_u32 s18, s18, 8
	s_addc_u32 s19, s19, 0
	v_or_b32_e32 v15, v7, v15
	s_or_b64 s[16:17], vcc, s[16:17]
	v_or_b32_e32 v14, v6, v14
	s_andn2_b64 exec, exec, s[16:17]
	s_cbranch_execnz .LBB1_310
; %bb.311:                              ;   in Loop: Header=BB1_283 Depth=1
	s_or_b64 exec, exec, s[16:17]
.LBB1_312:                              ;   in Loop: Header=BB1_283 Depth=1
	s_or_b64 exec, exec, s[14:15]
	v_mov_b32_e32 v6, v16
	v_mov_b32_e32 v7, v17
                                        ; implicit-def: $vgpr18
.LBB1_313:                              ;   in Loop: Header=BB1_283 Depth=1
	s_or_saveexec_b64 s[4:5], s[4:5]
	v_mov_b32_e32 v19, 0
	s_xor_b64 exec, exec, s[4:5]
	s_cbranch_execz .LBB1_315
; %bb.314:                              ;   in Loop: Header=BB1_283 Depth=1
	global_load_dwordx2 v[14:15], v[16:17], off
	v_add_u32_e32 v19, -8, v18
.LBB1_315:                              ;   in Loop: Header=BB1_283 Depth=1
	s_or_b64 exec, exec, s[4:5]
	v_add_co_u32_e64 v20, s[4:5], 8, v6
	v_cmp_gt_u32_e32 vcc, 8, v19
	v_addc_co_u32_e64 v21, s[4:5], 0, v7, s[4:5]
	s_and_saveexec_b64 s[4:5], vcc
	s_xor_b64 s[4:5], exec, s[4:5]
	s_cbranch_execz .LBB1_321
; %bb.316:                              ;   in Loop: Header=BB1_283 Depth=1
	v_mov_b32_e32 v16, 0
	v_mov_b32_e32 v17, 0
	v_cmp_ne_u32_e32 vcc, 0, v19
	s_and_saveexec_b64 s[14:15], vcc
	s_cbranch_execz .LBB1_320
; %bb.317:                              ;   in Loop: Header=BB1_283 Depth=1
	v_mov_b32_e32 v16, 0
	s_mov_b64 s[16:17], 0
	v_mov_b32_e32 v17, 0
	s_mov_b64 s[18:19], 0
	s_mov_b64 s[20:21], 0
.LBB1_318:                              ;   Parent Loop BB1_283 Depth=1
                                        ; =>  This Inner Loop Header: Depth=2
	v_mov_b32_e32 v18, s21
	v_add_co_u32_e32 v20, vcc, s20, v6
	v_addc_co_u32_e32 v21, vcc, v7, v18, vcc
	global_load_ubyte v18, v[20:21], off
	s_add_u32 s20, s20, 1
	v_mov_b32_e32 v21, s22
	s_addc_u32 s21, s21, 0
	v_cmp_eq_u32_e32 vcc, s20, v19
	s_waitcnt vmcnt(0)
	v_and_b32_e32 v20, 0xffff, v18
	v_lshlrev_b64 v[20:21], s18, v[20:21]
	s_add_u32 s18, s18, 8
	s_addc_u32 s19, s19, 0
	v_or_b32_e32 v17, v21, v17
	s_or_b64 s[16:17], vcc, s[16:17]
	v_or_b32_e32 v16, v20, v16
	s_andn2_b64 exec, exec, s[16:17]
	s_cbranch_execnz .LBB1_318
; %bb.319:                              ;   in Loop: Header=BB1_283 Depth=1
	s_or_b64 exec, exec, s[16:17]
.LBB1_320:                              ;   in Loop: Header=BB1_283 Depth=1
	s_or_b64 exec, exec, s[14:15]
	v_mov_b32_e32 v21, v7
	v_mov_b32_e32 v20, v6
                                        ; implicit-def: $vgpr19
.LBB1_321:                              ;   in Loop: Header=BB1_283 Depth=1
	s_or_saveexec_b64 s[4:5], s[4:5]
	v_mov_b32_e32 v22, 0
	s_xor_b64 exec, exec, s[4:5]
	s_cbranch_execz .LBB1_323
; %bb.322:                              ;   in Loop: Header=BB1_283 Depth=1
	global_load_dwordx2 v[16:17], v[6:7], off
	v_add_u32_e32 v22, -8, v19
.LBB1_323:                              ;   in Loop: Header=BB1_283 Depth=1
	s_or_b64 exec, exec, s[4:5]
	v_add_co_u32_e64 v6, s[4:5], 8, v20
	v_cmp_gt_u32_e32 vcc, 8, v22
	v_addc_co_u32_e64 v7, s[4:5], 0, v21, s[4:5]
                                        ; implicit-def: $vgpr18_vgpr19
	s_and_saveexec_b64 s[4:5], vcc
	s_xor_b64 s[4:5], exec, s[4:5]
	s_cbranch_execz .LBB1_329
; %bb.324:                              ;   in Loop: Header=BB1_283 Depth=1
	v_mov_b32_e32 v18, 0
	v_mov_b32_e32 v19, 0
	v_cmp_ne_u32_e32 vcc, 0, v22
	s_and_saveexec_b64 s[14:15], vcc
	s_cbranch_execz .LBB1_328
; %bb.325:                              ;   in Loop: Header=BB1_283 Depth=1
	v_mov_b32_e32 v18, 0
	s_mov_b64 s[16:17], 0
	v_mov_b32_e32 v19, 0
	s_mov_b64 s[18:19], 0
	s_mov_b64 s[20:21], 0
.LBB1_326:                              ;   Parent Loop BB1_283 Depth=1
                                        ; =>  This Inner Loop Header: Depth=2
	v_mov_b32_e32 v7, s21
	v_add_co_u32_e32 v6, vcc, s20, v20
	v_addc_co_u32_e32 v7, vcc, v21, v7, vcc
	global_load_ubyte v6, v[6:7], off
	s_add_u32 s20, s20, 1
	v_mov_b32_e32 v7, s22
	s_addc_u32 s21, s21, 0
	v_cmp_eq_u32_e32 vcc, s20, v22
	s_waitcnt vmcnt(0)
	v_and_b32_e32 v6, 0xffff, v6
	v_lshlrev_b64 v[6:7], s18, v[6:7]
	s_add_u32 s18, s18, 8
	s_addc_u32 s19, s19, 0
	v_or_b32_e32 v19, v7, v19
	s_or_b64 s[16:17], vcc, s[16:17]
	v_or_b32_e32 v18, v6, v18
	s_andn2_b64 exec, exec, s[16:17]
	s_cbranch_execnz .LBB1_326
; %bb.327:                              ;   in Loop: Header=BB1_283 Depth=1
	s_or_b64 exec, exec, s[16:17]
.LBB1_328:                              ;   in Loop: Header=BB1_283 Depth=1
	s_or_b64 exec, exec, s[14:15]
	v_mov_b32_e32 v6, v20
	v_mov_b32_e32 v7, v21
                                        ; implicit-def: $vgpr22
.LBB1_329:                              ;   in Loop: Header=BB1_283 Depth=1
	s_or_saveexec_b64 s[4:5], s[4:5]
	v_mov_b32_e32 v23, 0
	s_xor_b64 exec, exec, s[4:5]
	s_cbranch_execz .LBB1_331
; %bb.330:                              ;   in Loop: Header=BB1_283 Depth=1
	global_load_dwordx2 v[18:19], v[20:21], off
	v_add_u32_e32 v23, -8, v22
.LBB1_331:                              ;   in Loop: Header=BB1_283 Depth=1
	s_or_b64 exec, exec, s[4:5]
	v_cmp_gt_u32_e32 vcc, 8, v23
	s_and_saveexec_b64 s[4:5], vcc
	s_xor_b64 s[4:5], exec, s[4:5]
	s_cbranch_execz .LBB1_337
; %bb.332:                              ;   in Loop: Header=BB1_283 Depth=1
	v_mov_b32_e32 v20, 0
	v_mov_b32_e32 v21, 0
	v_cmp_ne_u32_e32 vcc, 0, v23
	s_and_saveexec_b64 s[14:15], vcc
	s_cbranch_execz .LBB1_336
; %bb.333:                              ;   in Loop: Header=BB1_283 Depth=1
	v_mov_b32_e32 v20, 0
	s_mov_b64 s[16:17], 0
	v_mov_b32_e32 v21, 0
	s_mov_b64 s[18:19], 0
.LBB1_334:                              ;   Parent Loop BB1_283 Depth=1
                                        ; =>  This Inner Loop Header: Depth=2
	global_load_ubyte v22, v[6:7], off
	v_mov_b32_e32 v25, s22
	v_add_co_u32_e32 v6, vcc, 1, v6
	v_add_u32_e32 v23, -1, v23
	v_addc_co_u32_e32 v7, vcc, 0, v7, vcc
	v_cmp_eq_u32_e32 vcc, 0, v23
	s_waitcnt vmcnt(0)
	v_and_b32_e32 v24, 0xffff, v22
	v_lshlrev_b64 v[24:25], s18, v[24:25]
	s_add_u32 s18, s18, 8
	s_addc_u32 s19, s19, 0
	v_or_b32_e32 v21, v25, v21
	s_or_b64 s[16:17], vcc, s[16:17]
	v_or_b32_e32 v20, v24, v20
	s_andn2_b64 exec, exec, s[16:17]
	s_cbranch_execnz .LBB1_334
; %bb.335:                              ;   in Loop: Header=BB1_283 Depth=1
	s_or_b64 exec, exec, s[16:17]
.LBB1_336:                              ;   in Loop: Header=BB1_283 Depth=1
	s_or_b64 exec, exec, s[14:15]
                                        ; implicit-def: $vgpr6_vgpr7
.LBB1_337:                              ;   in Loop: Header=BB1_283 Depth=1
	s_andn2_saveexec_b64 s[4:5], s[4:5]
	s_cbranch_execz .LBB1_339
; %bb.338:                              ;   in Loop: Header=BB1_283 Depth=1
	global_load_dwordx2 v[20:21], v[6:7], off
.LBB1_339:                              ;   in Loop: Header=BB1_283 Depth=1
	s_or_b64 exec, exec, s[4:5]
	v_readfirstlane_b32 s4, v34
	v_mov_b32_e32 v6, 0
	v_mov_b32_e32 v7, 0
	v_cmp_eq_u32_e64 s[4:5], s4, v34
	s_and_saveexec_b64 s[14:15], s[4:5]
	s_cbranch_execz .LBB1_345
; %bb.340:                              ;   in Loop: Header=BB1_283 Depth=1
	global_load_dwordx2 v[24:25], v29, s[10:11] offset:24 glc
	s_waitcnt vmcnt(0)
	buffer_wbinvl1_vol
	global_load_dwordx2 v[6:7], v29, s[10:11] offset:40
	global_load_dwordx2 v[22:23], v29, s[10:11]
	s_waitcnt vmcnt(1)
	v_and_b32_e32 v6, v6, v24
	v_and_b32_e32 v7, v7, v25
	v_mul_lo_u32 v7, v7, 24
	v_mul_hi_u32 v28, v6, 24
	v_mul_lo_u32 v6, v6, 24
	v_add_u32_e32 v7, v28, v7
	s_waitcnt vmcnt(0)
	v_add_co_u32_e32 v6, vcc, v22, v6
	v_addc_co_u32_e32 v7, vcc, v23, v7, vcc
	global_load_dwordx2 v[22:23], v[6:7], off glc
	s_waitcnt vmcnt(0)
	global_atomic_cmpswap_x2 v[6:7], v29, v[22:25], s[10:11] offset:24 glc
	s_waitcnt vmcnt(0)
	buffer_wbinvl1_vol
	v_cmp_ne_u64_e32 vcc, v[6:7], v[24:25]
	s_and_saveexec_b64 s[16:17], vcc
	s_cbranch_execz .LBB1_344
; %bb.341:                              ;   in Loop: Header=BB1_283 Depth=1
	s_mov_b64 s[18:19], 0
.LBB1_342:                              ;   Parent Loop BB1_283 Depth=1
                                        ; =>  This Inner Loop Header: Depth=2
	s_sleep 1
	global_load_dwordx2 v[22:23], v29, s[10:11] offset:40
	global_load_dwordx2 v[32:33], v29, s[10:11]
	v_mov_b32_e32 v25, v7
	v_mov_b32_e32 v24, v6
	s_waitcnt vmcnt(1)
	v_and_b32_e32 v6, v22, v24
	s_waitcnt vmcnt(0)
	v_mad_u64_u32 v[6:7], s[20:21], v6, 24, v[32:33]
	v_and_b32_e32 v22, v23, v25
	v_mad_u64_u32 v[22:23], s[20:21], v22, 24, v[7:8]
	v_mov_b32_e32 v7, v22
	global_load_dwordx2 v[22:23], v[6:7], off glc
	s_waitcnt vmcnt(0)
	global_atomic_cmpswap_x2 v[6:7], v29, v[22:25], s[10:11] offset:24 glc
	s_waitcnt vmcnt(0)
	buffer_wbinvl1_vol
	v_cmp_eq_u64_e32 vcc, v[6:7], v[24:25]
	s_or_b64 s[18:19], vcc, s[18:19]
	s_andn2_b64 exec, exec, s[18:19]
	s_cbranch_execnz .LBB1_342
; %bb.343:                              ;   in Loop: Header=BB1_283 Depth=1
	s_or_b64 exec, exec, s[18:19]
.LBB1_344:                              ;   in Loop: Header=BB1_283 Depth=1
	s_or_b64 exec, exec, s[16:17]
.LBB1_345:                              ;   in Loop: Header=BB1_283 Depth=1
	s_or_b64 exec, exec, s[14:15]
	global_load_dwordx2 v[32:33], v29, s[10:11] offset:40
	global_load_dwordx4 v[22:25], v29, s[10:11]
	v_readfirstlane_b32 s15, v7
	v_readfirstlane_b32 s14, v6
	s_mov_b64 s[16:17], exec
	s_waitcnt vmcnt(1)
	v_readfirstlane_b32 s18, v32
	v_readfirstlane_b32 s19, v33
	s_and_b64 s[18:19], s[18:19], s[14:15]
	s_mul_i32 s20, s19, 24
	s_mul_hi_u32 s21, s18, 24
	s_mul_i32 s24, s18, 24
	s_add_i32 s20, s21, s20
	v_mov_b32_e32 v6, s20
	s_waitcnt vmcnt(0)
	v_add_co_u32_e32 v32, vcc, s24, v22
	v_addc_co_u32_e32 v33, vcc, v23, v6, vcc
	s_and_saveexec_b64 s[20:21], s[4:5]
	s_cbranch_execz .LBB1_347
; %bb.346:                              ;   in Loop: Header=BB1_283 Depth=1
	v_mov_b32_e32 v6, s16
	v_mov_b32_e32 v7, s17
	global_store_dwordx4 v[32:33], v[6:9], off offset:8
.LBB1_347:                              ;   in Loop: Header=BB1_283 Depth=1
	s_or_b64 exec, exec, s[20:21]
	s_lshl_b64 s[16:17], s[18:19], 12
	v_mov_b32_e32 v6, s17
	v_add_co_u32_e32 v24, vcc, s16, v24
	v_addc_co_u32_e32 v25, vcc, v25, v6, vcc
	v_cmp_gt_u64_e32 vcc, 57, v[26:27]
	v_and_b32_e32 v0, 0xffffff1f, v0
	v_cndmask_b32_e32 v6, 0, v36, vcc
	v_lshl_add_u32 v7, v30, 2, 28
	v_or_b32_e32 v0, v0, v6
	v_and_or_b32 v0, v7, s23, v0
	v_readfirstlane_b32 s16, v24
	v_readfirstlane_b32 s17, v25
	s_nop 4
	global_store_dwordx4 v35, v[0:3], s[16:17]
	global_store_dwordx4 v35, v[10:13], s[16:17] offset:16
	global_store_dwordx4 v35, v[14:17], s[16:17] offset:32
	;; [unrolled: 1-line block ×3, first 2 shown]
	s_and_saveexec_b64 s[16:17], s[4:5]
	s_cbranch_execz .LBB1_355
; %bb.348:                              ;   in Loop: Header=BB1_283 Depth=1
	global_load_dwordx2 v[12:13], v29, s[10:11] offset:32 glc
	global_load_dwordx2 v[0:1], v29, s[10:11] offset:40
	v_mov_b32_e32 v10, s14
	v_mov_b32_e32 v11, s15
	s_waitcnt vmcnt(0)
	v_readfirstlane_b32 s18, v0
	v_readfirstlane_b32 s19, v1
	s_and_b64 s[18:19], s[18:19], s[14:15]
	s_mul_i32 s19, s19, 24
	s_mul_hi_u32 s20, s18, 24
	s_mul_i32 s18, s18, 24
	s_add_i32 s19, s20, s19
	v_mov_b32_e32 v0, s19
	v_add_co_u32_e32 v6, vcc, s18, v22
	v_addc_co_u32_e32 v7, vcc, v23, v0, vcc
	global_store_dwordx2 v[6:7], v[12:13], off
	s_waitcnt vmcnt(0)
	global_atomic_cmpswap_x2 v[2:3], v29, v[10:13], s[10:11] offset:32 glc
	s_waitcnt vmcnt(0)
	v_cmp_ne_u64_e32 vcc, v[2:3], v[12:13]
	s_and_saveexec_b64 s[18:19], vcc
	s_cbranch_execz .LBB1_351
; %bb.349:                              ;   in Loop: Header=BB1_283 Depth=1
	s_mov_b64 s[20:21], 0
.LBB1_350:                              ;   Parent Loop BB1_283 Depth=1
                                        ; =>  This Inner Loop Header: Depth=2
	s_sleep 1
	global_store_dwordx2 v[6:7], v[2:3], off
	v_mov_b32_e32 v0, s14
	v_mov_b32_e32 v1, s15
	s_waitcnt vmcnt(0)
	global_atomic_cmpswap_x2 v[0:1], v29, v[0:3], s[10:11] offset:32 glc
	s_waitcnt vmcnt(0)
	v_cmp_eq_u64_e32 vcc, v[0:1], v[2:3]
	v_mov_b32_e32 v3, v1
	s_or_b64 s[20:21], vcc, s[20:21]
	v_mov_b32_e32 v2, v0
	s_andn2_b64 exec, exec, s[20:21]
	s_cbranch_execnz .LBB1_350
.LBB1_351:                              ;   in Loop: Header=BB1_283 Depth=1
	s_or_b64 exec, exec, s[18:19]
	global_load_dwordx2 v[0:1], v29, s[10:11] offset:16
	s_mov_b64 s[20:21], exec
	v_mbcnt_lo_u32_b32 v2, s20, 0
	v_mbcnt_hi_u32_b32 v2, s21, v2
	v_cmp_eq_u32_e32 vcc, 0, v2
	s_and_saveexec_b64 s[18:19], vcc
	s_cbranch_execz .LBB1_353
; %bb.352:                              ;   in Loop: Header=BB1_283 Depth=1
	s_bcnt1_i32_b64 s20, s[20:21]
	v_mov_b32_e32 v28, s20
	s_waitcnt vmcnt(0)
	global_atomic_add_x2 v[0:1], v[28:29], off offset:8
.LBB1_353:                              ;   in Loop: Header=BB1_283 Depth=1
	s_or_b64 exec, exec, s[18:19]
	s_waitcnt vmcnt(0)
	global_load_dwordx2 v[2:3], v[0:1], off offset:16
	s_waitcnt vmcnt(0)
	v_cmp_eq_u64_e32 vcc, 0, v[2:3]
	s_cbranch_vccnz .LBB1_355
; %bb.354:                              ;   in Loop: Header=BB1_283 Depth=1
	global_load_dword v28, v[0:1], off offset:24
	s_waitcnt vmcnt(0)
	v_readfirstlane_b32 s18, v28
	s_and_b32 m0, s18, 0xffffff
	global_store_dwordx2 v[2:3], v[28:29], off
	s_sendmsg sendmsg(MSG_INTERRUPT)
.LBB1_355:                              ;   in Loop: Header=BB1_283 Depth=1
	s_or_b64 exec, exec, s[16:17]
	v_add_co_u32_e32 v0, vcc, v24, v35
	v_addc_co_u32_e32 v1, vcc, 0, v25, vcc
	s_branch .LBB1_359
.LBB1_356:                              ;   in Loop: Header=BB1_359 Depth=2
	s_or_b64 exec, exec, s[16:17]
	v_readfirstlane_b32 s16, v2
	s_cmp_eq_u32 s16, 0
	s_cbranch_scc1 .LBB1_358
; %bb.357:                              ;   in Loop: Header=BB1_359 Depth=2
	s_sleep 1
	s_cbranch_execnz .LBB1_359
	s_branch .LBB1_361
.LBB1_358:                              ;   in Loop: Header=BB1_283 Depth=1
	s_branch .LBB1_361
.LBB1_359:                              ;   Parent Loop BB1_283 Depth=1
                                        ; =>  This Inner Loop Header: Depth=2
	v_mov_b32_e32 v2, 1
	s_and_saveexec_b64 s[16:17], s[4:5]
	s_cbranch_execz .LBB1_356
; %bb.360:                              ;   in Loop: Header=BB1_359 Depth=2
	global_load_dword v2, v[32:33], off offset:20 glc
	s_waitcnt vmcnt(0)
	buffer_wbinvl1_vol
	v_and_b32_e32 v2, 1, v2
	s_branch .LBB1_356
.LBB1_361:                              ;   in Loop: Header=BB1_283 Depth=1
	global_load_dwordx2 v[0:1], v[0:1], off
	s_and_saveexec_b64 s[16:17], s[4:5]
	s_cbranch_execz .LBB1_282
; %bb.362:                              ;   in Loop: Header=BB1_283 Depth=1
	global_load_dwordx2 v[2:3], v29, s[10:11] offset:40
	global_load_dwordx2 v[14:15], v29, s[10:11] offset:24 glc
	global_load_dwordx2 v[6:7], v29, s[10:11]
	s_waitcnt vmcnt(2)
	v_readfirstlane_b32 s18, v2
	v_readfirstlane_b32 s19, v3
	s_add_u32 s20, s18, 1
	s_addc_u32 s21, s19, 0
	s_add_u32 s4, s20, s14
	s_addc_u32 s5, s21, s15
	s_cmp_eq_u64 s[4:5], 0
	s_cselect_b32 s5, s21, s5
	s_cselect_b32 s4, s20, s4
	s_and_b64 s[14:15], s[4:5], s[18:19]
	s_mul_i32 s15, s15, 24
	s_mul_hi_u32 s18, s14, 24
	s_mul_i32 s14, s14, 24
	s_add_i32 s15, s18, s15
	v_mov_b32_e32 v3, s15
	s_waitcnt vmcnt(0)
	v_add_co_u32_e32 v2, vcc, s14, v6
	v_addc_co_u32_e32 v3, vcc, v7, v3, vcc
	v_mov_b32_e32 v12, s4
	global_store_dwordx2 v[2:3], v[14:15], off
	v_mov_b32_e32 v13, s5
	s_waitcnt vmcnt(0)
	global_atomic_cmpswap_x2 v[12:13], v29, v[12:15], s[10:11] offset:24 glc
	s_waitcnt vmcnt(0)
	v_cmp_ne_u64_e32 vcc, v[12:13], v[14:15]
	s_and_b64 exec, exec, vcc
	s_cbranch_execz .LBB1_282
; %bb.363:                              ;   in Loop: Header=BB1_283 Depth=1
	s_mov_b64 s[14:15], 0
.LBB1_364:                              ;   Parent Loop BB1_283 Depth=1
                                        ; =>  This Inner Loop Header: Depth=2
	s_sleep 1
	global_store_dwordx2 v[2:3], v[12:13], off
	v_mov_b32_e32 v10, s4
	v_mov_b32_e32 v11, s5
	s_waitcnt vmcnt(0)
	global_atomic_cmpswap_x2 v[6:7], v29, v[10:13], s[10:11] offset:24 glc
	s_waitcnt vmcnt(0)
	v_cmp_eq_u64_e32 vcc, v[6:7], v[12:13]
	v_mov_b32_e32 v13, v7
	s_or_b64 s[14:15], vcc, s[14:15]
	v_mov_b32_e32 v12, v6
	s_andn2_b64 exec, exec, s[14:15]
	s_cbranch_execnz .LBB1_364
	s_branch .LBB1_282
.LBB1_365:
	s_or_b64 exec, exec, s[12:13]
                                        ; implicit-def: $vgpr35
                                        ; implicit-def: $vgpr34
.LBB1_366:
	s_andn2_saveexec_b64 s[6:7], s[6:7]
	s_cbranch_execz .LBB1_393
; %bb.367:
	v_readfirstlane_b32 s4, v34
	v_mov_b32_e32 v8, 0
	v_mov_b32_e32 v9, 0
	v_cmp_eq_u32_e64 s[4:5], s4, v34
	s_and_saveexec_b64 s[12:13], s[4:5]
	s_cbranch_execz .LBB1_373
; %bb.368:
	v_mov_b32_e32 v2, 0
	global_load_dwordx2 v[5:6], v2, s[10:11] offset:24 glc
	s_waitcnt vmcnt(0)
	buffer_wbinvl1_vol
	global_load_dwordx2 v[3:4], v2, s[10:11] offset:40
	global_load_dwordx2 v[7:8], v2, s[10:11]
	s_waitcnt vmcnt(1)
	v_and_b32_e32 v3, v3, v5
	v_and_b32_e32 v4, v4, v6
	v_mul_lo_u32 v4, v4, 24
	v_mul_hi_u32 v9, v3, 24
	v_mul_lo_u32 v3, v3, 24
	v_add_u32_e32 v4, v9, v4
	s_waitcnt vmcnt(0)
	v_add_co_u32_e32 v3, vcc, v7, v3
	v_addc_co_u32_e32 v4, vcc, v8, v4, vcc
	global_load_dwordx2 v[3:4], v[3:4], off glc
	s_waitcnt vmcnt(0)
	global_atomic_cmpswap_x2 v[8:9], v2, v[3:6], s[10:11] offset:24 glc
	s_waitcnt vmcnt(0)
	buffer_wbinvl1_vol
	v_cmp_ne_u64_e32 vcc, v[8:9], v[5:6]
	s_and_saveexec_b64 s[14:15], vcc
	s_cbranch_execz .LBB1_372
; %bb.369:
	s_mov_b64 s[16:17], 0
.LBB1_370:                              ; =>This Inner Loop Header: Depth=1
	s_sleep 1
	global_load_dwordx2 v[3:4], v2, s[10:11] offset:40
	global_load_dwordx2 v[10:11], v2, s[10:11]
	v_mov_b32_e32 v5, v8
	v_mov_b32_e32 v6, v9
	s_waitcnt vmcnt(1)
	v_and_b32_e32 v3, v3, v5
	s_waitcnt vmcnt(0)
	v_mad_u64_u32 v[7:8], s[18:19], v3, 24, v[10:11]
	v_and_b32_e32 v4, v4, v6
	v_mov_b32_e32 v3, v8
	v_mad_u64_u32 v[3:4], s[18:19], v4, 24, v[3:4]
	v_mov_b32_e32 v8, v3
	global_load_dwordx2 v[3:4], v[7:8], off glc
	s_waitcnt vmcnt(0)
	global_atomic_cmpswap_x2 v[8:9], v2, v[3:6], s[10:11] offset:24 glc
	s_waitcnt vmcnt(0)
	buffer_wbinvl1_vol
	v_cmp_eq_u64_e32 vcc, v[8:9], v[5:6]
	s_or_b64 s[16:17], vcc, s[16:17]
	s_andn2_b64 exec, exec, s[16:17]
	s_cbranch_execnz .LBB1_370
; %bb.371:
	s_or_b64 exec, exec, s[16:17]
.LBB1_372:
	s_or_b64 exec, exec, s[14:15]
.LBB1_373:
	s_or_b64 exec, exec, s[12:13]
	v_mov_b32_e32 v2, 0
	global_load_dwordx2 v[10:11], v2, s[10:11] offset:40
	global_load_dwordx4 v[4:7], v2, s[10:11]
	v_readfirstlane_b32 s13, v9
	v_readfirstlane_b32 s12, v8
	s_mov_b64 s[14:15], exec
	s_waitcnt vmcnt(1)
	v_readfirstlane_b32 s16, v10
	v_readfirstlane_b32 s17, v11
	s_and_b64 s[16:17], s[16:17], s[12:13]
	s_mul_i32 s18, s17, 24
	s_mul_hi_u32 s19, s16, 24
	s_mul_i32 s20, s16, 24
	s_add_i32 s18, s19, s18
	v_mov_b32_e32 v3, s18
	s_waitcnt vmcnt(0)
	v_add_co_u32_e32 v8, vcc, s20, v4
	v_addc_co_u32_e32 v9, vcc, v5, v3, vcc
	s_and_saveexec_b64 s[18:19], s[4:5]
	s_cbranch_execz .LBB1_375
; %bb.374:
	v_mov_b32_e32 v10, s14
	v_mov_b32_e32 v11, s15
	;; [unrolled: 1-line block ×4, first 2 shown]
	global_store_dwordx4 v[8:9], v[10:13], off offset:8
.LBB1_375:
	s_or_b64 exec, exec, s[18:19]
	s_lshl_b64 s[14:15], s[16:17], 12
	v_mov_b32_e32 v3, s15
	v_add_co_u32_e32 v10, vcc, s14, v6
	v_addc_co_u32_e32 v11, vcc, v7, v3, vcc
	s_movk_i32 s14, 0xff1f
	v_and_or_b32 v0, v0, s14, 32
	s_mov_b32 s16, 0
	v_mov_b32_e32 v3, v2
	v_readfirstlane_b32 s14, v10
	v_readfirstlane_b32 s15, v11
	v_add_co_u32_e32 v6, vcc, v10, v35
	s_mov_b32 s17, s16
	s_mov_b32 s18, s16
	s_mov_b32 s19, s16
	s_nop 0
	global_store_dwordx4 v35, v[0:3], s[14:15]
	v_addc_co_u32_e32 v7, vcc, 0, v11, vcc
	v_mov_b32_e32 v0, s16
	v_mov_b32_e32 v1, s17
	;; [unrolled: 1-line block ×4, first 2 shown]
	global_store_dwordx4 v35, v[0:3], s[14:15] offset:16
	global_store_dwordx4 v35, v[0:3], s[14:15] offset:32
	;; [unrolled: 1-line block ×3, first 2 shown]
	s_and_saveexec_b64 s[14:15], s[4:5]
	s_cbranch_execz .LBB1_383
; %bb.376:
	v_mov_b32_e32 v10, 0
	global_load_dwordx2 v[13:14], v10, s[10:11] offset:32 glc
	global_load_dwordx2 v[0:1], v10, s[10:11] offset:40
	v_mov_b32_e32 v11, s12
	v_mov_b32_e32 v12, s13
	s_waitcnt vmcnt(0)
	v_readfirstlane_b32 s16, v0
	v_readfirstlane_b32 s17, v1
	s_and_b64 s[16:17], s[16:17], s[12:13]
	s_mul_i32 s17, s17, 24
	s_mul_hi_u32 s18, s16, 24
	s_mul_i32 s16, s16, 24
	s_add_i32 s17, s18, s17
	v_mov_b32_e32 v0, s17
	v_add_co_u32_e32 v4, vcc, s16, v4
	v_addc_co_u32_e32 v5, vcc, v5, v0, vcc
	global_store_dwordx2 v[4:5], v[13:14], off
	s_waitcnt vmcnt(0)
	global_atomic_cmpswap_x2 v[2:3], v10, v[11:14], s[10:11] offset:32 glc
	s_waitcnt vmcnt(0)
	v_cmp_ne_u64_e32 vcc, v[2:3], v[13:14]
	s_and_saveexec_b64 s[16:17], vcc
	s_cbranch_execz .LBB1_379
; %bb.377:
	s_mov_b64 s[18:19], 0
.LBB1_378:                              ; =>This Inner Loop Header: Depth=1
	s_sleep 1
	global_store_dwordx2 v[4:5], v[2:3], off
	v_mov_b32_e32 v0, s12
	v_mov_b32_e32 v1, s13
	s_waitcnt vmcnt(0)
	global_atomic_cmpswap_x2 v[0:1], v10, v[0:3], s[10:11] offset:32 glc
	s_waitcnt vmcnt(0)
	v_cmp_eq_u64_e32 vcc, v[0:1], v[2:3]
	v_mov_b32_e32 v3, v1
	s_or_b64 s[18:19], vcc, s[18:19]
	v_mov_b32_e32 v2, v0
	s_andn2_b64 exec, exec, s[18:19]
	s_cbranch_execnz .LBB1_378
.LBB1_379:
	s_or_b64 exec, exec, s[16:17]
	v_mov_b32_e32 v3, 0
	global_load_dwordx2 v[0:1], v3, s[10:11] offset:16
	s_mov_b64 s[16:17], exec
	v_mbcnt_lo_u32_b32 v2, s16, 0
	v_mbcnt_hi_u32_b32 v2, s17, v2
	v_cmp_eq_u32_e32 vcc, 0, v2
	s_and_saveexec_b64 s[18:19], vcc
	s_cbranch_execz .LBB1_381
; %bb.380:
	s_bcnt1_i32_b64 s16, s[16:17]
	v_mov_b32_e32 v2, s16
	s_waitcnt vmcnt(0)
	global_atomic_add_x2 v[0:1], v[2:3], off offset:8
.LBB1_381:
	s_or_b64 exec, exec, s[18:19]
	s_waitcnt vmcnt(0)
	global_load_dwordx2 v[2:3], v[0:1], off offset:16
	s_waitcnt vmcnt(0)
	v_cmp_eq_u64_e32 vcc, 0, v[2:3]
	s_cbranch_vccnz .LBB1_383
; %bb.382:
	global_load_dword v0, v[0:1], off offset:24
	v_mov_b32_e32 v1, 0
	s_waitcnt vmcnt(0)
	v_readfirstlane_b32 s16, v0
	s_and_b32 m0, s16, 0xffffff
	global_store_dwordx2 v[2:3], v[0:1], off
	s_sendmsg sendmsg(MSG_INTERRUPT)
.LBB1_383:
	s_or_b64 exec, exec, s[14:15]
	s_branch .LBB1_387
.LBB1_384:                              ;   in Loop: Header=BB1_387 Depth=1
	s_or_b64 exec, exec, s[14:15]
	v_readfirstlane_b32 s14, v0
	s_cmp_eq_u32 s14, 0
	s_cbranch_scc1 .LBB1_386
; %bb.385:                              ;   in Loop: Header=BB1_387 Depth=1
	s_sleep 1
	s_cbranch_execnz .LBB1_387
	s_branch .LBB1_389
.LBB1_386:
	s_branch .LBB1_389
.LBB1_387:                              ; =>This Inner Loop Header: Depth=1
	v_mov_b32_e32 v0, 1
	s_and_saveexec_b64 s[14:15], s[4:5]
	s_cbranch_execz .LBB1_384
; %bb.388:                              ;   in Loop: Header=BB1_387 Depth=1
	global_load_dword v0, v[8:9], off offset:20 glc
	s_waitcnt vmcnt(0)
	buffer_wbinvl1_vol
	v_and_b32_e32 v0, 1, v0
	s_branch .LBB1_384
.LBB1_389:
	global_load_dwordx2 v[0:1], v[6:7], off
	s_and_saveexec_b64 s[14:15], s[4:5]
	s_cbranch_execz .LBB1_392
; %bb.390:
	v_mov_b32_e32 v8, 0
	global_load_dwordx2 v[2:3], v8, s[10:11] offset:40
	global_load_dwordx2 v[11:12], v8, s[10:11] offset:24 glc
	global_load_dwordx2 v[4:5], v8, s[10:11]
	s_waitcnt vmcnt(2)
	v_readfirstlane_b32 s16, v2
	v_readfirstlane_b32 s17, v3
	s_add_u32 s18, s16, 1
	s_addc_u32 s19, s17, 0
	s_add_u32 s4, s18, s12
	s_addc_u32 s5, s19, s13
	s_cmp_eq_u64 s[4:5], 0
	s_cselect_b32 s5, s19, s5
	s_cselect_b32 s4, s18, s4
	s_and_b64 s[12:13], s[4:5], s[16:17]
	s_mul_i32 s13, s13, 24
	s_mul_hi_u32 s16, s12, 24
	s_mul_i32 s12, s12, 24
	s_add_i32 s13, s16, s13
	v_mov_b32_e32 v2, s13
	s_waitcnt vmcnt(0)
	v_add_co_u32_e32 v6, vcc, s12, v4
	v_addc_co_u32_e32 v7, vcc, v5, v2, vcc
	v_mov_b32_e32 v9, s4
	global_store_dwordx2 v[6:7], v[11:12], off
	v_mov_b32_e32 v10, s5
	s_waitcnt vmcnt(0)
	global_atomic_cmpswap_x2 v[4:5], v8, v[9:12], s[10:11] offset:24 glc
	s_mov_b64 s[12:13], 0
	s_waitcnt vmcnt(0)
	v_cmp_ne_u64_e32 vcc, v[4:5], v[11:12]
	s_and_b64 exec, exec, vcc
	s_cbranch_execz .LBB1_392
.LBB1_391:                              ; =>This Inner Loop Header: Depth=1
	s_sleep 1
	global_store_dwordx2 v[6:7], v[4:5], off
	v_mov_b32_e32 v2, s4
	v_mov_b32_e32 v3, s5
	s_waitcnt vmcnt(0)
	global_atomic_cmpswap_x2 v[2:3], v8, v[2:5], s[10:11] offset:24 glc
	s_waitcnt vmcnt(0)
	v_cmp_eq_u64_e32 vcc, v[2:3], v[4:5]
	v_mov_b32_e32 v5, v3
	s_or_b64 s[12:13], vcc, s[12:13]
	v_mov_b32_e32 v4, v2
	s_andn2_b64 exec, exec, s[12:13]
	s_cbranch_execnz .LBB1_391
.LBB1_392:
	s_or_b64 exec, exec, s[14:15]
.LBB1_393:
	s_or_b64 exec, exec, s[6:7]
	s_getpc_b64 s[4:5]
	s_add_u32 s4, s4, .str.3@rel32@lo+4
	s_addc_u32 s5, s5, .str.3@rel32@hi+12
	s_getpc_b64 s[6:7]
	s_add_u32 s6, s6, .str.3@rel32@lo+32
	s_addc_u32 s7, s7, .str.3@rel32@hi+40
	s_sub_i32 s10, s6, s4
	s_ashr_i32 s11, s10, 31
	s_getpc_b64 s[6:7]
	s_add_u32 s6, s6, __ockl_fprintf_append_string_n@rel32@lo+4
	s_addc_u32 s7, s7, __ockl_fprintf_append_string_n@rel32@hi+12
	v_mov_b32_e32 v2, s4
	v_mov_b32_e32 v3, s5
	;; [unrolled: 1-line block ×5, first 2 shown]
	s_swappc_b64 s[30:31], s[6:7]
	s_trap 2
.Lfunc_end1:
	.size	__assert_fail, .Lfunc_end1-__assert_fail
                                        ; -- End function
	.set .L__assert_fail.num_vgpr, max(41, .L__ockl_fprintf_append_string_n.num_vgpr)
	.set .L__assert_fail.num_agpr, max(0, .L__ockl_fprintf_append_string_n.num_agpr)
	.set .L__assert_fail.numbered_sgpr, max(34, .L__ockl_fprintf_append_string_n.numbered_sgpr)
	.set .L__assert_fail.num_named_barrier, max(0, .L__ockl_fprintf_append_string_n.num_named_barrier)
	.set .L__assert_fail.private_seg_size, 64+max(.L__ockl_fprintf_append_string_n.private_seg_size)
	.set .L__assert_fail.uses_vcc, or(1, .L__ockl_fprintf_append_string_n.uses_vcc)
	.set .L__assert_fail.uses_flat_scratch, or(0, .L__ockl_fprintf_append_string_n.uses_flat_scratch)
	.set .L__assert_fail.has_dyn_sized_stack, or(0, .L__ockl_fprintf_append_string_n.has_dyn_sized_stack)
	.set .L__assert_fail.has_recursion, or(0, .L__ockl_fprintf_append_string_n.has_recursion)
	.set .L__assert_fail.has_indirect_call, or(0, .L__ockl_fprintf_append_string_n.has_indirect_call)
	.section	.AMDGPU.csdata,"",@progbits
; Function info:
; codeLenInByte = 13844
; TotalNumSgprs: 38
; NumVgprs: 41
; ScratchSize: 64
; MemoryBound: 0
	.text
	.p2align	2                               ; -- Begin function _ZN12_GLOBAL__N_17runRingI14__hip_fp8_e4m313FuncPreMulSumIS1_E11ProtoSimpleILi1ELi1ELi0ELi1ELi0ELi0EELi0ELi1ELi0EEEviiP15ncclDevWorkColl
	.type	_ZN12_GLOBAL__N_17runRingI14__hip_fp8_e4m313FuncPreMulSumIS1_E11ProtoSimpleILi1ELi1ELi0ELi1ELi0ELi0EELi0ELi1ELi0EEEviiP15ncclDevWorkColl,@function
_ZN12_GLOBAL__N_17runRingI14__hip_fp8_e4m313FuncPreMulSumIS1_E11ProtoSimpleILi1ELi1ELi0ELi1ELi0ELi0EELi0ELi1ELi0EEEviiP15ncclDevWorkColl: ; @_ZN12_GLOBAL__N_17runRingI14__hip_fp8_e4m313FuncPreMulSumIS1_E11ProtoSimpleILi1ELi1ELi0ELi1ELi0ELi0EELi0ELi1ELi0EEEviiP15ncclDevWorkColl
; %bb.0:
	s_waitcnt vmcnt(0) expcnt(0) lgkmcnt(0)
	s_mov_b32 s4, s33
	s_mov_b32 s33, s32
	s_or_saveexec_b64 s[6:7], -1
	buffer_store_dword v63, off, s[0:3], s33 offset:228 ; 4-byte Folded Spill
	s_mov_b64 exec, s[6:7]
	v_writelane_b32 v63, s4, 18
	s_addk_i32 s32, 0x3c00
	buffer_store_dword v40, off, s[0:3], s33 offset:56 ; 4-byte Folded Spill
	buffer_store_dword v41, off, s[0:3], s33 offset:52 ; 4-byte Folded Spill
	;; [unrolled: 1-line block ×14, first 2 shown]
	buffer_store_dword v62, off, s[0:3], s33 ; 4-byte Folded Spill
	v_writelane_b32 v63, s34, 0
	v_writelane_b32 v63, s35, 1
	;; [unrolled: 1-line block ×18, first 2 shown]
	s_trap 2
	ds_read_b64 v[32:33], v0
	ds_read_b32 v4, v0
	v_mov_b32_e32 v14, v1
	v_mov_b32_e32 v15, v0
	flat_load_ushort v23, v[2:3] offset:8
	flat_load_dwordx2 v[8:9], v[2:3]
	s_waitcnt lgkmcnt(0)
	v_ashrrev_i32_e32 v1, 31, v33
	v_mov_b32_e32 v0, v33
	v_lshlrev_b64 v[0:1], 2, v[0:1]
                                        ; implicit-def: $vgpr26_vgpr27
                                        ; implicit-def: $vgpr16_vgpr17
	v_add_co_u32_e32 v0, vcc, v32, v0
	v_addc_co_u32_e32 v1, vcc, v33, v1, vcc
	v_add_co_u32_e32 v0, vcc, -4, v0
	v_addc_co_u32_e32 v1, vcc, -1, v1, vcc
	flat_load_dword v1, v[0:1]
	s_waitcnt vmcnt(0)
	v_mov_b32_e32 v22, v9
	v_cmp_ne_u32_sdwa s[4:5], v4, v8 src0_sel:DWORD src1_sel:BYTE_0
                                        ; implicit-def: $vgpr9_vgpr10
	s_and_saveexec_b64 s[6:7], s[4:5]
	s_xor_b64 s[4:5], exec, s[6:7]
	s_cbranch_execz .LBB2_6
; %bb.1:
	v_not_b32_sdwa v0, v8 dst_sel:DWORD dst_unused:UNUSED_PAD src0_sel:BYTE_0
	v_cmp_ne_u32_sdwa s[6:7], v4, v8 src0_sel:DWORD src1_sel:BYTE_1
                                        ; implicit-def: $vgpr26_vgpr27
                                        ; implicit-def: $vgpr9_vgpr10
                                        ; implicit-def: $vgpr16_vgpr17
	s_and_saveexec_b64 s[10:11], s[6:7]
	s_xor_b64 s[6:7], exec, s[10:11]
	s_cbranch_execz .LBB2_3
; %bb.2:
	flat_load_dwordx4 v[5:8], v[2:3] offset:72
	flat_load_dwordx2 v[9:10], v[2:3] offset:96
	v_add_u32_e32 v0, v4, v0
	v_ashrrev_i32_e32 v4, 31, v0
	s_waitcnt vmcnt(0) lgkmcnt(0)
	v_mul_lo_u32 v4, v7, v4
	v_mad_u64_u32 v[16:17], s[10:11], v7, v0, v[5:6]
	v_mul_lo_u32 v0, v8, v0
	v_lshrrev_b64 v[26:27], 12, v[9:10]
	v_mov_b32_e32 v10, v8
	v_mov_b32_e32 v9, v7
	v_add3_u32 v17, v0, v17, v4
                                        ; implicit-def: $vgpr8
                                        ; implicit-def: $vgpr0
.LBB2_3:
	s_andn2_saveexec_b64 s[6:7], s[6:7]
	s_cbranch_execz .LBB2_5
; %bb.4:
	flat_load_dwordx4 v[4:7], v[2:3] offset:72
	flat_load_dwordx4 v[9:12], v[2:3] offset:88
	v_add_u32_sdwa v0, v8, v0 dst_sel:DWORD dst_unused:UNUSED_PAD src0_sel:BYTE_1 src1_sel:DWORD
	v_ashrrev_i32_e32 v8, 31, v0
	s_waitcnt vmcnt(0) lgkmcnt(0)
	v_mul_lo_u32 v8, v6, v8
	v_mad_u64_u32 v[16:17], s[10:11], v6, v0, v[4:5]
	v_mul_lo_u32 v0, v7, v0
	v_lshrrev_b32_e32 v26, 1, v12
	v_add3_u32 v17, v0, v17, v8
.LBB2_5:
	s_or_b64 exec, exec, s[6:7]
.LBB2_6:
	s_andn2_saveexec_b64 s[4:5], s[4:5]
	s_cbranch_execz .LBB2_8
; %bb.7:
	flat_load_dwordx2 v[4:5], v[2:3] offset:96
	flat_load_dwordx2 v[9:10], v[2:3] offset:72
	v_mov_b32_e32 v16, 0
	v_mov_b32_e32 v17, 0
	s_waitcnt vmcnt(0) lgkmcnt(0)
	v_lshlrev_b64 v[26:27], 9, v[4:5]
.LBB2_8:
	s_or_b64 exec, exec, s[4:5]
	s_trap 2
	ds_read_b64 v[4:5], v0
	s_waitcnt lgkmcnt(0)
	v_cmp_ne_u32_e32 vcc, -1, v4
	v_cndmask_b32_e64 v0, 0, 1, vcc
	v_cmp_ne_u32_e32 vcc, -1, v5
	v_addc_co_u32_e64 v4, s[4:5], 0, v0, vcc
	v_lshlrev_b32_e32 v5, 1, v4
	v_cmp_le_u32_e64 s[4:5], v5, v14
	s_and_saveexec_b64 s[6:7], s[4:5]
	s_xor_b64 s[24:25], exec, s[6:7]
	s_cbranch_execnz .LBB2_9
; %bb.6210:
	s_getpc_b64 s[66:67]
.Lpost_getpc0:
	s_add_u32 s66, s66, (.LBB2_6207-.Lpost_getpc0)&4294967295
	s_addc_u32 s67, s67, (.LBB2_6207-.Lpost_getpc0)>>32
	s_setpc_b64 s[66:67]
.LBB2_9:
	buffer_store_dword v9, off, s[0:3], s33 offset:88 ; 4-byte Folded Spill
	s_nop 0
	buffer_store_dword v10, off, s[0:3], s33 offset:92 ; 4-byte Folded Spill
	buffer_store_dword v11, off, s[0:3], s33 offset:96 ; 4-byte Folded Spill
	;; [unrolled: 1-line block ×3, first 2 shown]
	flat_load_dwordx4 v[10:13], v[2:3] offset:16
	s_nop 0
	flat_load_dwordx2 v[33:34], v[2:3] offset:104
	s_trap 2
	s_load_dword s4, s[8:9], 0x0
	v_mov_b32_e32 v2, 0
	v_mov_b32_e32 v45, 4
	s_waitcnt lgkmcnt(0)
	s_cmp_lt_u32 s12, s4
	s_cselect_b32 s4, 12, 18
	s_add_u32 s4, s8, s4
	s_addc_u32 s5, s9, 0
	global_load_ushort v7, v2, s[4:5]
	ds_read_b32 v2, v0
	v_cmp_ge_u32_e64 s[4:5], v15, v0
	s_waitcnt lgkmcnt(0)
	v_readfirstlane_b32 s48, v2
	s_and_saveexec_b64 s[6:7], s[4:5]
	s_cbranch_execz .LBB2_19
; %bb.10:
	v_cmp_ge_u32_e64 s[4:5], v15, v4
                                        ; implicit-def: $vgpr45
	s_and_saveexec_b64 s[10:11], s[4:5]
	s_xor_b64 s[4:5], exec, s[10:11]
	s_cbranch_execz .LBB2_16
; %bb.11:
	v_cndmask_b32_e64 v2, 0, 1, vcc
	v_sub_u32_e32 v2, v14, v2
	v_cmp_ge_u32_e32 vcc, v15, v2
	s_and_saveexec_b64 s[10:11], vcc
	s_xor_b64 s[10:11], exec, s[10:11]
; %bb.12:
                                        ; implicit-def: $vgpr4
; %bb.13:
	s_or_saveexec_b64 s[10:11], s[10:11]
	v_mov_b32_e32 v45, 16
	s_xor_b64 exec, exec, s[10:11]
; %bb.14:
	v_sub_u32_e32 v2, v14, v4
	v_cmp_lt_i32_e32 vcc, v15, v2
	v_cndmask_b32_e64 v45, 32, 0, vcc
; %bb.15:
	s_or_b64 exec, exec, s[10:11]
.LBB2_16:
	s_andn2_saveexec_b64 s[4:5], s[4:5]
; %bb.17:
	v_mov_b32_e32 v45, 8
; %bb.18:
	s_or_b64 exec, exec, s[4:5]
.LBB2_19:
	s_or_b64 exec, exec, s[6:7]
	v_and_b32_e32 v2, 36, v45
	v_cmp_ne_u32_e32 vcc, 0, v2
	v_mov_b32_e32 v35, -1
	s_and_saveexec_b64 s[4:5], vcc
	s_cbranch_execz .LBB2_21
; %bb.20:
	s_trap 2
	ds_read_b32 v35, v0
.LBB2_21:
	s_or_b64 exec, exec, s[4:5]
	v_and_b32_e32 v2, 24, v45
	v_cmp_ne_u32_e64 s[4:5], 0, v2
	s_and_saveexec_b64 s[6:7], s[4:5]
	s_cbranch_execz .LBB2_23
; %bb.22:
	s_trap 2
	s_waitcnt lgkmcnt(0)
	ds_read_b32 v35, v0
.LBB2_23:
	s_or_b64 exec, exec, s[6:7]
	v_lshrrev_b64 v[2:3], 31, v[22:23]
	v_mov_b32_e32 v8, 0
	v_mov_b32_e32 v48, 0
                                        ; implicit-def: $vgpr3_vgpr4
	v_mov_b32_e32 v9, 0
	v_and_b32_e32 v2, 3, v2
	v_mov_b32_e32 v49, 0
	s_waitcnt lgkmcnt(0)
	v_ashrrev_i32_e32 v36, 31, v35
                                        ; kill: killed $vgpr3_vgpr4
                                        ; implicit-def: $vgpr3
                                        ; kill: killed $vgpr3
                                        ; implicit-def: $vgpr24_vgpr25
                                        ; implicit-def: $vgpr3_vgpr4
                                        ; kill: killed $vgpr3_vgpr4
                                        ; implicit-def: $vgpr18_vgpr19
	s_and_saveexec_b64 s[4:5], vcc
	s_cbranch_execz .LBB2_33
; %bb.24:
	s_trap 2
	ds_read_b64 v[3:4], v0
	v_lshlrev_b64 v[5:6], 3, v[35:36]
	s_movk_i32 s6, 0xa8
	s_waitcnt lgkmcnt(0)
	v_add_co_u32_e32 v3, vcc, v3, v5
	v_addc_co_u32_e32 v4, vcc, v4, v6, vcc
	flat_load_dwordx2 v[3:4], v[3:4]
	v_and_b32_e32 v5, 0xffff, v2
	s_waitcnt vmcnt(0) lgkmcnt(0)
	v_mad_u64_u32 v[27:28], s[6:7], v5, s6, v[3:4]
	flat_load_dword v3, v[27:28] offset:640
	s_waitcnt vmcnt(0) lgkmcnt(0)
	v_cmp_eq_u32_e32 vcc, 1, v3
                                        ; implicit-def: $vgpr3_vgpr4
                                        ; kill: killed $vgpr3_vgpr4
	s_and_saveexec_b64 s[6:7], vcc
	s_cbranch_execz .LBB2_26
; %bb.25:
	flat_load_dwordx2 v[5:6], v[27:28] offset:648
	v_or_b32_e32 v45, 0x2000, v45
	s_waitcnt vmcnt(0) lgkmcnt(0)
	flat_load_dwordx2 v[3:4], v[5:6]
	s_trap 2
	s_waitcnt vmcnt(0) lgkmcnt(0)
	ds_write_b64 v0, v[3:4]
	flat_load_dwordx2 v[3:4], v[5:6] offset:8
	s_waitcnt vmcnt(0) lgkmcnt(0)
	ds_write_b64 v0, v[3:4]
	buffer_store_dword v5, off, s[0:3], s33 offset:216 ; 4-byte Folded Spill
	s_nop 0
	buffer_store_dword v6, off, s[0:3], s33 offset:220 ; 4-byte Folded Spill
	flat_load_dwordx2 v[3:4], v[5:6] offset:16
	s_waitcnt vmcnt(0) lgkmcnt(0)
	ds_write_b64 v0, v[3:4]
.LBB2_26:
	s_or_b64 exec, exec, s[6:7]
	flat_load_dwordx2 v[50:51], v[27:28] offset:608
	v_and_b32_e32 v3, 32, v45
	v_cmp_ne_u32_e32 vcc, 0, v3
                                        ; implicit-def: $vgpr18_vgpr19
	s_and_saveexec_b64 s[6:7], vcc
	s_cbranch_execz .LBB2_28
; %bb.27:
	flat_load_dwordx2 v[18:19], v[27:28] offset:560
	s_waitcnt vmcnt(0) lgkmcnt(0)
	flat_store_dwordx2 v[18:19], v[50:51]
.LBB2_28:
	s_or_b64 exec, exec, s[6:7]
	v_add_co_u32_e32 v8, vcc, 0x1f8, v27
	v_addc_co_u32_e32 v9, vcc, 0, v28, vcc
	v_and_b32_e32 v3, 4, v45
	v_mov_b32_e32 v48, 0
	v_mov_b32_e32 v49, 0
	v_cmp_ne_u32_e32 vcc, 0, v3
                                        ; implicit-def: $vgpr3
                                        ; kill: killed $vgpr3
                                        ; implicit-def: $vgpr24_vgpr25
                                        ; implicit-def: $vgpr3_vgpr4
                                        ; kill: killed $vgpr3_vgpr4
	s_and_saveexec_b64 s[6:7], vcc
	s_cbranch_execz .LBB2_32
; %bb.29:
	v_and_b32_e32 v3, 0x800, v45
	v_cmp_eq_u32_e32 vcc, 0, v3
	s_and_saveexec_b64 s[10:11], vcc
	s_cbranch_execz .LBB2_31
; %bb.30:
	s_trap 2
	ds_write_b64 v0, v[8:9]
.LBB2_31:
	s_or_b64 exec, exec, s[10:11]
	flat_load_dwordx2 v[18:19], v[27:28] offset:552
	s_waitcnt vmcnt(0) lgkmcnt(0)
	flat_load_dwordx2 v[24:25], v[18:19] glc
	flat_load_dwordx2 v[48:49], v[27:28] offset:600
	flat_load_dword v3, v[27:28] offset:576
	s_waitcnt vmcnt(0) lgkmcnt(0)
	v_cmp_eq_u64_e32 vcc, 0, v[48:49]
	buffer_store_dword v3, off, s[0:3], s33 offset:152 ; 4-byte Folded Spill
	flat_load_dwordx2 v[3:4], v[27:28] offset:520
	s_waitcnt vmcnt(0) lgkmcnt(0)
	buffer_store_dword v3, off, s[0:3], s33 offset:120 ; 4-byte Folded Spill
	s_nop 0
	buffer_store_dword v4, off, s[0:3], s33 offset:124 ; 4-byte Folded Spill
	v_or_b32_e32 v3, 0x100, v45
	v_cndmask_b32_e32 v45, v3, v45, vcc
.LBB2_32:
	s_or_b64 exec, exec, s[6:7]
.LBB2_33:
	s_or_b64 exec, exec, s[4:5]
	v_and_b32_e32 v3, 24, v45
	v_cmp_ne_u32_e32 vcc, 0, v3
                                        ; implicit-def: $vgpr3_vgpr4
                                        ; kill: killed $vgpr3_vgpr4
	s_and_saveexec_b64 s[4:5], vcc
	s_cbranch_execz .LBB2_41
; %bb.34:
	s_trap 2
	ds_read_b64 v[3:4], v0
	v_lshlrev_b64 v[5:6], 3, v[35:36]
	v_and_b32_e32 v2, 0xffff, v2
	s_movk_i32 s6, 0xa8
	s_waitcnt lgkmcnt(0)
	v_add_co_u32_e32 v3, vcc, v3, v5
	v_addc_co_u32_e32 v4, vcc, v4, v6, vcc
	flat_load_dwordx2 v[3:4], v[3:4]
	s_waitcnt vmcnt(0) lgkmcnt(0)
	v_mad_u64_u32 v[8:9], s[6:7], v2, s6, v[3:4]
	v_or_b32_e32 v2, 0x100, v45
	flat_load_dwordx4 v[48:51], v[8:9] offset:96
	s_waitcnt vmcnt(0) lgkmcnt(0)
	v_cmp_eq_u64_e32 vcc, 0, v[48:49]
	v_cndmask_b32_e32 v45, v2, v45, vcc
	v_and_b32_e32 v2, 16, v45
	v_cmp_ne_u32_e32 vcc, 0, v2
                                        ; implicit-def: $vgpr2_vgpr3
                                        ; kill: killed $vgpr2_vgpr3
	s_and_saveexec_b64 s[6:7], vcc
	s_cbranch_execz .LBB2_36
; %bb.35:
	flat_load_dwordx2 v[18:19], v[8:9] offset:48
	flat_load_dwordx2 v[2:3], v[8:9] offset:120
	s_waitcnt vmcnt(0) lgkmcnt(0)
	buffer_store_dword v2, off, s[0:3], s33 offset:156 ; 4-byte Folded Spill
	s_nop 0
	buffer_store_dword v3, off, s[0:3], s33 offset:160 ; 4-byte Folded Spill
	flat_load_dwordx2 v[2:3], v[8:9] offset:16
	s_waitcnt vmcnt(0) lgkmcnt(0)
	buffer_store_dword v2, off, s[0:3], s33 offset:120 ; 4-byte Folded Spill
	s_nop 0
	buffer_store_dword v3, off, s[0:3], s33 offset:124 ; 4-byte Folded Spill
.LBB2_36:
	s_or_b64 exec, exec, s[6:7]
	v_and_b32_e32 v2, 8, v45
	v_cmp_ne_u32_e32 vcc, 0, v2
	s_and_saveexec_b64 s[6:7], vcc
	s_cbranch_execz .LBB2_40
; %bb.37:
	v_and_b32_e32 v2, 0x800, v45
	v_cmp_eq_u32_e32 vcc, 0, v2
	s_and_saveexec_b64 s[10:11], vcc
	s_cbranch_execz .LBB2_39
; %bb.38:
	s_trap 2
	ds_write_b64 v0, v[8:9]
.LBB2_39:
	s_or_b64 exec, exec, s[10:11]
	flat_load_dwordx2 v[18:19], v[8:9] offset:56
	s_waitcnt vmcnt(0) lgkmcnt(0)
	flat_load_dwordx2 v[24:25], v[18:19] glc
	flat_load_dword v2, v[8:9] offset:72
	s_waitcnt vmcnt(0) lgkmcnt(0)
	buffer_store_dword v2, off, s[0:3], s33 offset:152 ; 4-byte Folded Spill
	flat_load_dwordx2 v[2:3], v[8:9] offset:16
	s_waitcnt vmcnt(0) lgkmcnt(0)
	buffer_store_dword v2, off, s[0:3], s33 offset:120 ; 4-byte Folded Spill
	s_nop 0
	buffer_store_dword v3, off, s[0:3], s33 offset:124 ; 4-byte Folded Spill
.LBB2_40:
	s_or_b64 exec, exec, s[6:7]
.LBB2_41:
	s_or_b64 exec, exec, s[4:5]
	v_cmp_eq_u32_e64 s[4:5], 0, v15
	s_and_saveexec_b64 s[6:7], s[4:5]
	s_cbranch_execz .LBB2_43
; %bb.42:
	s_waitcnt vmcnt(0)
	v_mov_b32_e32 v2, v12
	v_mov_b32_e32 v3, v13
	;; [unrolled: 1-line block ×4, first 2 shown]
	ds_write2_b64 v0, v[2:3], v[4:5] offset1:1
	v_mov_b32_e32 v2, 0
	v_mov_b32_e32 v3, v2
	s_trap 2
	ds_write_b64 v0, v[2:3]
	ds_write_b64 v0, v[33:34]
.LBB2_43:
	s_or_b64 exec, exec, s[6:7]
	v_and_b32_e32 v20, 0x3ffffe00, v26
	v_mov_b32_e32 v21, 0
	v_bfe_u32 v2, v22, 1, 30
	v_cmp_ne_u32_e32 vcc, v1, v2
                                        ; implicit-def: $vgpr3_vgpr4
                                        ; kill: killed $vgpr3_vgpr4
	s_mov_b64 s[6:7], exec
	buffer_load_dword v3, off, s[0:3], s33 offset:88 ; 4-byte Folded Reload
	buffer_load_dword v4, off, s[0:3], s33 offset:92 ; 4-byte Folded Reload
	;; [unrolled: 1-line block ×4, first 2 shown]
	s_and_b64 s[10:11], s[6:7], vcc
	s_xor_b64 s[26:27], s[10:11], s[6:7]
	s_mov_b64 exec, s[10:11]
	s_cbranch_execnz .LBB2_44
; %bb.6212:
	s_getpc_b64 s[66:67]
.Lpost_getpc1:
	s_add_u32 s66, s66, (.LBB2_4685-.Lpost_getpc1)&4294967295
	s_addc_u32 s67, s67, (.LBB2_4685-.Lpost_getpc1)>>32
	s_setpc_b64 s[66:67]
.LBB2_44:
	v_cmp_ne_u32_e32 vcc, v32, v2
                                        ; implicit-def: $vgpr1_vgpr2
                                        ; kill: killed $vgpr1_vgpr2
	s_and_saveexec_b64 s[6:7], vcc
	s_xor_b64 s[28:29], exec, s[6:7]
	s_cbranch_execz .LBB2_2368
; %bb.45:
	v_mov_b32_e32 v1, 0
	s_waitcnt vmcnt(0)
	v_cmp_ne_u64_e32 vcc, 0, v[3:4]
	v_mov_b32_e32 v2, 0
	buffer_store_dword v1, off, s[0:3], s33 offset:76 ; 4-byte Folded Spill
	s_nop 0
	buffer_store_dword v2, off, s[0:3], s33 offset:80 ; 4-byte Folded Spill
	s_and_saveexec_b64 s[40:41], vcc
	s_cbranch_execz .LBB2_2367
; %bb.46:
	buffer_store_dword v8, off, s[0:3], s33 offset:192 ; 4-byte Folded Spill
	s_nop 0
	buffer_store_dword v9, off, s[0:3], s33 offset:196 ; 4-byte Folded Spill
	buffer_store_dword v48, off, s[0:3], s33 offset:60 ; 4-byte Folded Spill
	s_nop 0
	buffer_store_dword v49, off, s[0:3], s33 offset:64 ; 4-byte Folded Spill
	s_waitcnt lgkmcnt(0)
	buffer_store_dword v50, off, s[0:3], s33 offset:68 ; 4-byte Folded Spill
	buffer_store_dword v51, off, s[0:3], s33 offset:72 ; 4-byte Folded Spill
	s_trap 2
	buffer_load_dword v1, off, s[0:3], s33 offset:152 ; 4-byte Folded Reload
	s_ashr_i32 s6, s48, 31
	buffer_store_dword v7, off, s[0:3], s33 offset:188 ; 4-byte Folded Spill
	buffer_store_dword v31, off, s[0:3], s33 offset:184 ; 4-byte Folded Spill
	;; [unrolled: 1-line block ×4, first 2 shown]
	s_lshr_b32 s6, s6, 24
	s_add_i32 s6, s48, s6
	v_cmp_eq_u32_e32 vcc, 64, v14
	v_lshrrev_b32_e32 v56, 6, v14
	v_mov_b32_e32 v34, 0
	s_mov_b32 s62, -1
	s_ashr_i32 s49, s6, 8
	v_cmp_ge_u32_e64 s[6:7], v15, v14
	v_cmp_ne_u32_e64 s[10:11], 64, v14
	v_cmp_ne_u32_sdwa s[42:43], v14, v7 src0_sel:DWORD src1_sel:WORD_0
	v_mov_b32_e32 v33, 0
	v_lshlrev_b32_e32 v54, 4, v15
	v_lshlrev_b32_e32 v59, 10, v56
	v_lshlrev_b32_e32 v60, 9, v56
	v_and_b32_e32 v53, 0x3fc0, v14
	s_mov_b64 s[44:45], 0
	v_mov_b32_e32 v35, 0
	s_movk_i32 s50, 0x108
	v_mov_b32_e32 v55, 1
	s_xor_b64 s[46:47], vcc, -1
	s_movk_i32 s51, 0x7f
	s_movk_i32 s52, 0xff
	;; [unrolled: 1-line block ×3, first 2 shown]
	s_mov_b64 s[56:57], 0x7f800000
	s_mov_b64 s[58:59], 0x43e00001
	s_movk_i32 s54, 0x7a
	s_mov_b64 s[60:61], 0xffffff
	s_mov_b32 s63, 0xffffff
	s_mov_b32 s55, 0x3ffffc00
	s_movk_i32 s64, 0xffc0
	v_mov_b32_e32 v47, 0x78
	v_mov_b32_e32 v44, 0xffffff82
	s_waitcnt vmcnt(4)
	v_ashrrev_i32_e32 v61, 31, v1
	v_and_b32_e32 v1, 63, v31
	v_cmp_eq_u32_e64 s[12:13], 0, v1
	v_and_b32_e32 v1, 63, v15
	buffer_store_dword v1, off, s[0:3], s33 offset:204 ; 4-byte Folded Spill
	v_cmp_le_u32_e64 s[14:15], v1, v0
	v_cmp_lt_u32_e64 s[16:17], v1, v0
	buffer_load_dword v0, off, s[0:3], s33 offset:156 ; 4-byte Folded Reload
	buffer_load_dword v1, off, s[0:3], s33 offset:160 ; 4-byte Folded Reload
	v_bfrev_b32_e32 v31, 1
	s_waitcnt vmcnt(0)
	v_cmp_eq_u64_e64 s[18:19], 0, v[0:1]
	v_mov_b32_e32 v0, v3
	v_mov_b32_e32 v1, v4
	;; [unrolled: 1-line block ×4, first 2 shown]
	buffer_store_dword v2, off, s[0:3], s33 offset:76 ; 4-byte Folded Spill
	s_nop 0
	buffer_store_dword v3, off, s[0:3], s33 offset:80 ; 4-byte Folded Spill
	v_mov_b32_e32 v2, 0x7f800001
	v_bfrev_b32_e32 v3, 60
	buffer_store_dword v16, off, s[0:3], s33 offset:168 ; 4-byte Folded Spill
	s_nop 0
	buffer_store_dword v17, off, s[0:3], s33 offset:172 ; 4-byte Folded Spill
	buffer_store_dword v20, off, s[0:3], s33 offset:104 ; 4-byte Folded Spill
	s_nop 0
	buffer_store_dword v21, off, s[0:3], s33 offset:108 ; 4-byte Folded Spill
	buffer_store_dword v61, off, s[0:3], s33 offset:200 ; 4-byte Folded Spill
	;; [unrolled: 1-line block ×4, first 2 shown]
	s_branch .LBB2_49
.LBB2_47:                               ;   in Loop: Header=BB2_49 Depth=1
	s_or_b64 exec, exec, s[20:21]
.LBB2_48:                               ;   in Loop: Header=BB2_49 Depth=1
	s_or_b64 exec, exec, s[22:23]
	buffer_load_dword v20, off, s[0:3], s33 offset:104 ; 4-byte Folded Reload
	buffer_load_dword v21, off, s[0:3], s33 offset:108 ; 4-byte Folded Reload
	;; [unrolled: 1-line block ×6, first 2 shown]
	s_waitcnt vmcnt(0)
	v_mov_b32_e32 v0, v4
	v_add_co_u32_e32 v34, vcc, v34, v20
	v_addc_co_u32_e32 v35, vcc, 0, v35, vcc
	v_mov_b32_e32 v1, v5
	v_cmp_ge_u64_e32 vcc, v[34:35], v[0:1]
	s_or_b64 s[44:45], vcc, s[44:45]
	s_andn2_b64 exec, exec, s[44:45]
	s_cbranch_execz .LBB2_2366
.LBB2_49:                               ; =>This Loop Header: Depth=1
                                        ;     Child Loop BB2_57 Depth 2
                                        ;     Child Loop BB2_84 Depth 2
	;; [unrolled: 1-line block ×10, first 2 shown]
	v_sub_co_u32_e32 v0, vcc, v0, v34
	v_subb_co_u32_e32 v1, vcc, v1, v35, vcc
	v_cmp_lt_u64_e32 vcc, v[20:21], v[0:1]
	v_cndmask_b32_e64 v37, v1, 0, vcc
	v_cndmask_b32_e32 v36, v0, v20, vcc
	v_cmp_eq_u64_e32 vcc, 0, v[36:37]
	v_add_u32_e32 v0, 15, v36
	v_and_b32_e32 v0, 0x7ffffff0, v0
	s_or_b64 s[72:73], s[6:7], vcc
	v_max_i32_e32 v37, s49, v0
	s_xor_b64 s[20:21], s[72:73], -1
	v_mov_b32_e32 v0, v33
	s_and_saveexec_b64 s[74:75], s[20:21]
	s_cbranch_execz .LBB2_2316
; %bb.50:                               ;   in Loop: Header=BB2_49 Depth=1
	s_and_saveexec_b64 s[20:21], s[4:5]
	s_cbranch_execz .LBB2_52
; %bb.51:                               ;   in Loop: Header=BB2_49 Depth=1
	s_trap 2
	ds_read_b64 v[0:1], v0
	v_mov_b32_e32 v32, v33
	s_waitcnt lgkmcnt(0)
	v_add_co_u32_e32 v0, vcc, v0, v16
	v_addc_co_u32_e32 v1, vcc, v1, v17, vcc
	v_add_co_u32_e32 v0, vcc, v0, v34
	v_addc_co_u32_e32 v1, vcc, v1, v35, vcc
	ds_write_b64 v0, v[0:1]
	ds_write_b64 v0, v[32:33]
.LBB2_52:                               ;   in Loop: Header=BB2_49 Depth=1
	s_or_b64 exec, exec, s[20:21]
	v_and_b32_e32 v0, 12, v45
	v_min_u32_e32 v37, v37, v36
	v_cmp_ne_u32_e32 vcc, 0, v0
	s_and_saveexec_b64 s[22:23], vcc
	s_cbranch_execz .LBB2_76
; %bb.53:                               ;   in Loop: Header=BB2_49 Depth=1
	buffer_load_dword v6, off, s[0:3], s33 offset:60 ; 4-byte Folded Reload
	buffer_load_dword v7, off, s[0:3], s33 offset:64 ; 4-byte Folded Reload
	buffer_load_dword v8, off, s[0:3], s33 offset:68 ; 4-byte Folded Reload
	buffer_load_dword v9, off, s[0:3], s33 offset:72 ; 4-byte Folded Reload
	v_and_b32_e32 v0, 8, v45
	v_add_co_u32_e32 v4, vcc, v24, v0
	v_addc_co_u32_e32 v5, vcc, 0, v25, vcc
	s_waitcnt vmcnt(0)
	v_add_co_u32_e32 v10, vcc, 1, v8
	s_waitcnt vmcnt(0)
	v_addc_co_u32_e32 v11, vcc, 0, v9, vcc
	v_cmp_lt_u64_e32 vcc, v[4:5], v[10:11]
	s_and_saveexec_b64 s[76:77], vcc
	s_cbranch_execz .LBB2_65
; %bb.54:                               ;   in Loop: Header=BB2_49 Depth=1
	v_and_b32_e32 v1, 64, v45
	s_mov_b32 s65, 0
	v_cmp_eq_u32_e32 vcc, 0, v1
	s_mov_b64 s[78:79], 0
                                        ; implicit-def: $sgpr88_sgpr89
                                        ; implicit-def: $sgpr90_sgpr91
                                        ; implicit-def: $sgpr92_sgpr93
	s_branch .LBB2_57
.LBB2_55:                               ;   in Loop: Header=BB2_57 Depth=2
	s_or_b64 exec, exec, s[38:39]
	s_andn2_b64 s[20:21], s[92:93], exec
	s_and_b64 s[92:93], s[34:35], exec
	s_or_b64 s[92:93], s[20:21], s[92:93]
	s_andn2_b64 s[20:21], s[90:91], exec
	s_and_b64 s[90:91], s[30:31], exec
	s_or_b64 s[90:91], s[20:21], s[90:91]
.LBB2_56:                               ;   in Loop: Header=BB2_57 Depth=2
	s_or_b64 exec, exec, s[94:95]
	s_and_b64 s[20:21], exec, s[90:91]
	s_or_b64 s[78:79], s[20:21], s[78:79]
	s_andn2_b64 s[20:21], s[88:89], exec
	s_and_b64 s[88:89], s[92:93], exec
	s_or_b64 s[88:89], s[20:21], s[88:89]
	s_andn2_b64 exec, exec, s[78:79]
	s_cbranch_execz .LBB2_62
.LBB2_57:                               ;   Parent Loop BB2_49 Depth=1
                                        ; =>  This Inner Loop Header: Depth=2
	s_sleep 1
	s_waitcnt vmcnt(0) lgkmcnt(0)
	flat_load_dwordx2 v[24:25], v[18:19] glc
	s_or_b64 s[92:93], s[92:93], exec
	s_or_b64 s[90:91], s[90:91], exec
                                        ; implicit-def: $vgpr1
	s_and_saveexec_b64 s[94:95], vcc
	s_cbranch_execz .LBB2_56
; %bb.58:                               ;   in Loop: Header=BB2_57 Depth=2
	s_cmpk_lt_i32 s65, 0x270f
	s_cselect_b64 s[36:37], -1, 0
	s_cmpk_gt_i32 s65, 0x270e
	s_mov_b64 s[30:31], -1
	s_cbranch_scc0 .LBB2_60
; %bb.59:                               ;   in Loop: Header=BB2_57 Depth=2
	s_trap 2
	ds_read_b64 v[4:5], v0
	s_andn2_b64 s[36:37], s[36:37], exec
	s_mov_b32 s65, 0
	s_mov_b64 s[34:35], 0
	s_waitcnt vmcnt(0) lgkmcnt(0)
	flat_load_dword v1, v[4:5] glc
	s_waitcnt vmcnt(0) lgkmcnt(0)
	buffer_wbinvl1_vol
	v_cmp_eq_u32_e64 s[20:21], 0, v1
	s_and_b64 s[20:21], s[20:21], exec
	s_or_b64 s[36:37], s[36:37], s[20:21]
	s_and_saveexec_b64 s[38:39], s[36:37]
	s_cbranch_execz .LBB2_55
	s_branch .LBB2_61
.LBB2_60:                               ;   in Loop: Header=BB2_57 Depth=2
	s_add_i32 s65, s65, 1
	s_mov_b64 s[34:35], -1
                                        ; implicit-def: $vgpr1
	s_and_saveexec_b64 s[38:39], s[36:37]
	s_cbranch_execz .LBB2_55
.LBB2_61:                               ;   in Loop: Header=BB2_57 Depth=2
	s_waitcnt vmcnt(0) lgkmcnt(0)
	v_add_co_u32_e64 v4, s[20:21], v24, v0
	v_addc_co_u32_e64 v5, s[20:21], 0, v25, s[20:21]
	v_cmp_ge_u64_e64 s[20:21], v[4:5], v[10:11]
	s_or_b64 s[34:35], s[34:35], exec
	s_orn2_b64 s[30:31], s[20:21], exec
	s_branch .LBB2_55
.LBB2_62:                               ;   in Loop: Header=BB2_49 Depth=1
	s_or_b64 exec, exec, s[78:79]
	s_xor_b64 s[20:21], s[88:89], -1
	s_and_saveexec_b64 s[78:79], s[20:21]
	s_xor_b64 s[20:21], exec, s[78:79]
	s_cbranch_execz .LBB2_64
; %bb.63:                               ;   in Loop: Header=BB2_49 Depth=1
	v_or_b32_e32 v45, 64, v45
	s_waitcnt lgkmcnt(0)
	ds_write_b32 v0, v1
	s_trap 2
.LBB2_64:                               ;   in Loop: Header=BB2_49 Depth=1
	s_or_b64 exec, exec, s[20:21]
.LBB2_65:                               ;   in Loop: Header=BB2_49 Depth=1
	s_or_b64 exec, exec, s[76:77]
	;;#ASMSTART
	s_wakeup
	;;#ASMEND
	buffer_load_dword v4, off, s[0:3], s33 offset:60 ; 4-byte Folded Reload
	buffer_load_dword v5, off, s[0:3], s33 offset:64 ; 4-byte Folded Reload
	;; [unrolled: 1-line block ×4, first 2 shown]
	v_and_b32_e32 v1, 0x108, v45
	v_cmp_ne_u32_e32 vcc, s50, v1
	s_waitcnt vmcnt(0)
	v_and_b32_e32 v1, 7, v6
	s_and_saveexec_b64 s[20:21], vcc
	s_xor_b64 s[20:21], exec, s[20:21]
	s_andn2_saveexec_b64 s[20:21], s[20:21]
	s_cbranch_execz .LBB2_67
; %bb.66:                               ;   in Loop: Header=BB2_49 Depth=1
	buffer_load_dword v4, off, s[0:3], s33 offset:60 ; 4-byte Folded Reload
	buffer_load_dword v5, off, s[0:3], s33 offset:64 ; 4-byte Folded Reload
	;; [unrolled: 1-line block ×4, first 2 shown]
	v_mov_b32_e32 v38, v33
	s_waitcnt vmcnt(0)
	v_mad_u64_u32 v[4:5], s[76:77], v1, 24, v[4:5]
	flat_store_dwordx2 v[4:5], v[37:38] offset:8
.LBB2_67:                               ;   in Loop: Header=BB2_49 Depth=1
	s_or_b64 exec, exec, s[20:21]
	v_and_b32_e32 v4, 0x100, v45
	v_cmp_ne_u32_e32 vcc, 0, v4
	s_mov_b64 s[20:21], -1
                                        ; implicit-def: $vgpr8_vgpr9
	s_and_saveexec_b64 s[76:77], vcc
	s_cbranch_execz .LBB2_71
; %bb.68:                               ;   in Loop: Header=BB2_49 Depth=1
	buffer_load_dword v4, off, s[0:3], s33 offset:60 ; 4-byte Folded Reload
	buffer_load_dword v5, off, s[0:3], s33 offset:64 ; 4-byte Folded Reload
	;; [unrolled: 1-line block ×4, first 2 shown]
                                        ; implicit-def: $vgpr8_vgpr9
	s_waitcnt vmcnt(0)
	v_mad_u64_u32 v[12:13], s[20:21], v1, 24, v[4:5]
	v_mov_b32_e32 v4, v13
	v_mad_u64_u32 v[4:5], s[20:21], v33, 24, v[4:5]
	v_mov_b32_e32 v13, v4
	flat_load_dword v4, v[12:13]
	s_waitcnt vmcnt(0) lgkmcnt(0)
	v_cmp_ne_u32_e32 vcc, 1, v4
	v_cmp_eq_u32_e64 s[20:21], 1, v4
	s_and_saveexec_b64 s[78:79], s[20:21]
	s_cbranch_execz .LBB2_70
; %bb.69:                               ;   in Loop: Header=BB2_49 Depth=1
	flat_load_dword v8, v[12:13] offset:4 glc
	s_waitcnt vmcnt(0) lgkmcnt(0)
	v_ashrrev_i32_e32 v9, 31, v8
.LBB2_70:                               ;   in Loop: Header=BB2_49 Depth=1
	s_or_b64 exec, exec, s[78:79]
	s_orn2_b64 s[20:21], vcc, exec
.LBB2_71:                               ;   in Loop: Header=BB2_49 Depth=1
	s_or_b64 exec, exec, s[76:77]
	s_and_saveexec_b64 s[76:77], s[20:21]
	s_cbranch_execz .LBB2_73
; %bb.72:                               ;   in Loop: Header=BB2_49 Depth=1
	buffer_load_dword v6, off, s[0:3], s33 offset:152 ; 4-byte Folded Reload
	v_mul_lo_u32 v5, v1, v61
	s_waitcnt vmcnt(0)
	v_mul_lo_u32 v4, v33, v6
	v_mad_u64_u32 v[8:9], s[20:21], v1, v6, 0
	v_add3_u32 v9, v9, v5, v4
.LBB2_73:                               ;   in Loop: Header=BB2_49 Depth=1
	s_or_b64 exec, exec, s[76:77]
	v_cmp_eq_u32_e32 vcc, 0, v0
	v_mov_b32_e32 v0, 0xc8
	v_mov_b32_e32 v1, 0x90
	v_cndmask_b32_e32 v4, v0, v1, vcc
	buffer_load_dword v0, off, s[0:3], s33 offset:120 ; 4-byte Folded Reload
	buffer_load_dword v1, off, s[0:3], s33 offset:124 ; 4-byte Folded Reload
	s_waitcnt vmcnt(0)
	v_add_co_u32_e32 v0, vcc, v0, v8
	v_addc_co_u32_e32 v1, vcc, v1, v9, vcc
	v_add_u32_e32 v4, v0, v4
	ds_write_b64 v4, v[0:1] offset:584
	v_and_b32_e32 v0, 0x2000, v45
	v_cmp_ne_u32_e32 vcc, 0, v0
	s_and_saveexec_b64 s[20:21], vcc
	s_cbranch_execz .LBB2_75
; %bb.74:                               ;   in Loop: Header=BB2_49 Depth=1
	ds_read_b64 v[0:1], v0 offset:872
	s_waitcnt lgkmcnt(0)
	v_add_co_u32_e32 v0, vcc, 1, v0
	v_addc_co_u32_e32 v1, vcc, 0, v1, vcc
	ds_write_b64 v0, v[0:1] offset:872
.LBB2_75:                               ;   in Loop: Header=BB2_49 Depth=1
	s_or_b64 exec, exec, s[20:21]
	buffer_load_dword v4, off, s[0:3], s33 offset:60 ; 4-byte Folded Reload
	buffer_load_dword v5, off, s[0:3], s33 offset:64 ; 4-byte Folded Reload
	;; [unrolled: 1-line block ×4, first 2 shown]
	s_waitcnt vmcnt(0)
	v_mov_b32_e32 v6, v10
	v_mov_b32_e32 v7, v11
	buffer_store_dword v4, off, s[0:3], s33 offset:60 ; 4-byte Folded Spill
	s_nop 0
	buffer_store_dword v5, off, s[0:3], s33 offset:64 ; 4-byte Folded Spill
	buffer_store_dword v6, off, s[0:3], s33 offset:68 ; 4-byte Folded Spill
	buffer_store_dword v7, off, s[0:3], s33 offset:72 ; 4-byte Folded Spill
.LBB2_76:                               ;   in Loop: Header=BB2_49 Depth=1
	s_or_b64 exec, exec, s[22:23]
	s_and_saveexec_b64 s[20:21], s[10:11]
	s_cbranch_execz .LBB2_95
; %bb.77:                               ;   in Loop: Header=BB2_49 Depth=1
	s_and_saveexec_b64 s[22:23], s[42:43]
	s_xor_b64 s[22:23], exec, s[22:23]
	s_cbranch_execz .LBB2_92
; %bb.78:                               ;   in Loop: Header=BB2_49 Depth=1
	s_and_saveexec_b64 s[76:77], s[12:13]
	s_cbranch_execz .LBB2_91
; %bb.79:                               ;   in Loop: Header=BB2_49 Depth=1
	s_mov_b64 s[88:89], exec
	v_mbcnt_lo_u32_b32 v0, s88, 0
	v_mbcnt_hi_u32_b32 v0, s89, v0
	v_cmp_eq_u32_e32 vcc, 0, v0
	s_waitcnt vmcnt(0) lgkmcnt(0)
	buffer_wbinvl1_vol
	s_and_saveexec_b64 s[78:79], vcc
	s_cbranch_execz .LBB2_81
; %bb.80:                               ;   in Loop: Header=BB2_49 Depth=1
	s_bcnt1_i32_b64 s88, s[88:89]
	v_mov_b32_e32 v32, s88
	ds_add_u64 v0, v[32:33]
	s_trap 2
.LBB2_81:                               ;   in Loop: Header=BB2_49 Depth=1
	s_or_b64 exec, exec, s[78:79]
	s_trap 2
	ds_read_b64 v[0:1], v0
	s_waitcnt lgkmcnt(0)
	buffer_load_dword v4, off, s[0:3], s33 offset:76 ; 4-byte Folded Reload
	buffer_load_dword v5, off, s[0:3], s33 offset:80 ; 4-byte Folded Reload
	s_waitcnt vmcnt(1)
	v_add_co_u32_e32 v4, vcc, v4, v56
	s_waitcnt vmcnt(0)
	v_addc_co_u32_e32 v5, vcc, 0, v5, vcc
	buffer_store_dword v4, off, s[0:3], s33 offset:76 ; 4-byte Folded Spill
	s_nop 0
	buffer_store_dword v5, off, s[0:3], s33 offset:80 ; 4-byte Folded Spill
	v_cmp_lt_u64_e32 vcc, v[0:1], v[4:5]
	s_and_saveexec_b64 s[78:79], vcc
	s_cbranch_execz .LBB2_90
; %bb.82:                               ;   in Loop: Header=BB2_49 Depth=1
	s_mov_b32 s34, 0
	s_mov_b64 s[88:89], 0
                                        ; implicit-def: $sgpr90_sgpr91
                                        ; implicit-def: $sgpr92_sgpr93
	s_branch .LBB2_84
.LBB2_83:                               ;   in Loop: Header=BB2_84 Depth=2
	s_or_b64 exec, exec, s[30:31]
	s_and_b64 s[94:95], exec, vcc
	s_or_b64 s[88:89], s[94:95], s[88:89]
	s_andn2_b64 s[90:91], s[90:91], exec
	s_and_b64 s[94:95], s[92:93], exec
	s_or_b64 s[90:91], s[90:91], s[94:95]
	s_andn2_b64 exec, exec, s[88:89]
	s_cbranch_execz .LBB2_88
.LBB2_84:                               ;   Parent Loop BB2_49 Depth=1
                                        ; =>  This Inner Loop Header: Depth=2
	s_add_i32 s34, s34, 1
	s_cmpk_lg_i32 s34, 0x2710
	s_cselect_b64 s[94:95], -1, 0
	s_and_b64 vcc, exec, s[94:95]
	s_cbranch_vccz .LBB2_86
; %bb.85:                               ;   in Loop: Header=BB2_84 Depth=2
	s_mov_b64 vcc, -1
	s_or_b64 s[92:93], s[92:93], exec
	s_and_saveexec_b64 s[30:31], s[94:95]
	s_cbranch_execz .LBB2_83
	s_branch .LBB2_87
.LBB2_86:                               ;   in Loop: Header=BB2_84 Depth=2
	s_trap 2
	ds_read_b64 v[0:1], v0
	s_andn2_b64 s[94:95], s[94:95], exec
	s_mov_b32 s34, 0
	s_waitcnt vmcnt(0) lgkmcnt(0)
	flat_load_dword v0, v[0:1] glc
	s_waitcnt vmcnt(0) lgkmcnt(0)
	buffer_wbinvl1_vol
	v_cmp_eq_u32_e32 vcc, 0, v0
	s_and_b64 vcc, vcc, exec
	s_or_b64 s[94:95], s[94:95], vcc
	s_mov_b64 vcc, -1
	s_or_b64 s[92:93], s[92:93], exec
	s_and_saveexec_b64 s[30:31], s[94:95]
	s_cbranch_execz .LBB2_83
.LBB2_87:                               ;   in Loop: Header=BB2_84 Depth=2
	s_sleep 1
	s_trap 2
	ds_read_b64 v[0:1], v0
	s_waitcnt lgkmcnt(0)
	buffer_load_dword v4, off, s[0:3], s33 offset:76 ; 4-byte Folded Reload
	buffer_load_dword v5, off, s[0:3], s33 offset:80 ; 4-byte Folded Reload
	s_andn2_b64 s[92:93], s[92:93], exec
	s_waitcnt vmcnt(0)
	v_cmp_ge_u64_e32 vcc, v[0:1], v[4:5]
	s_orn2_b64 vcc, vcc, exec
	s_branch .LBB2_83
.LBB2_88:                               ;   in Loop: Header=BB2_49 Depth=1
	s_or_b64 exec, exec, s[88:89]
	s_and_saveexec_b64 s[88:89], s[90:91]
	s_xor_b64 s[88:89], exec, s[88:89]
	s_cbranch_execz .LBB2_90
; %bb.89:                               ;   in Loop: Header=BB2_49 Depth=1
	ds_write_b32 v0, v55
	s_trap 2
.LBB2_90:                               ;   in Loop: Header=BB2_49 Depth=1
	s_or_b64 exec, exec, s[78:79]
	;;#ASMSTART
	s_wakeup
	;;#ASMEND
.LBB2_91:                               ;   in Loop: Header=BB2_49 Depth=1
	s_or_b64 exec, exec, s[76:77]
.LBB2_92:                               ;   in Loop: Header=BB2_49 Depth=1
	s_andn2_saveexec_b64 s[22:23], s[22:23]
	s_cbranch_execz .LBB2_94
; %bb.93:                               ;   in Loop: Header=BB2_49 Depth=1
	s_waitcnt vmcnt(0) lgkmcnt(0)
	buffer_wbinvl1_vol
	s_barrier
.LBB2_94:                               ;   in Loop: Header=BB2_49 Depth=1
	s_or_b64 exec, exec, s[22:23]
.LBB2_95:                               ;   in Loop: Header=BB2_49 Depth=1
	s_or_b64 exec, exec, s[20:21]
	s_trap 2
	ds_read_b32 v0, v0
	v_and_b32_e32 v1, 0x4000, v45
	v_cmp_ne_u32_e32 vcc, 0, v1
	s_and_b64 s[22:23], s[46:47], vcc
	s_and_saveexec_b64 s[20:21], s[22:23]
	s_cbranch_execz .LBB2_114
; %bb.96:                               ;   in Loop: Header=BB2_49 Depth=1
	s_and_saveexec_b64 s[22:23], s[42:43]
	s_xor_b64 s[22:23], exec, s[22:23]
	s_cbranch_execz .LBB2_111
; %bb.97:                               ;   in Loop: Header=BB2_49 Depth=1
	s_and_saveexec_b64 s[76:77], s[12:13]
	s_cbranch_execz .LBB2_110
; %bb.98:                               ;   in Loop: Header=BB2_49 Depth=1
	s_mov_b64 s[88:89], exec
	v_mbcnt_lo_u32_b32 v1, s88, 0
	v_mbcnt_hi_u32_b32 v1, s89, v1
	v_cmp_eq_u32_e32 vcc, 0, v1
	s_waitcnt vmcnt(0) lgkmcnt(0)
	buffer_wbinvl1_vol
	s_and_saveexec_b64 s[78:79], vcc
	s_cbranch_execz .LBB2_100
; %bb.99:                               ;   in Loop: Header=BB2_49 Depth=1
	s_bcnt1_i32_b64 s88, s[88:89]
	v_mov_b32_e32 v32, s88
	ds_add_u64 v0, v[32:33]
	s_trap 2
.LBB2_100:                              ;   in Loop: Header=BB2_49 Depth=1
	s_or_b64 exec, exec, s[78:79]
	s_trap 2
	ds_read_b64 v[4:5], v0
	s_waitcnt lgkmcnt(0)
	buffer_load_dword v6, off, s[0:3], s33 offset:76 ; 4-byte Folded Reload
	buffer_load_dword v7, off, s[0:3], s33 offset:80 ; 4-byte Folded Reload
	s_waitcnt vmcnt(1)
	v_add_co_u32_e32 v6, vcc, v6, v56
	s_waitcnt vmcnt(0)
	v_addc_co_u32_e32 v7, vcc, 0, v7, vcc
	buffer_store_dword v6, off, s[0:3], s33 offset:76 ; 4-byte Folded Spill
	s_nop 0
	buffer_store_dword v7, off, s[0:3], s33 offset:80 ; 4-byte Folded Spill
	v_cmp_lt_u64_e32 vcc, v[4:5], v[6:7]
	s_and_saveexec_b64 s[78:79], vcc
	s_cbranch_execz .LBB2_109
; %bb.101:                              ;   in Loop: Header=BB2_49 Depth=1
	s_mov_b32 s34, 0
	s_mov_b64 s[88:89], 0
                                        ; implicit-def: $sgpr90_sgpr91
                                        ; implicit-def: $sgpr92_sgpr93
	s_branch .LBB2_103
.LBB2_102:                              ;   in Loop: Header=BB2_103 Depth=2
	s_or_b64 exec, exec, s[30:31]
	s_and_b64 s[94:95], exec, vcc
	s_or_b64 s[88:89], s[94:95], s[88:89]
	s_andn2_b64 s[90:91], s[90:91], exec
	s_and_b64 s[94:95], s[92:93], exec
	s_or_b64 s[90:91], s[90:91], s[94:95]
	s_andn2_b64 exec, exec, s[88:89]
	s_cbranch_execz .LBB2_107
.LBB2_103:                              ;   Parent Loop BB2_49 Depth=1
                                        ; =>  This Inner Loop Header: Depth=2
	s_add_i32 s34, s34, 1
	s_cmpk_lg_i32 s34, 0x2710
	s_cselect_b64 s[94:95], -1, 0
	s_and_b64 vcc, exec, s[94:95]
	s_cbranch_vccz .LBB2_105
; %bb.104:                              ;   in Loop: Header=BB2_103 Depth=2
	s_mov_b64 vcc, -1
	s_or_b64 s[92:93], s[92:93], exec
	s_and_saveexec_b64 s[30:31], s[94:95]
	s_cbranch_execz .LBB2_102
	s_branch .LBB2_106
.LBB2_105:                              ;   in Loop: Header=BB2_103 Depth=2
	s_trap 2
	ds_read_b64 v[4:5], v0
	s_andn2_b64 s[94:95], s[94:95], exec
	s_mov_b32 s34, 0
	s_waitcnt vmcnt(0) lgkmcnt(0)
	flat_load_dword v1, v[4:5] glc
	s_waitcnt vmcnt(0) lgkmcnt(0)
	buffer_wbinvl1_vol
	v_cmp_eq_u32_e32 vcc, 0, v1
	s_and_b64 vcc, vcc, exec
	s_or_b64 s[94:95], s[94:95], vcc
	s_mov_b64 vcc, -1
	s_or_b64 s[92:93], s[92:93], exec
	s_and_saveexec_b64 s[30:31], s[94:95]
	s_cbranch_execz .LBB2_102
.LBB2_106:                              ;   in Loop: Header=BB2_103 Depth=2
	s_sleep 1
	s_trap 2
	ds_read_b64 v[4:5], v0
	s_waitcnt lgkmcnt(0)
	buffer_load_dword v6, off, s[0:3], s33 offset:76 ; 4-byte Folded Reload
	buffer_load_dword v7, off, s[0:3], s33 offset:80 ; 4-byte Folded Reload
	s_andn2_b64 s[92:93], s[92:93], exec
	s_waitcnt vmcnt(0)
	v_cmp_ge_u64_e32 vcc, v[4:5], v[6:7]
	s_orn2_b64 vcc, vcc, exec
	s_branch .LBB2_102
.LBB2_107:                              ;   in Loop: Header=BB2_49 Depth=1
	s_or_b64 exec, exec, s[88:89]
	s_and_saveexec_b64 s[88:89], s[90:91]
	s_xor_b64 s[88:89], exec, s[88:89]
	s_cbranch_execz .LBB2_109
; %bb.108:                              ;   in Loop: Header=BB2_49 Depth=1
	ds_write_b32 v0, v55
	s_trap 2
.LBB2_109:                              ;   in Loop: Header=BB2_49 Depth=1
	s_or_b64 exec, exec, s[78:79]
	;;#ASMSTART
	s_wakeup
	;;#ASMEND
.LBB2_110:                              ;   in Loop: Header=BB2_49 Depth=1
	s_or_b64 exec, exec, s[76:77]
.LBB2_111:                              ;   in Loop: Header=BB2_49 Depth=1
	s_andn2_saveexec_b64 s[22:23], s[22:23]
	s_cbranch_execz .LBB2_113
; %bb.112:                              ;   in Loop: Header=BB2_49 Depth=1
	s_waitcnt vmcnt(0) lgkmcnt(0)
	buffer_wbinvl1_vol
	s_barrier
.LBB2_113:                              ;   in Loop: Header=BB2_49 Depth=1
	s_or_b64 exec, exec, s[22:23]
.LBB2_114:                              ;   in Loop: Header=BB2_49 Depth=1
	s_or_b64 exec, exec, s[20:21]
	s_trap 2
	s_waitcnt lgkmcnt(0)
	ds_read_b64 v[8:9], v0
	s_waitcnt lgkmcnt(0)
	v_cmp_eq_u64_e32 vcc, 0, v[8:9]
	s_cbranch_vccnz .LBB2_122
; %bb.115:                              ;   in Loop: Header=BB2_49 Depth=1
	s_trap 2
	ds_read_b64 v[6:7], v0
	s_waitcnt lgkmcnt(0)
	v_cmp_eq_u64_e32 vcc, 0, v[6:7]
	s_cbranch_vccnz .LBB2_122
; %bb.116:                              ;   in Loop: Header=BB2_49 Depth=1
	s_mov_b64 s[20:21], -1
	s_and_saveexec_b64 s[22:23], s[14:15]
	s_cbranch_execz .LBB2_118
; %bb.117:                              ;   in Loop: Header=BB2_49 Depth=1
	ds_read_b32 v1, v0 offset:720
	s_waitcnt lgkmcnt(0)
	v_and_b32_e32 v1, 15, v1
	v_cmp_eq_u32_e32 vcc, 0, v1
	s_orn2_b64 s[20:21], vcc, exec
.LBB2_118:                              ;   in Loop: Header=BB2_49 Depth=1
	s_or_b64 exec, exec, s[22:23]
	s_and_saveexec_b64 s[22:23], s[16:17]
	s_cbranch_execz .LBB2_120
; %bb.119:                              ;   in Loop: Header=BB2_49 Depth=1
	ds_read_b32 v1, v0 offset:784
	s_waitcnt lgkmcnt(0)
	v_and_b32_e32 v1, 15, v1
	v_cmp_eq_u32_e32 vcc, 0, v1
	s_and_b64 s[76:77], s[20:21], vcc
	s_andn2_b64 s[20:21], s[20:21], exec
	s_and_b64 s[76:77], s[76:77], exec
	s_or_b64 s[20:21], s[20:21], s[76:77]
.LBB2_120:                              ;   in Loop: Header=BB2_49 Depth=1
	s_or_b64 exec, exec, s[22:23]
	buffer_load_dword v14, off, s[0:3], s33 offset:164 ; 4-byte Folded Reload
	v_cmp_eq_u32_e32 vcc, 0, v0
	s_xor_b64 s[20:21], s[20:21], -1
	v_cndmask_b32_e32 v1, 0, v37, vcc
	v_cndmask_b32_e64 v0, 0, 1, s[20:21]
	buffer_store_dword v45, off, s[0:3], s33 offset:176 ; 4-byte Folded Spill
	s_mov_b64 s[76:77], -1
	v_cmp_ne_u32_e32 vcc, 0, v0
	v_mov_b32_e32 v5, 0
	v_mov_b32_e32 v45, v1
	;; [unrolled: 1-line block ×3, first 2 shown]
	s_cbranch_vccz .LBB2_123
; %bb.121:                              ;   in Loop: Header=BB2_49 Depth=1
	s_and_saveexec_b64 s[22:23], s[76:77]
	s_cbranch_execnz .LBB2_1750
	s_branch .LBB2_2290
.LBB2_122:                              ;   in Loop: Header=BB2_49 Depth=1
	s_mov_b64 s[20:21], 0
	s_and_saveexec_b64 s[22:23], s[10:11]
	s_cbranch_execnz .LBB2_2291
	s_branch .LBB2_2309
.LBB2_123:                              ;   in Loop: Header=BB2_49 Depth=1
	v_mov_b32_e32 v1, v45
	v_sub_u32_e32 v58, v1, v54
	v_lshrrev_b32_e32 v0, 10, v1
	v_and_b32_e32 v4, 0x3ff, v1
	buffer_load_dword v1, off, s[0:3], s33 offset:164 ; 4-byte Folded Reload
	v_cmp_lt_u32_e64 s[20:21], 15, v4
	s_waitcnt vmcnt(0)
	v_lshrrev_b32_e32 v1, 6, v1
	v_sub_u32_e32 v0, v0, v1
	v_addc_co_u32_e64 v16, vcc, 0, v0, s[20:21]
	v_cmp_lt_i32_e32 vcc, 15, v58
	s_and_saveexec_b64 s[76:77], vcc
	s_cbranch_execz .LBB2_935
; %bb.124:                              ;   in Loop: Header=BB2_49 Depth=1
	buffer_store_dword v4, off, s[0:3], s33 offset:84 ; 4-byte Folded Spill
	s_trap 2
	ds_read_b64 v[0:1], v0
	v_add_co_u32_e32 v50, vcc, v8, v54
	buffer_store_dword v8, off, s[0:3], s33 offset:128 ; 4-byte Folded Spill
	s_nop 0
	buffer_store_dword v9, off, s[0:3], s33 offset:132 ; 4-byte Folded Spill
	s_waitcnt lgkmcnt(0)
	v_readfirstlane_b32 s22, v0
	s_and_b32 s23, s22, 7
	s_flbit_i32_b32 s23, s23
	s_min_u32 s23, s23, 32
	s_and_b32 s78, s22, 0x7f
	s_bfe_u32 s79, s22, 0x40003
	s_sub_i32 s88, s23, 28
	s_sub_i32 s23, 29, s23
	s_cmp_lt_u32 s78, 8
	s_cselect_b32 s88, s88, 0
	s_cselect_b32 s23, s23, s79
	s_lshl_b32 s79, s22, 24
	s_lshl_b32 s23, s23, 23
	s_and_b32 s79, s79, 0x80000000
	s_add_i32 s23, s23, 0x3c000000
	s_or_b32 s23, s79, s23
	s_cmpk_lg_i32 s78, 0x7f
	s_mov_b64 s[78:79], 0
	v_addc_co_u32_e32 v51, vcc, 0, v9, vcc
	v_add_co_u32_e32 v52, vcc, v0, v54
	v_addc_co_u32_e32 v53, vcc, 0, v1, vcc
	v_add_co_u32_e32 v54, vcc, v6, v54
	buffer_store_dword v6, off, s[0:3], s33 offset:112 ; 4-byte Folded Spill
	s_nop 0
	buffer_store_dword v7, off, s[0:3], s33 offset:116 ; 4-byte Folded Spill
	v_lshlrev_b64 v[0:1], s88, v[0:1]
	v_lshlrev_b32_e32 v0, 20, v0
	v_and_b32_e32 v0, 0x700000, v0
	v_or_b32_e32 v0, s23, v0
	v_addc_co_u32_e32 v55, vcc, 0, v7, vcc
	s_cselect_b64 vcc, -1, 0
	v_cndmask_b32_e32 v62, v2, v0, vcc
	s_and_b32 s30, s22, 0xff
	s_branch .LBB2_126
.LBB2_125:                              ;   in Loop: Header=BB2_126 Depth=2
	s_or_b64 exec, exec, s[22:23]
	v_lshl_or_b32 v6, v48, 8, v29
	v_lshlrev_b32_e32 v7, 16, v49
	v_lshlrev_b32_e32 v8, 24, v30
	v_or3_b32 v7, v6, v7, v8
	v_lshl_or_b32 v0, v14, 8, v0
	v_lshlrev_b32_e32 v6, 16, v17
	v_lshlrev_b32_e32 v8, 24, v38
	v_add_co_u32_e32 v50, vcc, v50, v59
	v_or3_b32 v6, v0, v6, v8
	v_lshl_or_b32 v0, v21, 8, v15
	v_lshlrev_b32_e32 v8, 16, v26
	v_lshlrev_b32_e32 v4, 24, v4
	v_addc_co_u32_e32 v51, vcc, 0, v51, vcc
	v_or3_b32 v8, v0, v8, v4
	v_lshlrev_b32_e32 v0, 24, v10
	v_lshlrev_b32_e32 v4, 16, v20
	v_lshl_or_b32 v1, v5, 8, v1
	v_add_co_u32_e32 v52, vcc, v52, v59
	v_or3_b32 v9, v1, v4, v0
	v_addc_co_u32_e32 v53, vcc, 0, v53, vcc
	global_store_dwordx4 v[54:55], v[6:9], off glc slc
	v_add_co_u32_e32 v54, vcc, v54, v59
	v_addc_co_u32_e32 v55, vcc, 0, v55, vcc
	v_sub_u32_e32 v58, v58, v59
	v_cmp_gt_i32_e32 vcc, 16, v58
	s_or_b64 s[78:79], vcc, s[78:79]
	v_sub_u32_e32 v16, v16, v56
	s_andn2_b64 exec, exec, s[78:79]
	s_cbranch_execz .LBB2_934
.LBB2_126:                              ;   Parent Loop BB2_49 Depth=1
                                        ; =>  This Inner Loop Header: Depth=2
	s_cmpk_lt_i32 s30, 0x80
	s_cbranch_scc1 .LBB2_130
; %bb.127:                              ;   in Loop: Header=BB2_126 Depth=2
	s_and_b32 s88, 0xffff, s30
	s_mov_b64 s[22:23], -1
	s_cmpk_eq_i32 s88, 0x80
	s_cbranch_scc0 .LBB2_129
; %bb.128:                              ;   in Loop: Header=BB2_126 Depth=2
	s_mov_b64 s[22:23], 0
.LBB2_129:                              ;   in Loop: Header=BB2_126 Depth=2
	s_brev_b32 s90, 1
	s_branch .LBB2_132
.LBB2_130:                              ;   in Loop: Header=BB2_126 Depth=2
	s_mov_b64 s[22:23], 0
	s_brev_b32 s90, 1
	s_cbranch_execz .LBB2_132
; %bb.131:                              ;   in Loop: Header=BB2_126 Depth=2
	s_and_b32 s22, 0xffff, s30
	s_cmp_lg_u32 s22, 0
	s_mov_b32 s90, 0
	s_cselect_b64 s[22:23], -1, 0
.LBB2_132:                              ;   in Loop: Header=BB2_126 Depth=2
	s_andn2_b64 vcc, exec, s[22:23]
	v_mov_b32_e32 v14, s90
	s_cbranch_vccnz .LBB2_134
; %bb.133:                              ;   in Loop: Header=BB2_126 Depth=2
	v_mov_b32_e32 v14, v62
.LBB2_134:                              ;   in Loop: Header=BB2_126 Depth=2
	global_load_dwordx4 v[10:13], v[50:51], off glc slc
	v_mov_b32_e32 v0, 0
	s_waitcnt vmcnt(0)
	v_cmp_ne_u16_sdwa s[88:89], v10, v33 src0_sel:BYTE_0 src1_sel:DWORD
	s_and_saveexec_b64 s[22:23], s[88:89]
	s_cbranch_execz .LBB2_140
; %bb.135:                              ;   in Loop: Header=BB2_126 Depth=2
	v_cmp_ne_u16_sdwa s[90:91], v10, s53 src0_sel:BYTE_0 src1_sel:DWORD
	v_bfrev_b32_e32 v0, 1
	s_and_saveexec_b64 s[88:89], s[90:91]
	s_cbranch_execz .LBB2_139
; %bb.136:                              ;   in Loop: Header=BB2_126 Depth=2
	v_and_b32_e32 v1, 0x7f, v10
	v_cmp_ne_u32_e32 vcc, s51, v1
	v_mov_b32_e32 v0, 0x7f800001
	s_and_saveexec_b64 s[90:91], vcc
	s_cbranch_execz .LBB2_138
; %bb.137:                              ;   in Loop: Header=BB2_126 Depth=2
	v_and_b32_e32 v0, 7, v10
	v_ffbh_u32_e32 v0, v0
	v_min_u32_e32 v0, 32, v0
	v_lshrrev_b32_e32 v4, 3, v1
	v_cmp_gt_u32_e32 vcc, 8, v1
	v_subrev_u32_e32 v1, 28, v0
	v_sub_u32_e32 v0, 29, v0
	v_cndmask_b32_e32 v4, v4, v0, vcc
	v_cndmask_b32_e32 v0, 0, v1, vcc
	v_lshlrev_b64 v[0:1], v0, v[10:11]
	v_lshlrev_b32_e32 v1, 24, v10
	v_lshlrev_b32_e32 v0, 20, v0
	v_and_b32_e32 v0, 0x700000, v0
	v_and_b32_e32 v1, 0x80000000, v1
	v_lshl_add_u32 v4, v4, 23, v3
	v_or3_b32 v0, v1, v4, v0
.LBB2_138:                              ;   in Loop: Header=BB2_126 Depth=2
	s_or_b64 exec, exec, s[90:91]
.LBB2_139:                              ;   in Loop: Header=BB2_126 Depth=2
	s_or_b64 exec, exec, s[88:89]
.LBB2_140:                              ;   in Loop: Header=BB2_126 Depth=2
	s_or_b64 exec, exec, s[22:23]
	v_mul_f32_e32 v4, v14, v0
	v_and_b32_e32 v32, 0x7f800000, v4
	v_cmp_ne_u64_e32 vcc, s[56:57], v[32:33]
                                        ; implicit-def: $vgpr0
	s_and_saveexec_b64 s[22:23], vcc
	s_xor_b64 s[88:89], exec, s[22:23]
	s_cbranch_execz .LBB2_154
; %bb.141:                              ;   in Loop: Header=BB2_126 Depth=2
	v_and_b32_e32 v32, 0x7fffffff, v4
	v_cmp_gt_u64_e32 vcc, s[58:59], v[32:33]
	v_and_b32_sdwa v1, v4, s53 dst_sel:DWORD dst_unused:UNUSED_PAD src0_sel:BYTE_3 src1_sel:DWORD
                                        ; implicit-def: $vgpr0
	s_and_saveexec_b64 s[22:23], vcc
	s_xor_b64 s[90:91], exec, s[22:23]
	s_cbranch_execz .LBB2_151
; %bb.142:                              ;   in Loop: Header=BB2_126 Depth=2
	v_mov_b32_e32 v0, 0
	v_cmp_ne_u32_e32 vcc, 0, v4
	s_and_saveexec_b64 s[92:93], vcc
	s_cbranch_execz .LBB2_150
; %bb.143:                              ;   in Loop: Header=BB2_126 Depth=2
	v_bfe_u32 v0, v4, 23, 8
	v_and_b32_e32 v5, 0x7fffff, v4
	v_cmp_gt_u32_e64 s[22:23], s54, v0
	v_sub_u32_e32 v4, 0x79, v0
	v_cmp_eq_u32_e32 vcc, 0, v0
	v_cndmask_b32_e64 v4, 0, v4, s[22:23]
	v_or_b32_e32 v6, 0x800000, v5
	v_cndmask_b32_e32 v4, v4, v47, vcc
	v_cndmask_b32_e32 v32, v6, v5, vcc
	v_add_u32_e32 v5, 20, v4
	v_lshlrev_b64 v[5:6], v5, -1
	v_add_u32_e32 v7, 19, v4
	v_lshlrev_b64 v[7:8], v7, 1
	v_lshrrev_b64 v[40:41], v4, v[32:33]
	v_bfi_b32 v6, v6, 0, 0
	v_bfi_b32 v5, v5, 0, v32
	v_cmp_eq_u64_e64 s[22:23], v[5:6], v[7:8]
	v_mov_b32_e32 v42, v41
	v_mov_b32_e32 v41, v40
	s_and_saveexec_b64 s[94:95], s[22:23]
; %bb.144:                              ;   in Loop: Header=BB2_126 Depth=2
	v_bfe_u32 v5, v40, 20, 1
	v_add_co_u32_e64 v5, s[22:23], v40, v5
	v_add_co_u32_e64 v41, s[22:23], -1, v5
; %bb.145:                              ;   in Loop: Header=BB2_126 Depth=2
	s_or_b64 exec, exec, s[94:95]
	v_add_u32_e32 v0, 0xffffff81, v0
	v_cndmask_b32_e32 v0, v0, v44, vcc
	v_lshrrev_b32_e32 v5, 23, v40
	v_add3_u32 v5, v4, v0, v5
	v_add_u32_e32 v4, 6, v5
	v_and_b32_e32 v0, 0xfffff, v41
	v_add_u32_e32 v32, v0, v40
	v_cmp_ne_u32_e32 vcc, 0, v4
                                        ; implicit-def: $vgpr40_vgpr41
                                        ; implicit-def: $vgpr0
	s_and_saveexec_b64 s[22:23], vcc
	s_xor_b64 s[22:23], exec, s[22:23]
; %bb.146:                              ;   in Loop: Header=BB2_126 Depth=2
	v_cmp_lt_u64_e32 vcc, s[60:61], v[32:33]
	v_add_u32_e32 v0, 7, v5
	v_cndmask_b32_e32 v0, v4, v0, vcc
	v_cndmask_b32_e64 v4, 0, 1, vcc
	v_lshrrev_b64 v[40:41], v4, v[32:33]
; %bb.147:                              ;   in Loop: Header=BB2_126 Depth=2
	s_andn2_saveexec_b64 s[22:23], s[22:23]
; %bb.148:                              ;   in Loop: Header=BB2_126 Depth=2
	v_mov_b32_e32 v41, v33
	v_bfe_u32 v0, v32, 23, 1
	v_mov_b32_e32 v40, v32
; %bb.149:                              ;   in Loop: Header=BB2_126 Depth=2
	s_or_b64 exec, exec, s[22:23]
	v_lshrrev_b64 v[4:5], 20, v[40:41]
	v_cmp_gt_i32_e32 vcc, 16, v0
	v_cndmask_b32_e32 v5, 0, v5, vcc
	v_cndmask_b32_e32 v4, 7, v4, vcc
	v_cmp_eq_u32_e32 vcc, 0, v0
	v_min_i32_e32 v0, 15, v0
	v_cmp_eq_u64_e64 s[22:23], 0, v[4:5]
	v_lshlrev_b32_e32 v0, 3, v0
	v_and_b32_e32 v0, 0xf8, v0
	v_and_or_b32 v0, v4, 7, v0
	s_and_b64 s[22:23], vcc, s[22:23]
	v_cndmask_b32_e64 v0, v0, 0, s[22:23]
	v_or_b32_e32 v0, v0, v1
.LBB2_150:                              ;   in Loop: Header=BB2_126 Depth=2
	s_or_b64 exec, exec, s[92:93]
                                        ; implicit-def: $vgpr1
.LBB2_151:                              ;   in Loop: Header=BB2_126 Depth=2
	s_andn2_saveexec_b64 s[22:23], s[90:91]
; %bb.152:                              ;   in Loop: Header=BB2_126 Depth=2
	v_or_b32_e32 v0, 0x7e, v1
; %bb.153:                              ;   in Loop: Header=BB2_126 Depth=2
	s_or_b64 exec, exec, s[22:23]
                                        ; implicit-def: $vgpr4
.LBB2_154:                              ;   in Loop: Header=BB2_126 Depth=2
	s_andn2_saveexec_b64 s[22:23], s[88:89]
; %bb.155:                              ;   in Loop: Header=BB2_126 Depth=2
	v_or_b32_sdwa v0, v4, s51 dst_sel:DWORD dst_unused:UNUSED_PAD src0_sel:BYTE_3 src1_sel:DWORD
; %bb.156:                              ;   in Loop: Header=BB2_126 Depth=2
	s_or_b64 exec, exec, s[22:23]
	v_lshrrev_b16_e32 v30, 8, v10
	v_cmp_ne_u16_e32 vcc, 0, v30
	v_mov_b32_e32 v1, 0
	s_and_saveexec_b64 s[22:23], vcc
	s_cbranch_execz .LBB2_162
; %bb.157:                              ;   in Loop: Header=BB2_126 Depth=2
	v_cmp_ne_u16_e32 vcc, s53, v30
	v_bfrev_b32_e32 v1, 1
	s_and_saveexec_b64 s[88:89], vcc
	s_cbranch_execz .LBB2_161
; %bb.158:                              ;   in Loop: Header=BB2_126 Depth=2
	v_and_b32_e32 v4, 0x7f, v30
	v_cmp_ne_u32_e32 vcc, s51, v4
	v_mov_b32_e32 v1, 0x7f800001
	s_and_saveexec_b64 s[90:91], vcc
	s_cbranch_execz .LBB2_160
; %bb.159:                              ;   in Loop: Header=BB2_126 Depth=2
	v_and_b32_e32 v1, 7, v30
	v_lshrrev_b32_e32 v6, 3, v4
	v_cmp_gt_u32_e32 vcc, 8, v4
	v_ffbh_u32_e32 v4, v1
	v_min_u32_e32 v7, 32, v4
	v_subrev_u32_e32 v4, 28, v7
	v_lshlrev_b64 v[4:5], v4, v[30:31]
	v_sub_u32_e32 v5, 29, v7
	v_and_b32_e32 v4, 7, v4
	v_cndmask_b32_e32 v5, v6, v5, vcc
	v_cndmask_b32_e32 v1, v1, v4, vcc
	v_lshlrev_b32_e32 v4, 16, v10
	v_lshlrev_b32_e32 v1, 20, v1
	v_and_b32_e32 v4, 0x80000000, v4
	v_lshl_add_u32 v5, v5, 23, v3
	v_or3_b32 v1, v4, v5, v1
.LBB2_160:                              ;   in Loop: Header=BB2_126 Depth=2
	s_or_b64 exec, exec, s[90:91]
.LBB2_161:                              ;   in Loop: Header=BB2_126 Depth=2
	s_or_b64 exec, exec, s[88:89]
.LBB2_162:                              ;   in Loop: Header=BB2_126 Depth=2
	s_or_b64 exec, exec, s[22:23]
	v_mul_f32_e32 v4, v14, v1
	v_and_b32_e32 v32, 0x7f800000, v4
	v_cmp_ne_u64_e32 vcc, s[56:57], v[32:33]
                                        ; implicit-def: $vgpr17
	s_and_saveexec_b64 s[22:23], vcc
	s_xor_b64 s[88:89], exec, s[22:23]
	s_cbranch_execz .LBB2_176
; %bb.163:                              ;   in Loop: Header=BB2_126 Depth=2
	v_and_b32_e32 v32, 0x7fffffff, v4
	v_cmp_gt_u64_e32 vcc, s[58:59], v[32:33]
	v_and_b32_sdwa v1, v4, s53 dst_sel:DWORD dst_unused:UNUSED_PAD src0_sel:BYTE_3 src1_sel:DWORD
                                        ; implicit-def: $vgpr17
	s_and_saveexec_b64 s[22:23], vcc
	s_xor_b64 s[90:91], exec, s[22:23]
	s_cbranch_execz .LBB2_173
; %bb.164:                              ;   in Loop: Header=BB2_126 Depth=2
	v_mov_b32_e32 v17, 0
	v_cmp_ne_u32_e32 vcc, 0, v4
	s_and_saveexec_b64 s[92:93], vcc
	s_cbranch_execz .LBB2_172
; %bb.165:                              ;   in Loop: Header=BB2_126 Depth=2
	v_and_b32_e32 v6, 0x7fffff, v4
	v_bfe_u32 v4, v4, 23, 8
	v_cmp_gt_u32_e64 s[22:23], s54, v4
	v_sub_u32_e32 v5, 0x79, v4
	v_cmp_eq_u32_e32 vcc, 0, v4
	v_cndmask_b32_e64 v5, 0, v5, s[22:23]
	v_or_b32_e32 v7, 0x800000, v6
	v_cndmask_b32_e32 v5, v5, v47, vcc
	v_cndmask_b32_e32 v32, v7, v6, vcc
	v_add_u32_e32 v6, 20, v5
	v_lshlrev_b64 v[6:7], v6, -1
	v_add_u32_e32 v8, 19, v5
	v_lshlrev_b64 v[8:9], v8, 1
	v_lshrrev_b64 v[40:41], v5, v[32:33]
	v_bfi_b32 v7, v7, 0, 0
	v_bfi_b32 v6, v6, 0, v32
	v_cmp_eq_u64_e64 s[22:23], v[6:7], v[8:9]
	v_mov_b32_e32 v42, v41
	v_mov_b32_e32 v41, v40
	s_and_saveexec_b64 s[94:95], s[22:23]
; %bb.166:                              ;   in Loop: Header=BB2_126 Depth=2
	v_bfe_u32 v6, v40, 20, 1
	v_add_co_u32_e64 v6, s[22:23], v40, v6
	v_add_co_u32_e64 v41, s[22:23], -1, v6
; %bb.167:                              ;   in Loop: Header=BB2_126 Depth=2
	s_or_b64 exec, exec, s[94:95]
	v_add_u32_e32 v4, 0xffffff81, v4
	v_cndmask_b32_e32 v4, v4, v44, vcc
	v_lshrrev_b32_e32 v6, 23, v40
	v_add3_u32 v6, v5, v4, v6
	v_add_u32_e32 v5, 6, v6
	v_and_b32_e32 v4, 0xfffff, v41
	v_add_u32_e32 v32, v4, v40
	v_cmp_ne_u32_e32 vcc, 0, v5
                                        ; implicit-def: $vgpr40_vgpr41
                                        ; implicit-def: $vgpr4
	s_and_saveexec_b64 s[22:23], vcc
	s_xor_b64 s[22:23], exec, s[22:23]
; %bb.168:                              ;   in Loop: Header=BB2_126 Depth=2
	v_cmp_lt_u64_e32 vcc, s[60:61], v[32:33]
	v_add_u32_e32 v4, 7, v6
	v_cndmask_b32_e32 v4, v5, v4, vcc
	v_cndmask_b32_e64 v5, 0, 1, vcc
	v_lshrrev_b64 v[40:41], v5, v[32:33]
; %bb.169:                              ;   in Loop: Header=BB2_126 Depth=2
	s_andn2_saveexec_b64 s[22:23], s[22:23]
; %bb.170:                              ;   in Loop: Header=BB2_126 Depth=2
	v_mov_b32_e32 v41, v33
	v_bfe_u32 v4, v32, 23, 1
	v_mov_b32_e32 v40, v32
; %bb.171:                              ;   in Loop: Header=BB2_126 Depth=2
	s_or_b64 exec, exec, s[22:23]
	v_lshrrev_b64 v[5:6], 20, v[40:41]
	v_cmp_gt_i32_e32 vcc, 16, v4
	v_cndmask_b32_e32 v6, 0, v6, vcc
	v_cndmask_b32_e32 v5, 7, v5, vcc
	v_cmp_eq_u32_e32 vcc, 0, v4
	v_min_i32_e32 v4, 15, v4
	v_cmp_eq_u64_e64 s[22:23], 0, v[5:6]
	v_lshlrev_b32_e32 v4, 3, v4
	v_and_b32_e32 v4, 0xf8, v4
	v_and_or_b32 v4, v5, 7, v4
	s_and_b64 s[22:23], vcc, s[22:23]
	v_cndmask_b32_e64 v4, v4, 0, s[22:23]
	v_or_b32_e32 v17, v4, v1
.LBB2_172:                              ;   in Loop: Header=BB2_126 Depth=2
	s_or_b64 exec, exec, s[92:93]
                                        ; implicit-def: $vgpr1
.LBB2_173:                              ;   in Loop: Header=BB2_126 Depth=2
	s_andn2_saveexec_b64 s[22:23], s[90:91]
; %bb.174:                              ;   in Loop: Header=BB2_126 Depth=2
	v_or_b32_e32 v17, 0x7e, v1
; %bb.175:                              ;   in Loop: Header=BB2_126 Depth=2
	s_or_b64 exec, exec, s[22:23]
                                        ; implicit-def: $vgpr4
.LBB2_176:                              ;   in Loop: Header=BB2_126 Depth=2
	s_andn2_saveexec_b64 s[22:23], s[88:89]
; %bb.177:                              ;   in Loop: Header=BB2_126 Depth=2
	v_or_b32_sdwa v17, v4, s51 dst_sel:DWORD dst_unused:UNUSED_PAD src0_sel:BYTE_3 src1_sel:DWORD
; %bb.178:                              ;   in Loop: Header=BB2_126 Depth=2
	s_or_b64 exec, exec, s[22:23]
	v_lshrrev_b32_e32 v30, 16, v10
	v_cmp_ne_u16_sdwa s[88:89], v30, v33 src0_sel:BYTE_0 src1_sel:DWORD
	v_mov_b32_e32 v1, 0
	s_and_saveexec_b64 s[22:23], s[88:89]
	s_cbranch_execz .LBB2_184
; %bb.179:                              ;   in Loop: Header=BB2_126 Depth=2
	v_cmp_ne_u16_sdwa s[90:91], v30, s53 src0_sel:BYTE_0 src1_sel:DWORD
	v_bfrev_b32_e32 v1, 1
	s_and_saveexec_b64 s[88:89], s[90:91]
	s_cbranch_execz .LBB2_183
; %bb.180:                              ;   in Loop: Header=BB2_126 Depth=2
	v_bfe_u32 v4, v10, 16, 7
	v_cmp_ne_u32_e32 vcc, s51, v4
	v_mov_b32_e32 v1, 0x7f800001
	s_and_saveexec_b64 s[90:91], vcc
	s_cbranch_execz .LBB2_182
; %bb.181:                              ;   in Loop: Header=BB2_126 Depth=2
	v_and_b32_e32 v1, 7, v30
	v_lshrrev_b32_e32 v6, 3, v4
	v_cmp_gt_u32_e32 vcc, 8, v4
	v_ffbh_u32_e32 v4, v1
	v_min_u32_e32 v7, 32, v4
	v_subrev_u32_e32 v4, 28, v7
	v_lshlrev_b64 v[4:5], v4, v[30:31]
	v_sub_u32_e32 v5, 29, v7
	v_and_b32_e32 v4, 7, v4
	v_cndmask_b32_e32 v5, v6, v5, vcc
	v_cndmask_b32_e32 v1, v1, v4, vcc
	v_lshlrev_b32_e32 v4, 24, v30
	v_lshlrev_b32_e32 v1, 20, v1
	v_and_b32_e32 v4, 0x80000000, v4
	v_lshl_add_u32 v5, v5, 23, v3
	v_or3_b32 v1, v4, v5, v1
.LBB2_182:                              ;   in Loop: Header=BB2_126 Depth=2
	s_or_b64 exec, exec, s[90:91]
.LBB2_183:                              ;   in Loop: Header=BB2_126 Depth=2
	s_or_b64 exec, exec, s[88:89]
.LBB2_184:                              ;   in Loop: Header=BB2_126 Depth=2
	s_or_b64 exec, exec, s[22:23]
	v_mul_f32_e32 v4, v14, v1
	v_and_b32_e32 v32, 0x7f800000, v4
	v_cmp_ne_u64_e32 vcc, s[56:57], v[32:33]
                                        ; implicit-def: $vgpr38
	s_and_saveexec_b64 s[22:23], vcc
	s_xor_b64 s[88:89], exec, s[22:23]
	s_cbranch_execz .LBB2_198
; %bb.185:                              ;   in Loop: Header=BB2_126 Depth=2
	v_and_b32_e32 v32, 0x7fffffff, v4
	v_cmp_gt_u64_e32 vcc, s[58:59], v[32:33]
	v_and_b32_sdwa v1, v4, s53 dst_sel:DWORD dst_unused:UNUSED_PAD src0_sel:BYTE_3 src1_sel:DWORD
                                        ; implicit-def: $vgpr38
	s_and_saveexec_b64 s[22:23], vcc
	s_xor_b64 s[90:91], exec, s[22:23]
	s_cbranch_execz .LBB2_195
; %bb.186:                              ;   in Loop: Header=BB2_126 Depth=2
	v_mov_b32_e32 v38, 0
	v_cmp_ne_u32_e32 vcc, 0, v4
	s_and_saveexec_b64 s[92:93], vcc
	s_cbranch_execz .LBB2_194
; %bb.187:                              ;   in Loop: Header=BB2_126 Depth=2
	v_and_b32_e32 v6, 0x7fffff, v4
	v_bfe_u32 v4, v4, 23, 8
	v_cmp_gt_u32_e64 s[22:23], s54, v4
	v_sub_u32_e32 v5, 0x79, v4
	v_cmp_eq_u32_e32 vcc, 0, v4
	v_cndmask_b32_e64 v5, 0, v5, s[22:23]
	v_or_b32_e32 v7, 0x800000, v6
	v_cndmask_b32_e32 v5, v5, v47, vcc
	v_cndmask_b32_e32 v32, v7, v6, vcc
	v_add_u32_e32 v6, 20, v5
	v_lshlrev_b64 v[6:7], v6, -1
	v_add_u32_e32 v8, 19, v5
	v_lshlrev_b64 v[8:9], v8, 1
	v_lshrrev_b64 v[40:41], v5, v[32:33]
	v_bfi_b32 v7, v7, 0, 0
	v_bfi_b32 v6, v6, 0, v32
	v_cmp_eq_u64_e64 s[22:23], v[6:7], v[8:9]
	v_mov_b32_e32 v42, v41
	v_mov_b32_e32 v41, v40
	s_and_saveexec_b64 s[94:95], s[22:23]
; %bb.188:                              ;   in Loop: Header=BB2_126 Depth=2
	v_bfe_u32 v6, v40, 20, 1
	v_add_co_u32_e64 v6, s[22:23], v40, v6
	v_add_co_u32_e64 v41, s[22:23], -1, v6
; %bb.189:                              ;   in Loop: Header=BB2_126 Depth=2
	s_or_b64 exec, exec, s[94:95]
	v_add_u32_e32 v4, 0xffffff81, v4
	v_cndmask_b32_e32 v4, v4, v44, vcc
	v_lshrrev_b32_e32 v6, 23, v40
	v_add3_u32 v6, v5, v4, v6
	v_add_u32_e32 v5, 6, v6
	v_and_b32_e32 v4, 0xfffff, v41
	v_add_u32_e32 v32, v4, v40
	v_cmp_ne_u32_e32 vcc, 0, v5
                                        ; implicit-def: $vgpr40_vgpr41
                                        ; implicit-def: $vgpr4
	s_and_saveexec_b64 s[22:23], vcc
	s_xor_b64 s[22:23], exec, s[22:23]
; %bb.190:                              ;   in Loop: Header=BB2_126 Depth=2
	v_cmp_lt_u64_e32 vcc, s[60:61], v[32:33]
	v_add_u32_e32 v4, 7, v6
	v_cndmask_b32_e32 v4, v5, v4, vcc
	v_cndmask_b32_e64 v5, 0, 1, vcc
	v_lshrrev_b64 v[40:41], v5, v[32:33]
; %bb.191:                              ;   in Loop: Header=BB2_126 Depth=2
	s_andn2_saveexec_b64 s[22:23], s[22:23]
; %bb.192:                              ;   in Loop: Header=BB2_126 Depth=2
	v_mov_b32_e32 v41, v33
	v_bfe_u32 v4, v32, 23, 1
	v_mov_b32_e32 v40, v32
; %bb.193:                              ;   in Loop: Header=BB2_126 Depth=2
	s_or_b64 exec, exec, s[22:23]
	v_lshrrev_b64 v[5:6], 20, v[40:41]
	v_cmp_gt_i32_e32 vcc, 16, v4
	v_cndmask_b32_e32 v6, 0, v6, vcc
	v_cndmask_b32_e32 v5, 7, v5, vcc
	v_cmp_eq_u32_e32 vcc, 0, v4
	v_min_i32_e32 v4, 15, v4
	v_cmp_eq_u64_e64 s[22:23], 0, v[5:6]
	v_lshlrev_b32_e32 v4, 3, v4
	v_and_b32_e32 v4, 0xf8, v4
	v_and_or_b32 v4, v5, 7, v4
	s_and_b64 s[22:23], vcc, s[22:23]
	v_cndmask_b32_e64 v4, v4, 0, s[22:23]
	v_or_b32_e32 v38, v4, v1
.LBB2_194:                              ;   in Loop: Header=BB2_126 Depth=2
	s_or_b64 exec, exec, s[92:93]
                                        ; implicit-def: $vgpr1
.LBB2_195:                              ;   in Loop: Header=BB2_126 Depth=2
	s_andn2_saveexec_b64 s[22:23], s[90:91]
; %bb.196:                              ;   in Loop: Header=BB2_126 Depth=2
	v_or_b32_e32 v38, 0x7e, v1
; %bb.197:                              ;   in Loop: Header=BB2_126 Depth=2
	s_or_b64 exec, exec, s[22:23]
                                        ; implicit-def: $vgpr4
.LBB2_198:                              ;   in Loop: Header=BB2_126 Depth=2
	s_andn2_saveexec_b64 s[22:23], s[88:89]
; %bb.199:                              ;   in Loop: Header=BB2_126 Depth=2
	v_or_b32_sdwa v38, v4, s51 dst_sel:DWORD dst_unused:UNUSED_PAD src0_sel:BYTE_3 src1_sel:DWORD
; %bb.200:                              ;   in Loop: Header=BB2_126 Depth=2
	s_or_b64 exec, exec, s[22:23]
	v_cmp_lt_u32_e32 vcc, s63, v10
	v_mov_b32_e32 v1, 0
	s_and_saveexec_b64 s[22:23], vcc
	s_cbranch_execz .LBB2_206
; %bb.201:                              ;   in Loop: Header=BB2_126 Depth=2
	v_lshrrev_b32_e32 v30, 24, v10
	v_cmp_ne_u32_e32 vcc, s53, v30
	v_bfrev_b32_e32 v1, 1
	s_and_saveexec_b64 s[88:89], vcc
	s_cbranch_execz .LBB2_205
; %bb.202:                              ;   in Loop: Header=BB2_126 Depth=2
	v_bfe_u32 v4, v10, 24, 7
	v_cmp_ne_u32_e32 vcc, s51, v4
	v_mov_b32_e32 v1, 0x7f800001
	s_and_saveexec_b64 s[90:91], vcc
	s_cbranch_execz .LBB2_204
; %bb.203:                              ;   in Loop: Header=BB2_126 Depth=2
	v_and_b32_e32 v1, 7, v30
	v_lshrrev_b32_e32 v6, 3, v4
	v_cmp_gt_u32_e32 vcc, 8, v4
	v_ffbh_u32_e32 v4, v1
	v_min_u32_e32 v7, 32, v4
	v_subrev_u32_e32 v4, 28, v7
	v_lshlrev_b64 v[4:5], v4, v[30:31]
	v_sub_u32_e32 v5, 29, v7
	v_and_b32_e32 v4, 7, v4
	v_cndmask_b32_e32 v5, v6, v5, vcc
	v_cndmask_b32_e32 v1, v1, v4, vcc
	v_lshlrev_b32_e32 v4, 24, v30
	v_lshlrev_b32_e32 v1, 20, v1
	v_and_b32_e32 v4, 0x80000000, v4
	v_lshl_add_u32 v5, v5, 23, v3
	v_or3_b32 v1, v4, v5, v1
.LBB2_204:                              ;   in Loop: Header=BB2_126 Depth=2
	s_or_b64 exec, exec, s[90:91]
.LBB2_205:                              ;   in Loop: Header=BB2_126 Depth=2
	s_or_b64 exec, exec, s[88:89]
.LBB2_206:                              ;   in Loop: Header=BB2_126 Depth=2
	s_or_b64 exec, exec, s[22:23]
	v_mul_f32_e32 v4, v14, v1
	v_and_b32_e32 v32, 0x7f800000, v4
	v_cmp_ne_u64_e32 vcc, s[56:57], v[32:33]
                                        ; implicit-def: $vgpr49
	s_and_saveexec_b64 s[22:23], vcc
	s_xor_b64 s[88:89], exec, s[22:23]
	s_cbranch_execz .LBB2_220
; %bb.207:                              ;   in Loop: Header=BB2_126 Depth=2
	v_and_b32_e32 v32, 0x7fffffff, v4
	v_cmp_gt_u64_e32 vcc, s[58:59], v[32:33]
	v_and_b32_sdwa v1, v4, s53 dst_sel:DWORD dst_unused:UNUSED_PAD src0_sel:BYTE_3 src1_sel:DWORD
                                        ; implicit-def: $vgpr49
	s_and_saveexec_b64 s[22:23], vcc
	s_xor_b64 s[90:91], exec, s[22:23]
	s_cbranch_execz .LBB2_217
; %bb.208:                              ;   in Loop: Header=BB2_126 Depth=2
	v_mov_b32_e32 v49, 0
	v_cmp_ne_u32_e32 vcc, 0, v4
	s_and_saveexec_b64 s[92:93], vcc
	s_cbranch_execz .LBB2_216
; %bb.209:                              ;   in Loop: Header=BB2_126 Depth=2
	v_and_b32_e32 v6, 0x7fffff, v4
	v_bfe_u32 v4, v4, 23, 8
	v_cmp_gt_u32_e64 s[22:23], s54, v4
	v_sub_u32_e32 v5, 0x79, v4
	v_cmp_eq_u32_e32 vcc, 0, v4
	v_cndmask_b32_e64 v5, 0, v5, s[22:23]
	v_or_b32_e32 v7, 0x800000, v6
	v_cndmask_b32_e32 v5, v5, v47, vcc
	v_cndmask_b32_e32 v32, v7, v6, vcc
	v_add_u32_e32 v6, 20, v5
	v_lshlrev_b64 v[6:7], v6, -1
	v_add_u32_e32 v8, 19, v5
	v_lshlrev_b64 v[8:9], v8, 1
	v_lshrrev_b64 v[40:41], v5, v[32:33]
	v_bfi_b32 v7, v7, 0, 0
	v_bfi_b32 v6, v6, 0, v32
	v_cmp_eq_u64_e64 s[22:23], v[6:7], v[8:9]
	v_mov_b32_e32 v42, v41
	v_mov_b32_e32 v41, v40
	s_and_saveexec_b64 s[94:95], s[22:23]
; %bb.210:                              ;   in Loop: Header=BB2_126 Depth=2
	v_bfe_u32 v6, v40, 20, 1
	v_add_co_u32_e64 v6, s[22:23], v40, v6
	v_add_co_u32_e64 v41, s[22:23], -1, v6
; %bb.211:                              ;   in Loop: Header=BB2_126 Depth=2
	s_or_b64 exec, exec, s[94:95]
	v_add_u32_e32 v4, 0xffffff81, v4
	v_cndmask_b32_e32 v4, v4, v44, vcc
	v_lshrrev_b32_e32 v6, 23, v40
	v_add3_u32 v6, v5, v4, v6
	v_add_u32_e32 v5, 6, v6
	v_and_b32_e32 v4, 0xfffff, v41
	v_add_u32_e32 v32, v4, v40
	v_cmp_ne_u32_e32 vcc, 0, v5
                                        ; implicit-def: $vgpr40_vgpr41
                                        ; implicit-def: $vgpr4
	s_and_saveexec_b64 s[22:23], vcc
	s_xor_b64 s[22:23], exec, s[22:23]
; %bb.212:                              ;   in Loop: Header=BB2_126 Depth=2
	v_cmp_lt_u64_e32 vcc, s[60:61], v[32:33]
	v_add_u32_e32 v4, 7, v6
	v_cndmask_b32_e32 v4, v5, v4, vcc
	v_cndmask_b32_e64 v5, 0, 1, vcc
	v_lshrrev_b64 v[40:41], v5, v[32:33]
; %bb.213:                              ;   in Loop: Header=BB2_126 Depth=2
	s_andn2_saveexec_b64 s[22:23], s[22:23]
; %bb.214:                              ;   in Loop: Header=BB2_126 Depth=2
	v_mov_b32_e32 v41, v33
	v_bfe_u32 v4, v32, 23, 1
	v_mov_b32_e32 v40, v32
; %bb.215:                              ;   in Loop: Header=BB2_126 Depth=2
	s_or_b64 exec, exec, s[22:23]
	v_lshrrev_b64 v[5:6], 20, v[40:41]
	v_cmp_gt_i32_e32 vcc, 16, v4
	v_cndmask_b32_e32 v6, 0, v6, vcc
	v_cndmask_b32_e32 v5, 7, v5, vcc
	v_cmp_eq_u32_e32 vcc, 0, v4
	v_min_i32_e32 v4, 15, v4
	v_cmp_eq_u64_e64 s[22:23], 0, v[5:6]
	v_lshlrev_b32_e32 v4, 3, v4
	v_and_b32_e32 v4, 0xf8, v4
	v_and_or_b32 v4, v5, 7, v4
	s_and_b64 s[22:23], vcc, s[22:23]
	v_cndmask_b32_e64 v4, v4, 0, s[22:23]
	v_or_b32_e32 v49, v4, v1
.LBB2_216:                              ;   in Loop: Header=BB2_126 Depth=2
	s_or_b64 exec, exec, s[92:93]
                                        ; implicit-def: $vgpr1
.LBB2_217:                              ;   in Loop: Header=BB2_126 Depth=2
	s_andn2_saveexec_b64 s[22:23], s[90:91]
; %bb.218:                              ;   in Loop: Header=BB2_126 Depth=2
	v_or_b32_e32 v49, 0x7e, v1
; %bb.219:                              ;   in Loop: Header=BB2_126 Depth=2
	s_or_b64 exec, exec, s[22:23]
                                        ; implicit-def: $vgpr4
.LBB2_220:                              ;   in Loop: Header=BB2_126 Depth=2
	s_andn2_saveexec_b64 s[22:23], s[88:89]
; %bb.221:                              ;   in Loop: Header=BB2_126 Depth=2
	v_or_b32_sdwa v49, v4, s51 dst_sel:DWORD dst_unused:UNUSED_PAD src0_sel:BYTE_3 src1_sel:DWORD
; %bb.222:                              ;   in Loop: Header=BB2_126 Depth=2
	s_or_b64 exec, exec, s[22:23]
	v_mov_b32_e32 v32, v11
	v_cmp_ne_u16_sdwa s[88:89], v11, v33 src0_sel:BYTE_0 src1_sel:DWORD
	v_mov_b32_e32 v1, 0
	s_and_saveexec_b64 s[22:23], s[88:89]
	s_cbranch_execz .LBB2_228
; %bb.223:                              ;   in Loop: Header=BB2_126 Depth=2
	v_cmp_ne_u16_sdwa s[90:91], v11, s53 src0_sel:BYTE_0 src1_sel:DWORD
	v_bfrev_b32_e32 v1, 1
	s_and_saveexec_b64 s[88:89], s[90:91]
	s_cbranch_execz .LBB2_227
; %bb.224:                              ;   in Loop: Header=BB2_126 Depth=2
	v_and_b32_e32 v4, 0x7f, v11
	v_cmp_ne_u32_e32 vcc, s51, v4
	v_mov_b32_e32 v1, 0x7f800001
	s_and_saveexec_b64 s[90:91], vcc
	s_cbranch_execz .LBB2_226
; %bb.225:                              ;   in Loop: Header=BB2_126 Depth=2
	v_and_b32_e32 v1, 7, v11
	v_ffbh_u32_e32 v1, v1
	v_min_u32_e32 v1, 32, v1
	v_lshrrev_b32_e32 v5, 3, v4
	v_cmp_gt_u32_e32 vcc, 8, v4
	v_subrev_u32_e32 v4, 28, v1
	v_sub_u32_e32 v1, 29, v1
	v_cndmask_b32_e32 v4, 0, v4, vcc
	v_cndmask_b32_e32 v1, v5, v1, vcc
	v_lshlrev_b64 v[4:5], v4, v[32:33]
	v_lshlrev_b32_e32 v5, 24, v32
	v_lshlrev_b32_e32 v4, 20, v4
	v_and_b32_e32 v4, 0x700000, v4
	v_and_b32_e32 v5, 0x80000000, v5
	v_lshl_add_u32 v1, v1, 23, v3
	v_or3_b32 v1, v5, v1, v4
.LBB2_226:                              ;   in Loop: Header=BB2_126 Depth=2
	s_or_b64 exec, exec, s[90:91]
.LBB2_227:                              ;   in Loop: Header=BB2_126 Depth=2
	s_or_b64 exec, exec, s[88:89]
.LBB2_228:                              ;   in Loop: Header=BB2_126 Depth=2
	s_or_b64 exec, exec, s[22:23]
	v_mul_f32_e32 v4, v14, v1
	v_and_b32_e32 v5, 0x7f800000, v4
	v_mov_b32_e32 v6, v33
	v_cmp_ne_u64_e32 vcc, s[56:57], v[5:6]
                                        ; implicit-def: $vgpr29
	s_and_saveexec_b64 s[22:23], vcc
	s_xor_b64 s[88:89], exec, s[22:23]
	s_cbranch_execz .LBB2_242
; %bb.229:                              ;   in Loop: Header=BB2_126 Depth=2
	v_and_b32_e32 v5, 0x7fffffff, v4
	v_mov_b32_e32 v6, v33
	v_cmp_gt_u64_e32 vcc, s[58:59], v[5:6]
	v_and_b32_sdwa v1, v4, s53 dst_sel:DWORD dst_unused:UNUSED_PAD src0_sel:BYTE_3 src1_sel:DWORD
                                        ; implicit-def: $vgpr29
	s_and_saveexec_b64 s[22:23], vcc
	s_xor_b64 s[90:91], exec, s[22:23]
	s_cbranch_execz .LBB2_239
; %bb.230:                              ;   in Loop: Header=BB2_126 Depth=2
	v_mov_b32_e32 v29, 0
	v_cmp_ne_u32_e32 vcc, 0, v4
	s_and_saveexec_b64 s[92:93], vcc
	s_cbranch_execz .LBB2_238
; %bb.231:                              ;   in Loop: Header=BB2_126 Depth=2
	v_and_b32_e32 v6, 0x7fffff, v4
	v_bfe_u32 v4, v4, 23, 8
	v_cmp_gt_u32_e64 s[22:23], s54, v4
	v_sub_u32_e32 v5, 0x79, v4
	v_cmp_eq_u32_e32 vcc, 0, v4
	v_cndmask_b32_e64 v5, 0, v5, s[22:23]
	v_cndmask_b32_e32 v5, v5, v47, vcc
	v_or_b32_e32 v7, 0x800000, v6
	v_add_u32_e32 v8, 20, v5
	v_cndmask_b32_e32 v6, v7, v6, vcc
	v_mov_b32_e32 v7, v33
	v_lshlrev_b64 v[8:9], v8, -1
	v_add_u32_e32 v15, 19, v5
	v_lshlrev_b64 v[20:21], v15, 1
	v_lshrrev_b64 v[40:41], v5, v[6:7]
	v_bfi_b32 v9, v9, 0, 0
	v_bfi_b32 v8, v8, 0, v6
	v_cmp_eq_u64_e64 s[22:23], v[8:9], v[20:21]
	v_mov_b32_e32 v42, v41
	v_mov_b32_e32 v41, v40
	s_and_saveexec_b64 s[94:95], s[22:23]
; %bb.232:                              ;   in Loop: Header=BB2_126 Depth=2
	v_bfe_u32 v6, v40, 20, 1
	v_add_co_u32_e64 v6, s[22:23], v40, v6
	v_add_co_u32_e64 v41, s[22:23], -1, v6
; %bb.233:                              ;   in Loop: Header=BB2_126 Depth=2
	s_or_b64 exec, exec, s[94:95]
	v_add_u32_e32 v4, 0xffffff81, v4
	v_cndmask_b32_e32 v4, v4, v44, vcc
	v_lshrrev_b32_e32 v6, 23, v40
	v_add3_u32 v6, v5, v4, v6
	v_add_u32_e32 v5, 6, v6
	v_and_b32_e32 v4, 0xfffff, v41
	v_add_u32_e32 v40, v4, v40
	v_mov_b32_e32 v41, v33
	v_cmp_ne_u32_e32 vcc, 0, v5
                                        ; implicit-def: $vgpr4
	s_and_saveexec_b64 s[22:23], vcc
	s_xor_b64 s[22:23], exec, s[22:23]
; %bb.234:                              ;   in Loop: Header=BB2_126 Depth=2
	v_cmp_lt_u64_e32 vcc, s[60:61], v[40:41]
	v_add_u32_e32 v4, 7, v6
	v_cndmask_b32_e32 v4, v5, v4, vcc
	v_cndmask_b32_e64 v5, 0, 1, vcc
	v_lshrrev_b64 v[40:41], v5, v[40:41]
; %bb.235:                              ;   in Loop: Header=BB2_126 Depth=2
	s_andn2_saveexec_b64 s[22:23], s[22:23]
; %bb.236:                              ;   in Loop: Header=BB2_126 Depth=2
	v_bfe_u32 v4, v40, 23, 1
; %bb.237:                              ;   in Loop: Header=BB2_126 Depth=2
	s_or_b64 exec, exec, s[22:23]
	v_lshrrev_b64 v[5:6], 20, v[40:41]
	v_cmp_gt_i32_e32 vcc, 16, v4
	v_cndmask_b32_e32 v6, 0, v6, vcc
	v_cndmask_b32_e32 v5, 7, v5, vcc
	v_cmp_eq_u32_e32 vcc, 0, v4
	v_min_i32_e32 v4, 15, v4
	v_cmp_eq_u64_e64 s[22:23], 0, v[5:6]
	v_lshlrev_b32_e32 v4, 3, v4
	v_and_b32_e32 v4, 0xf8, v4
	v_and_or_b32 v4, v5, 7, v4
	s_and_b64 s[22:23], vcc, s[22:23]
	v_cndmask_b32_e64 v4, v4, 0, s[22:23]
	v_or_b32_e32 v29, v4, v1
.LBB2_238:                              ;   in Loop: Header=BB2_126 Depth=2
	s_or_b64 exec, exec, s[92:93]
                                        ; implicit-def: $vgpr1
.LBB2_239:                              ;   in Loop: Header=BB2_126 Depth=2
	s_andn2_saveexec_b64 s[22:23], s[90:91]
; %bb.240:                              ;   in Loop: Header=BB2_126 Depth=2
	v_or_b32_e32 v29, 0x7e, v1
; %bb.241:                              ;   in Loop: Header=BB2_126 Depth=2
	s_or_b64 exec, exec, s[22:23]
                                        ; implicit-def: $vgpr4
.LBB2_242:                              ;   in Loop: Header=BB2_126 Depth=2
	s_andn2_saveexec_b64 s[22:23], s[88:89]
; %bb.243:                              ;   in Loop: Header=BB2_126 Depth=2
	v_or_b32_sdwa v29, v4, s51 dst_sel:DWORD dst_unused:UNUSED_PAD src0_sel:BYTE_3 src1_sel:DWORD
; %bb.244:                              ;   in Loop: Header=BB2_126 Depth=2
	s_or_b64 exec, exec, s[22:23]
	v_lshrrev_b16_e32 v30, 8, v32
	v_cmp_ne_u16_e32 vcc, 0, v30
	v_mov_b32_e32 v1, 0
	s_and_saveexec_b64 s[22:23], vcc
	s_cbranch_execz .LBB2_250
; %bb.245:                              ;   in Loop: Header=BB2_126 Depth=2
	v_cmp_ne_u16_e32 vcc, s53, v30
	v_bfrev_b32_e32 v1, 1
	s_and_saveexec_b64 s[88:89], vcc
	s_cbranch_execz .LBB2_249
; %bb.246:                              ;   in Loop: Header=BB2_126 Depth=2
	v_and_b32_e32 v4, 0x7f, v30
	v_cmp_ne_u32_e32 vcc, s51, v4
	v_mov_b32_e32 v1, 0x7f800001
	s_and_saveexec_b64 s[90:91], vcc
	s_cbranch_execz .LBB2_248
; %bb.247:                              ;   in Loop: Header=BB2_126 Depth=2
	v_and_b32_e32 v1, 7, v30
	v_lshrrev_b32_e32 v6, 3, v4
	v_cmp_gt_u32_e32 vcc, 8, v4
	v_ffbh_u32_e32 v4, v1
	v_min_u32_e32 v7, 32, v4
	v_subrev_u32_e32 v4, 28, v7
	v_lshlrev_b64 v[4:5], v4, v[30:31]
	v_sub_u32_e32 v5, 29, v7
	v_and_b32_e32 v4, 7, v4
	v_cndmask_b32_e32 v5, v6, v5, vcc
	v_cndmask_b32_e32 v1, v1, v4, vcc
	v_lshlrev_b32_e32 v4, 16, v32
	v_lshlrev_b32_e32 v1, 20, v1
	v_and_b32_e32 v4, 0x80000000, v4
	v_lshl_add_u32 v5, v5, 23, v3
	v_or3_b32 v1, v4, v5, v1
.LBB2_248:                              ;   in Loop: Header=BB2_126 Depth=2
	s_or_b64 exec, exec, s[90:91]
.LBB2_249:                              ;   in Loop: Header=BB2_126 Depth=2
	s_or_b64 exec, exec, s[88:89]
.LBB2_250:                              ;   in Loop: Header=BB2_126 Depth=2
	s_or_b64 exec, exec, s[22:23]
	v_mul_f32_e32 v4, v14, v1
	v_and_b32_e32 v32, 0x7f800000, v4
	v_cmp_ne_u64_e32 vcc, s[56:57], v[32:33]
                                        ; implicit-def: $vgpr43
	s_and_saveexec_b64 s[22:23], vcc
	s_xor_b64 s[88:89], exec, s[22:23]
	s_cbranch_execz .LBB2_264
; %bb.251:                              ;   in Loop: Header=BB2_126 Depth=2
	v_and_b32_e32 v32, 0x7fffffff, v4
	v_cmp_gt_u64_e32 vcc, s[58:59], v[32:33]
	v_and_b32_sdwa v1, v4, s53 dst_sel:DWORD dst_unused:UNUSED_PAD src0_sel:BYTE_3 src1_sel:DWORD
                                        ; implicit-def: $vgpr43
	s_and_saveexec_b64 s[22:23], vcc
	s_xor_b64 s[90:91], exec, s[22:23]
	s_cbranch_execz .LBB2_261
; %bb.252:                              ;   in Loop: Header=BB2_126 Depth=2
	v_mov_b32_e32 v43, 0
	v_cmp_ne_u32_e32 vcc, 0, v4
	s_and_saveexec_b64 s[92:93], vcc
	s_cbranch_execz .LBB2_260
; %bb.253:                              ;   in Loop: Header=BB2_126 Depth=2
	v_and_b32_e32 v6, 0x7fffff, v4
	v_bfe_u32 v4, v4, 23, 8
	v_cmp_gt_u32_e64 s[22:23], s54, v4
	v_sub_u32_e32 v5, 0x79, v4
	v_cmp_eq_u32_e32 vcc, 0, v4
	v_cndmask_b32_e64 v5, 0, v5, s[22:23]
	v_or_b32_e32 v7, 0x800000, v6
	v_cndmask_b32_e32 v5, v5, v47, vcc
	v_cndmask_b32_e32 v32, v7, v6, vcc
	v_add_u32_e32 v6, 20, v5
	v_lshlrev_b64 v[6:7], v6, -1
	v_add_u32_e32 v8, 19, v5
	v_lshlrev_b64 v[8:9], v8, 1
	v_lshrrev_b64 v[40:41], v5, v[32:33]
	v_bfi_b32 v7, v7, 0, 0
	v_bfi_b32 v6, v6, 0, v32
	v_cmp_eq_u64_e64 s[22:23], v[6:7], v[8:9]
	v_mov_b32_e32 v42, v41
	v_mov_b32_e32 v41, v40
	s_and_saveexec_b64 s[94:95], s[22:23]
; %bb.254:                              ;   in Loop: Header=BB2_126 Depth=2
	v_bfe_u32 v6, v40, 20, 1
	v_add_co_u32_e64 v6, s[22:23], v40, v6
	v_add_co_u32_e64 v41, s[22:23], -1, v6
; %bb.255:                              ;   in Loop: Header=BB2_126 Depth=2
	s_or_b64 exec, exec, s[94:95]
	v_add_u32_e32 v4, 0xffffff81, v4
	v_cndmask_b32_e32 v4, v4, v44, vcc
	v_lshrrev_b32_e32 v6, 23, v40
	v_add3_u32 v6, v5, v4, v6
	v_add_u32_e32 v5, 6, v6
	v_and_b32_e32 v4, 0xfffff, v41
	v_add_u32_e32 v32, v4, v40
	v_cmp_ne_u32_e32 vcc, 0, v5
                                        ; implicit-def: $vgpr40_vgpr41
                                        ; implicit-def: $vgpr4
	s_and_saveexec_b64 s[22:23], vcc
	s_xor_b64 s[22:23], exec, s[22:23]
; %bb.256:                              ;   in Loop: Header=BB2_126 Depth=2
	v_cmp_lt_u64_e32 vcc, s[60:61], v[32:33]
	v_add_u32_e32 v4, 7, v6
	v_cndmask_b32_e32 v4, v5, v4, vcc
	v_cndmask_b32_e64 v5, 0, 1, vcc
	v_lshrrev_b64 v[40:41], v5, v[32:33]
; %bb.257:                              ;   in Loop: Header=BB2_126 Depth=2
	s_andn2_saveexec_b64 s[22:23], s[22:23]
; %bb.258:                              ;   in Loop: Header=BB2_126 Depth=2
	v_mov_b32_e32 v41, v33
	v_bfe_u32 v4, v32, 23, 1
	v_mov_b32_e32 v40, v32
; %bb.259:                              ;   in Loop: Header=BB2_126 Depth=2
	s_or_b64 exec, exec, s[22:23]
	v_lshrrev_b64 v[5:6], 20, v[40:41]
	v_cmp_gt_i32_e32 vcc, 16, v4
	v_cndmask_b32_e32 v6, 0, v6, vcc
	v_cndmask_b32_e32 v5, 7, v5, vcc
	v_cmp_eq_u32_e32 vcc, 0, v4
	v_min_i32_e32 v4, 15, v4
	v_cmp_eq_u64_e64 s[22:23], 0, v[5:6]
	v_lshlrev_b32_e32 v4, 3, v4
	v_and_b32_e32 v4, 0xf8, v4
	v_and_or_b32 v4, v5, 7, v4
	s_and_b64 s[22:23], vcc, s[22:23]
	v_cndmask_b32_e64 v4, v4, 0, s[22:23]
	v_or_b32_e32 v43, v4, v1
.LBB2_260:                              ;   in Loop: Header=BB2_126 Depth=2
	s_or_b64 exec, exec, s[92:93]
                                        ; implicit-def: $vgpr1
.LBB2_261:                              ;   in Loop: Header=BB2_126 Depth=2
	s_andn2_saveexec_b64 s[22:23], s[90:91]
; %bb.262:                              ;   in Loop: Header=BB2_126 Depth=2
	v_or_b32_e32 v43, 0x7e, v1
; %bb.263:                              ;   in Loop: Header=BB2_126 Depth=2
	s_or_b64 exec, exec, s[22:23]
                                        ; implicit-def: $vgpr4
.LBB2_264:                              ;   in Loop: Header=BB2_126 Depth=2
	s_andn2_saveexec_b64 s[22:23], s[88:89]
; %bb.265:                              ;   in Loop: Header=BB2_126 Depth=2
	v_or_b32_sdwa v43, v4, s51 dst_sel:DWORD dst_unused:UNUSED_PAD src0_sel:BYTE_3 src1_sel:DWORD
; %bb.266:                              ;   in Loop: Header=BB2_126 Depth=2
	s_or_b64 exec, exec, s[22:23]
	v_lshrrev_b32_e32 v30, 16, v11
	v_cmp_ne_u16_sdwa s[88:89], v30, v33 src0_sel:BYTE_0 src1_sel:DWORD
	v_mov_b32_e32 v1, 0
	s_and_saveexec_b64 s[22:23], s[88:89]
	s_cbranch_execz .LBB2_272
; %bb.267:                              ;   in Loop: Header=BB2_126 Depth=2
	v_cmp_ne_u16_sdwa s[90:91], v30, s53 src0_sel:BYTE_0 src1_sel:DWORD
	v_bfrev_b32_e32 v1, 1
	s_and_saveexec_b64 s[88:89], s[90:91]
	s_cbranch_execz .LBB2_271
; %bb.268:                              ;   in Loop: Header=BB2_126 Depth=2
	v_bfe_u32 v4, v11, 16, 7
	v_cmp_ne_u32_e32 vcc, s51, v4
	v_mov_b32_e32 v1, 0x7f800001
	s_and_saveexec_b64 s[90:91], vcc
	s_cbranch_execz .LBB2_270
; %bb.269:                              ;   in Loop: Header=BB2_126 Depth=2
	v_and_b32_e32 v1, 7, v30
	v_lshrrev_b32_e32 v6, 3, v4
	v_cmp_gt_u32_e32 vcc, 8, v4
	v_ffbh_u32_e32 v4, v1
	v_min_u32_e32 v7, 32, v4
	v_subrev_u32_e32 v4, 28, v7
	v_lshlrev_b64 v[4:5], v4, v[30:31]
	v_sub_u32_e32 v5, 29, v7
	v_and_b32_e32 v4, 7, v4
	v_cndmask_b32_e32 v5, v6, v5, vcc
	v_cndmask_b32_e32 v1, v1, v4, vcc
	v_lshlrev_b32_e32 v4, 24, v30
	v_lshlrev_b32_e32 v1, 20, v1
	v_and_b32_e32 v4, 0x80000000, v4
	v_lshl_add_u32 v5, v5, 23, v3
	v_or3_b32 v1, v4, v5, v1
.LBB2_270:                              ;   in Loop: Header=BB2_126 Depth=2
	s_or_b64 exec, exec, s[90:91]
.LBB2_271:                              ;   in Loop: Header=BB2_126 Depth=2
	s_or_b64 exec, exec, s[88:89]
.LBB2_272:                              ;   in Loop: Header=BB2_126 Depth=2
	s_or_b64 exec, exec, s[22:23]
	v_mul_f32_e32 v4, v14, v1
	v_and_b32_e32 v32, 0x7f800000, v4
	v_cmp_ne_u64_e32 vcc, s[56:57], v[32:33]
                                        ; implicit-def: $vgpr61
	s_and_saveexec_b64 s[22:23], vcc
	s_xor_b64 s[88:89], exec, s[22:23]
	s_cbranch_execz .LBB2_286
; %bb.273:                              ;   in Loop: Header=BB2_126 Depth=2
	v_and_b32_e32 v32, 0x7fffffff, v4
	v_cmp_gt_u64_e32 vcc, s[58:59], v[32:33]
	v_and_b32_sdwa v1, v4, s53 dst_sel:DWORD dst_unused:UNUSED_PAD src0_sel:BYTE_3 src1_sel:DWORD
                                        ; implicit-def: $vgpr61
	s_and_saveexec_b64 s[22:23], vcc
	s_xor_b64 s[90:91], exec, s[22:23]
	s_cbranch_execz .LBB2_283
; %bb.274:                              ;   in Loop: Header=BB2_126 Depth=2
	v_mov_b32_e32 v61, 0
	v_cmp_ne_u32_e32 vcc, 0, v4
	s_and_saveexec_b64 s[92:93], vcc
	s_cbranch_execz .LBB2_282
; %bb.275:                              ;   in Loop: Header=BB2_126 Depth=2
	v_and_b32_e32 v6, 0x7fffff, v4
	v_bfe_u32 v4, v4, 23, 8
	v_cmp_gt_u32_e64 s[22:23], s54, v4
	v_sub_u32_e32 v5, 0x79, v4
	v_cmp_eq_u32_e32 vcc, 0, v4
	v_cndmask_b32_e64 v5, 0, v5, s[22:23]
	v_or_b32_e32 v7, 0x800000, v6
	v_cndmask_b32_e32 v5, v5, v47, vcc
	v_cndmask_b32_e32 v32, v7, v6, vcc
	v_add_u32_e32 v6, 20, v5
	v_lshlrev_b64 v[6:7], v6, -1
	v_add_u32_e32 v8, 19, v5
	v_lshlrev_b64 v[8:9], v8, 1
	v_lshrrev_b64 v[40:41], v5, v[32:33]
	v_bfi_b32 v7, v7, 0, 0
	v_bfi_b32 v6, v6, 0, v32
	v_cmp_eq_u64_e64 s[22:23], v[6:7], v[8:9]
	v_mov_b32_e32 v42, v41
	v_mov_b32_e32 v41, v40
	s_and_saveexec_b64 s[94:95], s[22:23]
; %bb.276:                              ;   in Loop: Header=BB2_126 Depth=2
	v_bfe_u32 v6, v40, 20, 1
	v_add_co_u32_e64 v6, s[22:23], v40, v6
	v_add_co_u32_e64 v41, s[22:23], -1, v6
; %bb.277:                              ;   in Loop: Header=BB2_126 Depth=2
	s_or_b64 exec, exec, s[94:95]
	v_add_u32_e32 v4, 0xffffff81, v4
	v_cndmask_b32_e32 v4, v4, v44, vcc
	v_lshrrev_b32_e32 v6, 23, v40
	v_add3_u32 v6, v5, v4, v6
	v_add_u32_e32 v5, 6, v6
	v_and_b32_e32 v4, 0xfffff, v41
	v_add_u32_e32 v32, v4, v40
	v_cmp_ne_u32_e32 vcc, 0, v5
                                        ; implicit-def: $vgpr40_vgpr41
                                        ; implicit-def: $vgpr4
	s_and_saveexec_b64 s[22:23], vcc
	s_xor_b64 s[22:23], exec, s[22:23]
; %bb.278:                              ;   in Loop: Header=BB2_126 Depth=2
	v_cmp_lt_u64_e32 vcc, s[60:61], v[32:33]
	v_add_u32_e32 v4, 7, v6
	v_cndmask_b32_e32 v4, v5, v4, vcc
	v_cndmask_b32_e64 v5, 0, 1, vcc
	v_lshrrev_b64 v[40:41], v5, v[32:33]
; %bb.279:                              ;   in Loop: Header=BB2_126 Depth=2
	s_andn2_saveexec_b64 s[22:23], s[22:23]
; %bb.280:                              ;   in Loop: Header=BB2_126 Depth=2
	v_mov_b32_e32 v41, v33
	v_bfe_u32 v4, v32, 23, 1
	v_mov_b32_e32 v40, v32
; %bb.281:                              ;   in Loop: Header=BB2_126 Depth=2
	s_or_b64 exec, exec, s[22:23]
	v_lshrrev_b64 v[5:6], 20, v[40:41]
	v_cmp_gt_i32_e32 vcc, 16, v4
	v_cndmask_b32_e32 v6, 0, v6, vcc
	v_cndmask_b32_e32 v5, 7, v5, vcc
	v_cmp_eq_u32_e32 vcc, 0, v4
	v_min_i32_e32 v4, 15, v4
	v_cmp_eq_u64_e64 s[22:23], 0, v[5:6]
	v_lshlrev_b32_e32 v4, 3, v4
	v_and_b32_e32 v4, 0xf8, v4
	v_and_or_b32 v4, v5, 7, v4
	s_and_b64 s[22:23], vcc, s[22:23]
	v_cndmask_b32_e64 v4, v4, 0, s[22:23]
	v_or_b32_e32 v61, v4, v1
.LBB2_282:                              ;   in Loop: Header=BB2_126 Depth=2
	s_or_b64 exec, exec, s[92:93]
                                        ; implicit-def: $vgpr1
.LBB2_283:                              ;   in Loop: Header=BB2_126 Depth=2
	s_andn2_saveexec_b64 s[22:23], s[90:91]
; %bb.284:                              ;   in Loop: Header=BB2_126 Depth=2
	v_or_b32_e32 v61, 0x7e, v1
; %bb.285:                              ;   in Loop: Header=BB2_126 Depth=2
	s_or_b64 exec, exec, s[22:23]
                                        ; implicit-def: $vgpr4
.LBB2_286:                              ;   in Loop: Header=BB2_126 Depth=2
	s_andn2_saveexec_b64 s[22:23], s[88:89]
; %bb.287:                              ;   in Loop: Header=BB2_126 Depth=2
	v_or_b32_sdwa v61, v4, s51 dst_sel:DWORD dst_unused:UNUSED_PAD src0_sel:BYTE_3 src1_sel:DWORD
; %bb.288:                              ;   in Loop: Header=BB2_126 Depth=2
	s_or_b64 exec, exec, s[22:23]
	v_cmp_lt_u64_e32 vcc, s[62:63], v[10:11]
	v_mov_b32_e32 v1, 0
	s_and_saveexec_b64 s[22:23], vcc
	s_cbranch_execz .LBB2_294
; %bb.289:                              ;   in Loop: Header=BB2_126 Depth=2
	v_lshrrev_b32_e32 v10, 24, v11
	v_cmp_ne_u32_e32 vcc, s53, v10
	v_bfrev_b32_e32 v1, 1
	s_and_saveexec_b64 s[88:89], vcc
	s_cbranch_execz .LBB2_293
; %bb.290:                              ;   in Loop: Header=BB2_126 Depth=2
	v_bfe_u32 v4, v11, 24, 7
	v_cmp_ne_u32_e32 vcc, s51, v4
	v_mov_b32_e32 v1, 0x7f800001
	s_and_saveexec_b64 s[90:91], vcc
	s_cbranch_execz .LBB2_292
; %bb.291:                              ;   in Loop: Header=BB2_126 Depth=2
	v_and_b32_e32 v1, 7, v10
	v_lshrrev_b32_e32 v6, 3, v4
	v_cmp_gt_u32_e32 vcc, 8, v4
	v_ffbh_u32_e32 v4, v1
	v_min_u32_e32 v7, 32, v4
	v_subrev_u32_e32 v4, 28, v7
	v_lshlrev_b64 v[4:5], v4, v[10:11]
	v_sub_u32_e32 v5, 29, v7
	v_and_b32_e32 v4, 7, v4
	v_cndmask_b32_e32 v5, v6, v5, vcc
	v_cndmask_b32_e32 v1, v1, v4, vcc
	v_lshlrev_b32_e32 v4, 24, v10
	v_lshlrev_b32_e32 v1, 20, v1
	v_and_b32_e32 v4, 0x80000000, v4
	v_lshl_add_u32 v5, v5, 23, v3
	v_or3_b32 v1, v4, v5, v1
.LBB2_292:                              ;   in Loop: Header=BB2_126 Depth=2
	s_or_b64 exec, exec, s[90:91]
.LBB2_293:                              ;   in Loop: Header=BB2_126 Depth=2
	s_or_b64 exec, exec, s[88:89]
.LBB2_294:                              ;   in Loop: Header=BB2_126 Depth=2
	s_or_b64 exec, exec, s[22:23]
	v_mul_f32_e32 v4, v14, v1
	v_and_b32_e32 v32, 0x7f800000, v4
	v_cmp_ne_u64_e32 vcc, s[56:57], v[32:33]
                                        ; implicit-def: $vgpr48
	s_and_saveexec_b64 s[22:23], vcc
	s_xor_b64 s[88:89], exec, s[22:23]
	s_cbranch_execz .LBB2_308
; %bb.295:                              ;   in Loop: Header=BB2_126 Depth=2
	v_and_b32_e32 v32, 0x7fffffff, v4
	v_cmp_gt_u64_e32 vcc, s[58:59], v[32:33]
	v_and_b32_sdwa v1, v4, s53 dst_sel:DWORD dst_unused:UNUSED_PAD src0_sel:BYTE_3 src1_sel:DWORD
                                        ; implicit-def: $vgpr48
	s_and_saveexec_b64 s[22:23], vcc
	s_xor_b64 s[90:91], exec, s[22:23]
	s_cbranch_execz .LBB2_305
; %bb.296:                              ;   in Loop: Header=BB2_126 Depth=2
	v_mov_b32_e32 v48, 0
	v_cmp_ne_u32_e32 vcc, 0, v4
	s_and_saveexec_b64 s[92:93], vcc
	s_cbranch_execz .LBB2_304
; %bb.297:                              ;   in Loop: Header=BB2_126 Depth=2
	v_and_b32_e32 v6, 0x7fffff, v4
	v_bfe_u32 v4, v4, 23, 8
	v_cmp_gt_u32_e64 s[22:23], s54, v4
	v_sub_u32_e32 v5, 0x79, v4
	v_cmp_eq_u32_e32 vcc, 0, v4
	v_cndmask_b32_e64 v5, 0, v5, s[22:23]
	v_or_b32_e32 v7, 0x800000, v6
	v_cndmask_b32_e32 v5, v5, v47, vcc
	v_cndmask_b32_e32 v32, v7, v6, vcc
	v_add_u32_e32 v6, 20, v5
	v_lshlrev_b64 v[6:7], v6, -1
	v_add_u32_e32 v8, 19, v5
	v_lshlrev_b64 v[8:9], v8, 1
	v_lshrrev_b64 v[10:11], v5, v[32:33]
	v_bfi_b32 v7, v7, 0, 0
	v_bfi_b32 v6, v6, 0, v32
	v_cmp_eq_u64_e64 s[22:23], v[6:7], v[8:9]
	v_mov_b32_e32 v41, v11
	v_mov_b32_e32 v40, v10
	s_and_saveexec_b64 s[94:95], s[22:23]
; %bb.298:                              ;   in Loop: Header=BB2_126 Depth=2
	v_bfe_u32 v6, v10, 20, 1
	v_add_co_u32_e64 v6, s[22:23], v10, v6
	v_add_co_u32_e64 v40, s[22:23], -1, v6
; %bb.299:                              ;   in Loop: Header=BB2_126 Depth=2
	s_or_b64 exec, exec, s[94:95]
	v_add_u32_e32 v4, 0xffffff81, v4
	v_cndmask_b32_e32 v4, v4, v44, vcc
	v_lshrrev_b32_e32 v6, 23, v10
	v_add3_u32 v6, v5, v4, v6
	v_add_u32_e32 v5, 6, v6
	v_and_b32_e32 v4, 0xfffff, v40
	v_add_u32_e32 v32, v4, v10
	v_cmp_ne_u32_e32 vcc, 0, v5
                                        ; implicit-def: $vgpr10_vgpr11
                                        ; implicit-def: $vgpr4
	s_and_saveexec_b64 s[22:23], vcc
	s_xor_b64 s[22:23], exec, s[22:23]
; %bb.300:                              ;   in Loop: Header=BB2_126 Depth=2
	v_cmp_lt_u64_e32 vcc, s[60:61], v[32:33]
	v_add_u32_e32 v4, 7, v6
	v_cndmask_b32_e32 v4, v5, v4, vcc
	v_cndmask_b32_e64 v5, 0, 1, vcc
	v_lshrrev_b64 v[10:11], v5, v[32:33]
; %bb.301:                              ;   in Loop: Header=BB2_126 Depth=2
	s_andn2_saveexec_b64 s[22:23], s[22:23]
; %bb.302:                              ;   in Loop: Header=BB2_126 Depth=2
	v_mov_b32_e32 v10, v32
	v_bfe_u32 v4, v32, 23, 1
	v_mov_b32_e32 v11, v33
; %bb.303:                              ;   in Loop: Header=BB2_126 Depth=2
	s_or_b64 exec, exec, s[22:23]
	v_lshrrev_b64 v[5:6], 20, v[10:11]
	v_cmp_gt_i32_e32 vcc, 16, v4
	v_cndmask_b32_e32 v6, 0, v6, vcc
	v_cndmask_b32_e32 v5, 7, v5, vcc
	v_cmp_eq_u32_e32 vcc, 0, v4
	v_min_i32_e32 v4, 15, v4
	v_cmp_eq_u64_e64 s[22:23], 0, v[5:6]
	v_lshlrev_b32_e32 v4, 3, v4
	v_and_b32_e32 v4, 0xf8, v4
	v_and_or_b32 v4, v5, 7, v4
	s_and_b64 s[22:23], vcc, s[22:23]
	v_cndmask_b32_e64 v4, v4, 0, s[22:23]
	v_or_b32_e32 v48, v4, v1
.LBB2_304:                              ;   in Loop: Header=BB2_126 Depth=2
	s_or_b64 exec, exec, s[92:93]
                                        ; implicit-def: $vgpr1
.LBB2_305:                              ;   in Loop: Header=BB2_126 Depth=2
	s_andn2_saveexec_b64 s[22:23], s[90:91]
; %bb.306:                              ;   in Loop: Header=BB2_126 Depth=2
	v_or_b32_e32 v48, 0x7e, v1
; %bb.307:                              ;   in Loop: Header=BB2_126 Depth=2
	s_or_b64 exec, exec, s[22:23]
                                        ; implicit-def: $vgpr4
.LBB2_308:                              ;   in Loop: Header=BB2_126 Depth=2
	s_andn2_saveexec_b64 s[22:23], s[88:89]
; %bb.309:                              ;   in Loop: Header=BB2_126 Depth=2
	v_or_b32_sdwa v48, v4, s51 dst_sel:DWORD dst_unused:UNUSED_PAD src0_sel:BYTE_3 src1_sel:DWORD
; %bb.310:                              ;   in Loop: Header=BB2_126 Depth=2
	s_or_b64 exec, exec, s[22:23]
	v_cmp_ne_u16_sdwa s[88:89], v12, v33 src0_sel:BYTE_0 src1_sel:DWORD
	v_mov_b32_e32 v1, 0
	s_and_saveexec_b64 s[22:23], s[88:89]
	s_cbranch_execz .LBB2_316
; %bb.311:                              ;   in Loop: Header=BB2_126 Depth=2
	v_cmp_ne_u16_sdwa s[90:91], v12, s53 src0_sel:BYTE_0 src1_sel:DWORD
	v_bfrev_b32_e32 v1, 1
	s_and_saveexec_b64 s[88:89], s[90:91]
	s_cbranch_execz .LBB2_315
; %bb.312:                              ;   in Loop: Header=BB2_126 Depth=2
	v_and_b32_e32 v4, 0x7f, v12
	v_cmp_ne_u32_e32 vcc, s51, v4
	v_mov_b32_e32 v1, 0x7f800001
	s_and_saveexec_b64 s[90:91], vcc
	s_cbranch_execz .LBB2_314
; %bb.313:                              ;   in Loop: Header=BB2_126 Depth=2
	v_and_b32_e32 v1, 7, v12
	v_ffbh_u32_e32 v1, v1
	v_min_u32_e32 v1, 32, v1
	v_lshrrev_b32_e32 v5, 3, v4
	v_cmp_gt_u32_e32 vcc, 8, v4
	v_subrev_u32_e32 v4, 28, v1
	v_sub_u32_e32 v1, 29, v1
	v_cndmask_b32_e32 v4, 0, v4, vcc
	v_cndmask_b32_e32 v1, v5, v1, vcc
	v_lshlrev_b64 v[4:5], v4, v[12:13]
	v_lshlrev_b32_e32 v5, 24, v12
	v_lshlrev_b32_e32 v4, 20, v4
	v_and_b32_e32 v4, 0x700000, v4
	v_and_b32_e32 v5, 0x80000000, v5
	v_lshl_add_u32 v1, v1, 23, v3
	v_or3_b32 v1, v5, v1, v4
.LBB2_314:                              ;   in Loop: Header=BB2_126 Depth=2
	s_or_b64 exec, exec, s[90:91]
.LBB2_315:                              ;   in Loop: Header=BB2_126 Depth=2
	s_or_b64 exec, exec, s[88:89]
.LBB2_316:                              ;   in Loop: Header=BB2_126 Depth=2
	s_or_b64 exec, exec, s[22:23]
	v_mul_f32_e32 v4, v14, v1
	v_and_b32_e32 v32, 0x7f800000, v4
	v_cmp_ne_u64_e32 vcc, s[56:57], v[32:33]
                                        ; implicit-def: $vgpr15
	s_and_saveexec_b64 s[22:23], vcc
	s_xor_b64 s[88:89], exec, s[22:23]
	s_cbranch_execz .LBB2_330
; %bb.317:                              ;   in Loop: Header=BB2_126 Depth=2
	v_and_b32_e32 v32, 0x7fffffff, v4
	v_cmp_gt_u64_e32 vcc, s[58:59], v[32:33]
	v_and_b32_sdwa v1, v4, s53 dst_sel:DWORD dst_unused:UNUSED_PAD src0_sel:BYTE_3 src1_sel:DWORD
                                        ; implicit-def: $vgpr15
	s_and_saveexec_b64 s[22:23], vcc
	s_xor_b64 s[90:91], exec, s[22:23]
	s_cbranch_execz .LBB2_327
; %bb.318:                              ;   in Loop: Header=BB2_126 Depth=2
	v_mov_b32_e32 v15, 0
	v_cmp_ne_u32_e32 vcc, 0, v4
	s_and_saveexec_b64 s[92:93], vcc
	s_cbranch_execz .LBB2_326
; %bb.319:                              ;   in Loop: Header=BB2_126 Depth=2
	v_and_b32_e32 v6, 0x7fffff, v4
	v_bfe_u32 v4, v4, 23, 8
	v_cmp_gt_u32_e64 s[22:23], s54, v4
	v_sub_u32_e32 v5, 0x79, v4
	v_cmp_eq_u32_e32 vcc, 0, v4
	v_cndmask_b32_e64 v5, 0, v5, s[22:23]
	v_or_b32_e32 v7, 0x800000, v6
	v_cndmask_b32_e32 v5, v5, v47, vcc
	v_cndmask_b32_e32 v32, v7, v6, vcc
	v_add_u32_e32 v6, 20, v5
	v_lshlrev_b64 v[6:7], v6, -1
	v_add_u32_e32 v8, 19, v5
	v_lshlrev_b64 v[8:9], v8, 1
	v_lshrrev_b64 v[10:11], v5, v[32:33]
	v_bfi_b32 v7, v7, 0, 0
	v_bfi_b32 v6, v6, 0, v32
	v_cmp_eq_u64_e64 s[22:23], v[6:7], v[8:9]
	v_mov_b32_e32 v41, v11
	v_mov_b32_e32 v40, v10
	s_and_saveexec_b64 s[94:95], s[22:23]
; %bb.320:                              ;   in Loop: Header=BB2_126 Depth=2
	v_bfe_u32 v6, v10, 20, 1
	v_add_co_u32_e64 v6, s[22:23], v10, v6
	v_add_co_u32_e64 v40, s[22:23], -1, v6
; %bb.321:                              ;   in Loop: Header=BB2_126 Depth=2
	s_or_b64 exec, exec, s[94:95]
	v_add_u32_e32 v4, 0xffffff81, v4
	v_cndmask_b32_e32 v4, v4, v44, vcc
	v_lshrrev_b32_e32 v6, 23, v10
	v_add3_u32 v6, v5, v4, v6
	v_add_u32_e32 v5, 6, v6
	v_and_b32_e32 v4, 0xfffff, v40
	v_add_u32_e32 v32, v4, v10
	v_cmp_ne_u32_e32 vcc, 0, v5
                                        ; implicit-def: $vgpr10_vgpr11
                                        ; implicit-def: $vgpr4
	s_and_saveexec_b64 s[22:23], vcc
	s_xor_b64 s[22:23], exec, s[22:23]
; %bb.322:                              ;   in Loop: Header=BB2_126 Depth=2
	v_cmp_lt_u64_e32 vcc, s[60:61], v[32:33]
	v_add_u32_e32 v4, 7, v6
	v_cndmask_b32_e32 v4, v5, v4, vcc
	v_cndmask_b32_e64 v5, 0, 1, vcc
	v_lshrrev_b64 v[10:11], v5, v[32:33]
; %bb.323:                              ;   in Loop: Header=BB2_126 Depth=2
	s_andn2_saveexec_b64 s[22:23], s[22:23]
; %bb.324:                              ;   in Loop: Header=BB2_126 Depth=2
	v_mov_b32_e32 v10, v32
	v_bfe_u32 v4, v32, 23, 1
	v_mov_b32_e32 v11, v33
; %bb.325:                              ;   in Loop: Header=BB2_126 Depth=2
	s_or_b64 exec, exec, s[22:23]
	v_lshrrev_b64 v[5:6], 20, v[10:11]
	v_cmp_gt_i32_e32 vcc, 16, v4
	v_cndmask_b32_e32 v6, 0, v6, vcc
	v_cndmask_b32_e32 v5, 7, v5, vcc
	v_cmp_eq_u32_e32 vcc, 0, v4
	v_min_i32_e32 v4, 15, v4
	v_cmp_eq_u64_e64 s[22:23], 0, v[5:6]
	v_lshlrev_b32_e32 v4, 3, v4
	v_and_b32_e32 v4, 0xf8, v4
	v_and_or_b32 v4, v5, 7, v4
	s_and_b64 s[22:23], vcc, s[22:23]
	v_cndmask_b32_e64 v4, v4, 0, s[22:23]
	v_or_b32_e32 v15, v4, v1
.LBB2_326:                              ;   in Loop: Header=BB2_126 Depth=2
	s_or_b64 exec, exec, s[92:93]
                                        ; implicit-def: $vgpr1
.LBB2_327:                              ;   in Loop: Header=BB2_126 Depth=2
	s_andn2_saveexec_b64 s[22:23], s[90:91]
; %bb.328:                              ;   in Loop: Header=BB2_126 Depth=2
	v_or_b32_e32 v15, 0x7e, v1
; %bb.329:                              ;   in Loop: Header=BB2_126 Depth=2
	s_or_b64 exec, exec, s[22:23]
                                        ; implicit-def: $vgpr4
.LBB2_330:                              ;   in Loop: Header=BB2_126 Depth=2
	s_andn2_saveexec_b64 s[22:23], s[88:89]
; %bb.331:                              ;   in Loop: Header=BB2_126 Depth=2
	v_or_b32_sdwa v15, v4, s51 dst_sel:DWORD dst_unused:UNUSED_PAD src0_sel:BYTE_3 src1_sel:DWORD
; %bb.332:                              ;   in Loop: Header=BB2_126 Depth=2
	s_or_b64 exec, exec, s[22:23]
	v_lshrrev_b16_e32 v10, 8, v12
	v_cmp_ne_u16_e32 vcc, 0, v10
	v_mov_b32_e32 v1, 0
	s_and_saveexec_b64 s[22:23], vcc
	s_cbranch_execz .LBB2_338
; %bb.333:                              ;   in Loop: Header=BB2_126 Depth=2
	v_cmp_ne_u16_e32 vcc, s53, v10
	v_bfrev_b32_e32 v1, 1
	s_and_saveexec_b64 s[88:89], vcc
	s_cbranch_execz .LBB2_337
; %bb.334:                              ;   in Loop: Header=BB2_126 Depth=2
	v_and_b32_e32 v4, 0x7f, v10
	v_cmp_ne_u32_e32 vcc, s51, v4
	v_mov_b32_e32 v1, 0x7f800001
	s_and_saveexec_b64 s[90:91], vcc
	s_cbranch_execz .LBB2_336
; %bb.335:                              ;   in Loop: Header=BB2_126 Depth=2
	v_and_b32_e32 v1, 7, v10
	v_lshrrev_b32_e32 v6, 3, v4
	v_cmp_gt_u32_e32 vcc, 8, v4
	v_ffbh_u32_e32 v4, v1
	v_min_u32_e32 v7, 32, v4
	v_subrev_u32_e32 v4, 28, v7
	v_lshlrev_b64 v[4:5], v4, v[10:11]
	v_sub_u32_e32 v5, 29, v7
	v_and_b32_e32 v4, 7, v4
	v_cndmask_b32_e32 v5, v6, v5, vcc
	v_cndmask_b32_e32 v1, v1, v4, vcc
	v_lshlrev_b32_e32 v4, 16, v12
	v_lshlrev_b32_e32 v1, 20, v1
	v_and_b32_e32 v4, 0x80000000, v4
	v_lshl_add_u32 v5, v5, 23, v3
	v_or3_b32 v1, v4, v5, v1
.LBB2_336:                              ;   in Loop: Header=BB2_126 Depth=2
	s_or_b64 exec, exec, s[90:91]
.LBB2_337:                              ;   in Loop: Header=BB2_126 Depth=2
	s_or_b64 exec, exec, s[88:89]
.LBB2_338:                              ;   in Loop: Header=BB2_126 Depth=2
	s_or_b64 exec, exec, s[22:23]
	v_mul_f32_e32 v4, v14, v1
	v_and_b32_e32 v32, 0x7f800000, v4
	v_cmp_ne_u64_e32 vcc, s[56:57], v[32:33]
                                        ; implicit-def: $vgpr57
	s_and_saveexec_b64 s[22:23], vcc
	s_xor_b64 s[88:89], exec, s[22:23]
	s_cbranch_execz .LBB2_352
; %bb.339:                              ;   in Loop: Header=BB2_126 Depth=2
	v_and_b32_e32 v32, 0x7fffffff, v4
	v_cmp_gt_u64_e32 vcc, s[58:59], v[32:33]
	v_and_b32_sdwa v1, v4, s53 dst_sel:DWORD dst_unused:UNUSED_PAD src0_sel:BYTE_3 src1_sel:DWORD
                                        ; implicit-def: $vgpr57
	s_and_saveexec_b64 s[22:23], vcc
	s_xor_b64 s[90:91], exec, s[22:23]
	s_cbranch_execz .LBB2_349
; %bb.340:                              ;   in Loop: Header=BB2_126 Depth=2
	v_mov_b32_e32 v57, 0
	v_cmp_ne_u32_e32 vcc, 0, v4
	s_and_saveexec_b64 s[92:93], vcc
	s_cbranch_execz .LBB2_348
; %bb.341:                              ;   in Loop: Header=BB2_126 Depth=2
	v_and_b32_e32 v6, 0x7fffff, v4
	v_bfe_u32 v4, v4, 23, 8
	v_cmp_gt_u32_e64 s[22:23], s54, v4
	v_sub_u32_e32 v5, 0x79, v4
	v_cmp_eq_u32_e32 vcc, 0, v4
	v_cndmask_b32_e64 v5, 0, v5, s[22:23]
	v_or_b32_e32 v7, 0x800000, v6
	v_cndmask_b32_e32 v5, v5, v47, vcc
	v_cndmask_b32_e32 v32, v7, v6, vcc
	v_add_u32_e32 v6, 20, v5
	v_lshlrev_b64 v[6:7], v6, -1
	v_add_u32_e32 v8, 19, v5
	v_lshlrev_b64 v[8:9], v8, 1
	v_lshrrev_b64 v[10:11], v5, v[32:33]
	v_bfi_b32 v7, v7, 0, 0
	v_bfi_b32 v6, v6, 0, v32
	v_cmp_eq_u64_e64 s[22:23], v[6:7], v[8:9]
	v_mov_b32_e32 v41, v11
	v_mov_b32_e32 v40, v10
	s_and_saveexec_b64 s[94:95], s[22:23]
; %bb.342:                              ;   in Loop: Header=BB2_126 Depth=2
	v_bfe_u32 v6, v10, 20, 1
	v_add_co_u32_e64 v6, s[22:23], v10, v6
	v_add_co_u32_e64 v40, s[22:23], -1, v6
; %bb.343:                              ;   in Loop: Header=BB2_126 Depth=2
	s_or_b64 exec, exec, s[94:95]
	v_add_u32_e32 v4, 0xffffff81, v4
	v_cndmask_b32_e32 v4, v4, v44, vcc
	v_lshrrev_b32_e32 v6, 23, v10
	v_add3_u32 v6, v5, v4, v6
	v_add_u32_e32 v5, 6, v6
	v_and_b32_e32 v4, 0xfffff, v40
	v_add_u32_e32 v32, v4, v10
	v_cmp_ne_u32_e32 vcc, 0, v5
                                        ; implicit-def: $vgpr10_vgpr11
                                        ; implicit-def: $vgpr4
	s_and_saveexec_b64 s[22:23], vcc
	s_xor_b64 s[22:23], exec, s[22:23]
; %bb.344:                              ;   in Loop: Header=BB2_126 Depth=2
	v_cmp_lt_u64_e32 vcc, s[60:61], v[32:33]
	v_add_u32_e32 v4, 7, v6
	v_cndmask_b32_e32 v4, v5, v4, vcc
	v_cndmask_b32_e64 v5, 0, 1, vcc
	v_lshrrev_b64 v[10:11], v5, v[32:33]
; %bb.345:                              ;   in Loop: Header=BB2_126 Depth=2
	s_andn2_saveexec_b64 s[22:23], s[22:23]
; %bb.346:                              ;   in Loop: Header=BB2_126 Depth=2
	v_mov_b32_e32 v10, v32
	v_bfe_u32 v4, v32, 23, 1
	v_mov_b32_e32 v11, v33
; %bb.347:                              ;   in Loop: Header=BB2_126 Depth=2
	s_or_b64 exec, exec, s[22:23]
	v_lshrrev_b64 v[5:6], 20, v[10:11]
	v_cmp_gt_i32_e32 vcc, 16, v4
	v_cndmask_b32_e32 v6, 0, v6, vcc
	v_cndmask_b32_e32 v5, 7, v5, vcc
	v_cmp_eq_u32_e32 vcc, 0, v4
	v_min_i32_e32 v4, 15, v4
	v_cmp_eq_u64_e64 s[22:23], 0, v[5:6]
	v_lshlrev_b32_e32 v4, 3, v4
	v_and_b32_e32 v4, 0xf8, v4
	v_and_or_b32 v4, v5, 7, v4
	s_and_b64 s[22:23], vcc, s[22:23]
	v_cndmask_b32_e64 v4, v4, 0, s[22:23]
	v_or_b32_e32 v57, v4, v1
.LBB2_348:                              ;   in Loop: Header=BB2_126 Depth=2
	s_or_b64 exec, exec, s[92:93]
                                        ; implicit-def: $vgpr1
.LBB2_349:                              ;   in Loop: Header=BB2_126 Depth=2
	s_andn2_saveexec_b64 s[22:23], s[90:91]
; %bb.350:                              ;   in Loop: Header=BB2_126 Depth=2
	v_or_b32_e32 v57, 0x7e, v1
; %bb.351:                              ;   in Loop: Header=BB2_126 Depth=2
	s_or_b64 exec, exec, s[22:23]
                                        ; implicit-def: $vgpr4
.LBB2_352:                              ;   in Loop: Header=BB2_126 Depth=2
	s_andn2_saveexec_b64 s[22:23], s[88:89]
; %bb.353:                              ;   in Loop: Header=BB2_126 Depth=2
	v_or_b32_sdwa v57, v4, s51 dst_sel:DWORD dst_unused:UNUSED_PAD src0_sel:BYTE_3 src1_sel:DWORD
; %bb.354:                              ;   in Loop: Header=BB2_126 Depth=2
	s_or_b64 exec, exec, s[22:23]
	v_lshrrev_b32_e32 v10, 16, v12
	v_cmp_ne_u16_sdwa s[88:89], v10, v33 src0_sel:BYTE_0 src1_sel:DWORD
	v_mov_b32_e32 v1, 0
	s_and_saveexec_b64 s[22:23], s[88:89]
	s_cbranch_execz .LBB2_360
; %bb.355:                              ;   in Loop: Header=BB2_126 Depth=2
	v_cmp_ne_u16_sdwa s[90:91], v10, s53 src0_sel:BYTE_0 src1_sel:DWORD
	v_bfrev_b32_e32 v1, 1
	s_and_saveexec_b64 s[88:89], s[90:91]
	s_cbranch_execz .LBB2_359
; %bb.356:                              ;   in Loop: Header=BB2_126 Depth=2
	v_bfe_u32 v4, v12, 16, 7
	v_cmp_ne_u32_e32 vcc, s51, v4
	v_mov_b32_e32 v1, 0x7f800001
	s_and_saveexec_b64 s[90:91], vcc
	s_cbranch_execz .LBB2_358
; %bb.357:                              ;   in Loop: Header=BB2_126 Depth=2
	v_and_b32_e32 v1, 7, v10
	v_lshrrev_b32_e32 v6, 3, v4
	v_cmp_gt_u32_e32 vcc, 8, v4
	v_ffbh_u32_e32 v4, v1
	v_min_u32_e32 v7, 32, v4
	v_subrev_u32_e32 v4, 28, v7
	v_lshlrev_b64 v[4:5], v4, v[10:11]
	v_sub_u32_e32 v5, 29, v7
	v_and_b32_e32 v4, 7, v4
	v_cndmask_b32_e32 v5, v6, v5, vcc
	v_cndmask_b32_e32 v1, v1, v4, vcc
	v_lshlrev_b32_e32 v4, 24, v10
	v_lshlrev_b32_e32 v1, 20, v1
	v_and_b32_e32 v4, 0x80000000, v4
	v_lshl_add_u32 v5, v5, 23, v3
	v_or3_b32 v1, v4, v5, v1
.LBB2_358:                              ;   in Loop: Header=BB2_126 Depth=2
	s_or_b64 exec, exec, s[90:91]
.LBB2_359:                              ;   in Loop: Header=BB2_126 Depth=2
	s_or_b64 exec, exec, s[88:89]
.LBB2_360:                              ;   in Loop: Header=BB2_126 Depth=2
	s_or_b64 exec, exec, s[22:23]
	v_mul_f32_e32 v4, v14, v1
	v_and_b32_e32 v32, 0x7f800000, v4
	v_cmp_ne_u64_e32 vcc, s[56:57], v[32:33]
                                        ; implicit-def: $vgpr21
	s_and_saveexec_b64 s[22:23], vcc
	s_xor_b64 s[88:89], exec, s[22:23]
	s_cbranch_execz .LBB2_374
; %bb.361:                              ;   in Loop: Header=BB2_126 Depth=2
	v_and_b32_e32 v32, 0x7fffffff, v4
	v_cmp_gt_u64_e32 vcc, s[58:59], v[32:33]
	v_and_b32_sdwa v1, v4, s53 dst_sel:DWORD dst_unused:UNUSED_PAD src0_sel:BYTE_3 src1_sel:DWORD
                                        ; implicit-def: $vgpr21
	s_and_saveexec_b64 s[22:23], vcc
	s_xor_b64 s[90:91], exec, s[22:23]
	s_cbranch_execz .LBB2_371
; %bb.362:                              ;   in Loop: Header=BB2_126 Depth=2
	v_mov_b32_e32 v21, 0
	v_cmp_ne_u32_e32 vcc, 0, v4
	s_and_saveexec_b64 s[92:93], vcc
	s_cbranch_execz .LBB2_370
; %bb.363:                              ;   in Loop: Header=BB2_126 Depth=2
	v_and_b32_e32 v6, 0x7fffff, v4
	v_bfe_u32 v4, v4, 23, 8
	v_cmp_gt_u32_e64 s[22:23], s54, v4
	v_sub_u32_e32 v5, 0x79, v4
	v_cmp_eq_u32_e32 vcc, 0, v4
	v_cndmask_b32_e64 v5, 0, v5, s[22:23]
	v_or_b32_e32 v7, 0x800000, v6
	v_cndmask_b32_e32 v5, v5, v47, vcc
	v_cndmask_b32_e32 v32, v7, v6, vcc
	v_add_u32_e32 v6, 20, v5
	v_lshlrev_b64 v[6:7], v6, -1
	v_add_u32_e32 v8, 19, v5
	v_lshlrev_b64 v[8:9], v8, 1
	v_lshrrev_b64 v[10:11], v5, v[32:33]
	v_bfi_b32 v7, v7, 0, 0
	v_bfi_b32 v6, v6, 0, v32
	v_cmp_eq_u64_e64 s[22:23], v[6:7], v[8:9]
	v_mov_b32_e32 v41, v11
	v_mov_b32_e32 v40, v10
	s_and_saveexec_b64 s[94:95], s[22:23]
; %bb.364:                              ;   in Loop: Header=BB2_126 Depth=2
	v_bfe_u32 v6, v10, 20, 1
	v_add_co_u32_e64 v6, s[22:23], v10, v6
	v_add_co_u32_e64 v40, s[22:23], -1, v6
; %bb.365:                              ;   in Loop: Header=BB2_126 Depth=2
	s_or_b64 exec, exec, s[94:95]
	v_add_u32_e32 v4, 0xffffff81, v4
	v_cndmask_b32_e32 v4, v4, v44, vcc
	v_lshrrev_b32_e32 v6, 23, v10
	v_add3_u32 v6, v5, v4, v6
	v_add_u32_e32 v5, 6, v6
	v_and_b32_e32 v4, 0xfffff, v40
	v_add_u32_e32 v32, v4, v10
	v_cmp_ne_u32_e32 vcc, 0, v5
                                        ; implicit-def: $vgpr10_vgpr11
                                        ; implicit-def: $vgpr4
	s_and_saveexec_b64 s[22:23], vcc
	s_xor_b64 s[22:23], exec, s[22:23]
; %bb.366:                              ;   in Loop: Header=BB2_126 Depth=2
	v_cmp_lt_u64_e32 vcc, s[60:61], v[32:33]
	v_add_u32_e32 v4, 7, v6
	v_cndmask_b32_e32 v4, v5, v4, vcc
	v_cndmask_b32_e64 v5, 0, 1, vcc
	v_lshrrev_b64 v[10:11], v5, v[32:33]
; %bb.367:                              ;   in Loop: Header=BB2_126 Depth=2
	s_andn2_saveexec_b64 s[22:23], s[22:23]
; %bb.368:                              ;   in Loop: Header=BB2_126 Depth=2
	v_mov_b32_e32 v10, v32
	v_bfe_u32 v4, v32, 23, 1
	v_mov_b32_e32 v11, v33
; %bb.369:                              ;   in Loop: Header=BB2_126 Depth=2
	s_or_b64 exec, exec, s[22:23]
	v_lshrrev_b64 v[5:6], 20, v[10:11]
	v_cmp_gt_i32_e32 vcc, 16, v4
	v_cndmask_b32_e32 v6, 0, v6, vcc
	v_cndmask_b32_e32 v5, 7, v5, vcc
	v_cmp_eq_u32_e32 vcc, 0, v4
	v_min_i32_e32 v4, 15, v4
	v_cmp_eq_u64_e64 s[22:23], 0, v[5:6]
	v_lshlrev_b32_e32 v4, 3, v4
	v_and_b32_e32 v4, 0xf8, v4
	v_and_or_b32 v4, v5, 7, v4
	s_and_b64 s[22:23], vcc, s[22:23]
	v_cndmask_b32_e64 v4, v4, 0, s[22:23]
	v_or_b32_e32 v21, v4, v1
.LBB2_370:                              ;   in Loop: Header=BB2_126 Depth=2
	s_or_b64 exec, exec, s[92:93]
                                        ; implicit-def: $vgpr1
.LBB2_371:                              ;   in Loop: Header=BB2_126 Depth=2
	s_andn2_saveexec_b64 s[22:23], s[90:91]
; %bb.372:                              ;   in Loop: Header=BB2_126 Depth=2
	v_or_b32_e32 v21, 0x7e, v1
; %bb.373:                              ;   in Loop: Header=BB2_126 Depth=2
	s_or_b64 exec, exec, s[22:23]
                                        ; implicit-def: $vgpr4
.LBB2_374:                              ;   in Loop: Header=BB2_126 Depth=2
	s_andn2_saveexec_b64 s[22:23], s[88:89]
; %bb.375:                              ;   in Loop: Header=BB2_126 Depth=2
	v_or_b32_sdwa v21, v4, s51 dst_sel:DWORD dst_unused:UNUSED_PAD src0_sel:BYTE_3 src1_sel:DWORD
; %bb.376:                              ;   in Loop: Header=BB2_126 Depth=2
	s_or_b64 exec, exec, s[22:23]
	v_cmp_lt_u32_e32 vcc, s63, v12
	v_mov_b32_e32 v1, 0
	s_and_saveexec_b64 s[22:23], vcc
	s_cbranch_execz .LBB2_382
; %bb.377:                              ;   in Loop: Header=BB2_126 Depth=2
	v_lshrrev_b32_e32 v10, 24, v12
	v_cmp_ne_u32_e32 vcc, s53, v10
	v_bfrev_b32_e32 v1, 1
	s_and_saveexec_b64 s[88:89], vcc
	s_cbranch_execz .LBB2_381
; %bb.378:                              ;   in Loop: Header=BB2_126 Depth=2
	v_bfe_u32 v4, v12, 24, 7
	v_cmp_ne_u32_e32 vcc, s51, v4
	v_mov_b32_e32 v1, 0x7f800001
	s_and_saveexec_b64 s[90:91], vcc
	s_cbranch_execz .LBB2_380
; %bb.379:                              ;   in Loop: Header=BB2_126 Depth=2
	v_and_b32_e32 v1, 7, v10
	v_lshrrev_b32_e32 v6, 3, v4
	v_cmp_gt_u32_e32 vcc, 8, v4
	v_ffbh_u32_e32 v4, v1
	v_min_u32_e32 v7, 32, v4
	v_subrev_u32_e32 v4, 28, v7
	v_lshlrev_b64 v[4:5], v4, v[10:11]
	v_sub_u32_e32 v5, 29, v7
	v_and_b32_e32 v4, 7, v4
	v_cndmask_b32_e32 v5, v6, v5, vcc
	v_cndmask_b32_e32 v1, v1, v4, vcc
	v_lshlrev_b32_e32 v4, 24, v10
	v_lshlrev_b32_e32 v1, 20, v1
	v_and_b32_e32 v4, 0x80000000, v4
	v_lshl_add_u32 v5, v5, 23, v3
	v_or3_b32 v1, v4, v5, v1
.LBB2_380:                              ;   in Loop: Header=BB2_126 Depth=2
	s_or_b64 exec, exec, s[90:91]
.LBB2_381:                              ;   in Loop: Header=BB2_126 Depth=2
	s_or_b64 exec, exec, s[88:89]
.LBB2_382:                              ;   in Loop: Header=BB2_126 Depth=2
	s_or_b64 exec, exec, s[22:23]
	v_mul_f32_e32 v4, v14, v1
	v_and_b32_e32 v32, 0x7f800000, v4
	v_cmp_ne_u64_e32 vcc, s[56:57], v[32:33]
                                        ; implicit-def: $vgpr39
	s_and_saveexec_b64 s[22:23], vcc
	s_xor_b64 s[88:89], exec, s[22:23]
	s_cbranch_execz .LBB2_396
; %bb.383:                              ;   in Loop: Header=BB2_126 Depth=2
	v_and_b32_e32 v32, 0x7fffffff, v4
	v_cmp_gt_u64_e32 vcc, s[58:59], v[32:33]
	v_and_b32_sdwa v1, v4, s53 dst_sel:DWORD dst_unused:UNUSED_PAD src0_sel:BYTE_3 src1_sel:DWORD
                                        ; implicit-def: $vgpr39
	s_and_saveexec_b64 s[22:23], vcc
	s_xor_b64 s[90:91], exec, s[22:23]
	s_cbranch_execz .LBB2_393
; %bb.384:                              ;   in Loop: Header=BB2_126 Depth=2
	v_mov_b32_e32 v39, 0
	v_cmp_ne_u32_e32 vcc, 0, v4
	s_and_saveexec_b64 s[92:93], vcc
	s_cbranch_execz .LBB2_392
; %bb.385:                              ;   in Loop: Header=BB2_126 Depth=2
	v_and_b32_e32 v6, 0x7fffff, v4
	v_bfe_u32 v4, v4, 23, 8
	v_cmp_gt_u32_e64 s[22:23], s54, v4
	v_sub_u32_e32 v5, 0x79, v4
	v_cmp_eq_u32_e32 vcc, 0, v4
	v_cndmask_b32_e64 v5, 0, v5, s[22:23]
	v_or_b32_e32 v7, 0x800000, v6
	v_cndmask_b32_e32 v5, v5, v47, vcc
	v_cndmask_b32_e32 v32, v7, v6, vcc
	v_add_u32_e32 v6, 20, v5
	v_lshlrev_b64 v[6:7], v6, -1
	v_add_u32_e32 v8, 19, v5
	v_lshlrev_b64 v[8:9], v8, 1
	v_lshrrev_b64 v[10:11], v5, v[32:33]
	v_bfi_b32 v7, v7, 0, 0
	v_bfi_b32 v6, v6, 0, v32
	v_cmp_eq_u64_e64 s[22:23], v[6:7], v[8:9]
	v_mov_b32_e32 v41, v11
	v_mov_b32_e32 v40, v10
	s_and_saveexec_b64 s[94:95], s[22:23]
; %bb.386:                              ;   in Loop: Header=BB2_126 Depth=2
	v_bfe_u32 v6, v10, 20, 1
	v_add_co_u32_e64 v6, s[22:23], v10, v6
	v_add_co_u32_e64 v40, s[22:23], -1, v6
; %bb.387:                              ;   in Loop: Header=BB2_126 Depth=2
	s_or_b64 exec, exec, s[94:95]
	v_add_u32_e32 v4, 0xffffff81, v4
	v_cndmask_b32_e32 v4, v4, v44, vcc
	v_lshrrev_b32_e32 v6, 23, v10
	v_add3_u32 v6, v5, v4, v6
	v_add_u32_e32 v5, 6, v6
	v_and_b32_e32 v4, 0xfffff, v40
	v_add_u32_e32 v32, v4, v10
	v_cmp_ne_u32_e32 vcc, 0, v5
                                        ; implicit-def: $vgpr10_vgpr11
                                        ; implicit-def: $vgpr4
	s_and_saveexec_b64 s[22:23], vcc
	s_xor_b64 s[22:23], exec, s[22:23]
; %bb.388:                              ;   in Loop: Header=BB2_126 Depth=2
	v_cmp_lt_u64_e32 vcc, s[60:61], v[32:33]
	v_add_u32_e32 v4, 7, v6
	v_cndmask_b32_e32 v4, v5, v4, vcc
	v_cndmask_b32_e64 v5, 0, 1, vcc
	v_lshrrev_b64 v[10:11], v5, v[32:33]
; %bb.389:                              ;   in Loop: Header=BB2_126 Depth=2
	s_andn2_saveexec_b64 s[22:23], s[22:23]
; %bb.390:                              ;   in Loop: Header=BB2_126 Depth=2
	v_mov_b32_e32 v10, v32
	v_bfe_u32 v4, v32, 23, 1
	v_mov_b32_e32 v11, v33
; %bb.391:                              ;   in Loop: Header=BB2_126 Depth=2
	s_or_b64 exec, exec, s[22:23]
	v_lshrrev_b64 v[5:6], 20, v[10:11]
	v_cmp_gt_i32_e32 vcc, 16, v4
	v_cndmask_b32_e32 v6, 0, v6, vcc
	v_cndmask_b32_e32 v5, 7, v5, vcc
	v_cmp_eq_u32_e32 vcc, 0, v4
	v_min_i32_e32 v4, 15, v4
	v_cmp_eq_u64_e64 s[22:23], 0, v[5:6]
	v_lshlrev_b32_e32 v4, 3, v4
	v_and_b32_e32 v4, 0xf8, v4
	v_and_or_b32 v4, v5, 7, v4
	s_and_b64 s[22:23], vcc, s[22:23]
	v_cndmask_b32_e64 v4, v4, 0, s[22:23]
	v_or_b32_e32 v39, v4, v1
.LBB2_392:                              ;   in Loop: Header=BB2_126 Depth=2
	s_or_b64 exec, exec, s[92:93]
                                        ; implicit-def: $vgpr1
.LBB2_393:                              ;   in Loop: Header=BB2_126 Depth=2
	s_andn2_saveexec_b64 s[22:23], s[90:91]
; %bb.394:                              ;   in Loop: Header=BB2_126 Depth=2
	v_or_b32_e32 v39, 0x7e, v1
; %bb.395:                              ;   in Loop: Header=BB2_126 Depth=2
	s_or_b64 exec, exec, s[22:23]
                                        ; implicit-def: $vgpr4
.LBB2_396:                              ;   in Loop: Header=BB2_126 Depth=2
	s_andn2_saveexec_b64 s[22:23], s[88:89]
; %bb.397:                              ;   in Loop: Header=BB2_126 Depth=2
	v_or_b32_sdwa v39, v4, s51 dst_sel:DWORD dst_unused:UNUSED_PAD src0_sel:BYTE_3 src1_sel:DWORD
; %bb.398:                              ;   in Loop: Header=BB2_126 Depth=2
	s_or_b64 exec, exec, s[22:23]
	v_mov_b32_e32 v32, v13
	v_cmp_ne_u16_sdwa s[88:89], v13, v33 src0_sel:BYTE_0 src1_sel:DWORD
	v_mov_b32_e32 v1, 0
	s_and_saveexec_b64 s[22:23], s[88:89]
	s_cbranch_execz .LBB2_404
; %bb.399:                              ;   in Loop: Header=BB2_126 Depth=2
	v_cmp_ne_u16_sdwa s[90:91], v13, s53 src0_sel:BYTE_0 src1_sel:DWORD
	v_bfrev_b32_e32 v1, 1
	s_and_saveexec_b64 s[88:89], s[90:91]
	s_cbranch_execz .LBB2_403
; %bb.400:                              ;   in Loop: Header=BB2_126 Depth=2
	v_and_b32_e32 v4, 0x7f, v13
	v_cmp_ne_u32_e32 vcc, s51, v4
	v_mov_b32_e32 v1, 0x7f800001
	s_and_saveexec_b64 s[90:91], vcc
	s_cbranch_execz .LBB2_402
; %bb.401:                              ;   in Loop: Header=BB2_126 Depth=2
	v_and_b32_e32 v1, 7, v13
	v_ffbh_u32_e32 v1, v1
	v_min_u32_e32 v1, 32, v1
	v_lshrrev_b32_e32 v5, 3, v4
	v_cmp_gt_u32_e32 vcc, 8, v4
	v_subrev_u32_e32 v4, 28, v1
	v_sub_u32_e32 v1, 29, v1
	v_cndmask_b32_e32 v4, 0, v4, vcc
	v_cndmask_b32_e32 v1, v5, v1, vcc
	v_lshlrev_b64 v[4:5], v4, v[32:33]
	v_lshlrev_b32_e32 v5, 24, v32
	v_lshlrev_b32_e32 v4, 20, v4
	v_and_b32_e32 v4, 0x700000, v4
	v_and_b32_e32 v5, 0x80000000, v5
	v_lshl_add_u32 v1, v1, 23, v3
	v_or3_b32 v1, v5, v1, v4
.LBB2_402:                              ;   in Loop: Header=BB2_126 Depth=2
	s_or_b64 exec, exec, s[90:91]
.LBB2_403:                              ;   in Loop: Header=BB2_126 Depth=2
	s_or_b64 exec, exec, s[88:89]
.LBB2_404:                              ;   in Loop: Header=BB2_126 Depth=2
	s_or_b64 exec, exec, s[22:23]
	v_mul_f32_e32 v5, v14, v1
	v_and_b32_e32 v6, 0x7f800000, v5
	v_mov_b32_e32 v7, v33
	v_cmp_ne_u64_e32 vcc, s[56:57], v[6:7]
                                        ; implicit-def: $vgpr1
	s_and_saveexec_b64 s[22:23], vcc
	s_xor_b64 s[88:89], exec, s[22:23]
	s_cbranch_execz .LBB2_418
; %bb.405:                              ;   in Loop: Header=BB2_126 Depth=2
	v_and_b32_e32 v6, 0x7fffffff, v5
	v_mov_b32_e32 v7, v33
	v_cmp_gt_u64_e32 vcc, s[58:59], v[6:7]
	v_and_b32_sdwa v4, v5, s53 dst_sel:DWORD dst_unused:UNUSED_PAD src0_sel:BYTE_3 src1_sel:DWORD
                                        ; implicit-def: $vgpr1
	s_and_saveexec_b64 s[22:23], vcc
	s_xor_b64 s[90:91], exec, s[22:23]
	s_cbranch_execz .LBB2_415
; %bb.406:                              ;   in Loop: Header=BB2_126 Depth=2
	v_mov_b32_e32 v1, 0
	v_cmp_ne_u32_e32 vcc, 0, v5
	s_and_saveexec_b64 s[92:93], vcc
	s_cbranch_execz .LBB2_414
; %bb.407:                              ;   in Loop: Header=BB2_126 Depth=2
	v_bfe_u32 v1, v5, 23, 8
	v_and_b32_e32 v6, 0x7fffff, v5
	v_cmp_gt_u32_e64 s[22:23], s54, v1
	v_sub_u32_e32 v5, 0x79, v1
	v_cmp_eq_u32_e32 vcc, 0, v1
	v_cndmask_b32_e64 v5, 0, v5, s[22:23]
	v_cndmask_b32_e32 v5, v5, v47, vcc
	v_add_u32_e32 v8, 20, v5
	v_or_b32_e32 v7, 0x800000, v6
	v_lshlrev_b64 v[8:9], v8, -1
	v_add_u32_e32 v10, 19, v5
	v_cndmask_b32_e32 v6, v7, v6, vcc
	v_lshlrev_b64 v[10:11], v10, 1
	v_mov_b32_e32 v7, v33
	v_bfi_b32 v9, v9, 0, 0
	v_bfi_b32 v8, v8, 0, v6
	v_cmp_eq_u64_e64 s[22:23], v[8:9], v[10:11]
	v_lshrrev_b64 v[10:11], v5, v[6:7]
	v_mov_b32_e32 v41, v11
	v_mov_b32_e32 v40, v10
	s_and_saveexec_b64 s[94:95], s[22:23]
; %bb.408:                              ;   in Loop: Header=BB2_126 Depth=2
	v_bfe_u32 v6, v10, 20, 1
	v_add_co_u32_e64 v6, s[22:23], v10, v6
	v_add_co_u32_e64 v40, s[22:23], -1, v6
; %bb.409:                              ;   in Loop: Header=BB2_126 Depth=2
	s_or_b64 exec, exec, s[94:95]
	v_add_u32_e32 v1, 0xffffff81, v1
	v_cndmask_b32_e32 v1, v1, v44, vcc
	v_lshrrev_b32_e32 v6, 23, v10
	v_add3_u32 v6, v5, v1, v6
	v_add_u32_e32 v5, 6, v6
	v_and_b32_e32 v1, 0xfffff, v40
	v_add_u32_e32 v10, v1, v10
	v_mov_b32_e32 v11, v33
	v_cmp_ne_u32_e32 vcc, 0, v5
                                        ; implicit-def: $vgpr1
	s_and_saveexec_b64 s[22:23], vcc
	s_xor_b64 s[22:23], exec, s[22:23]
; %bb.410:                              ;   in Loop: Header=BB2_126 Depth=2
	v_cmp_lt_u64_e32 vcc, s[60:61], v[10:11]
	v_add_u32_e32 v1, 7, v6
	v_cndmask_b32_e32 v1, v5, v1, vcc
	v_cndmask_b32_e64 v5, 0, 1, vcc
	v_lshrrev_b64 v[10:11], v5, v[10:11]
; %bb.411:                              ;   in Loop: Header=BB2_126 Depth=2
	s_andn2_saveexec_b64 s[22:23], s[22:23]
; %bb.412:                              ;   in Loop: Header=BB2_126 Depth=2
	v_bfe_u32 v1, v10, 23, 1
; %bb.413:                              ;   in Loop: Header=BB2_126 Depth=2
	s_or_b64 exec, exec, s[22:23]
	v_lshrrev_b64 v[5:6], 20, v[10:11]
	v_cmp_gt_i32_e32 vcc, 16, v1
	v_cndmask_b32_e32 v6, 0, v6, vcc
	v_cndmask_b32_e32 v5, 7, v5, vcc
	v_cmp_eq_u32_e32 vcc, 0, v1
	v_min_i32_e32 v1, 15, v1
	v_cmp_eq_u64_e64 s[22:23], 0, v[5:6]
	v_lshlrev_b32_e32 v1, 3, v1
	v_and_b32_e32 v1, 0xf8, v1
	v_and_or_b32 v1, v5, 7, v1
	s_and_b64 s[22:23], vcc, s[22:23]
	v_cndmask_b32_e64 v1, v1, 0, s[22:23]
	v_or_b32_e32 v1, v1, v4
.LBB2_414:                              ;   in Loop: Header=BB2_126 Depth=2
	s_or_b64 exec, exec, s[92:93]
                                        ; implicit-def: $vgpr4
.LBB2_415:                              ;   in Loop: Header=BB2_126 Depth=2
	s_andn2_saveexec_b64 s[22:23], s[90:91]
; %bb.416:                              ;   in Loop: Header=BB2_126 Depth=2
	v_or_b32_e32 v1, 0x7e, v4
; %bb.417:                              ;   in Loop: Header=BB2_126 Depth=2
	s_or_b64 exec, exec, s[22:23]
                                        ; implicit-def: $vgpr5
.LBB2_418:                              ;   in Loop: Header=BB2_126 Depth=2
	s_andn2_saveexec_b64 s[22:23], s[88:89]
; %bb.419:                              ;   in Loop: Header=BB2_126 Depth=2
	v_or_b32_sdwa v1, v5, s51 dst_sel:DWORD dst_unused:UNUSED_PAD src0_sel:BYTE_3 src1_sel:DWORD
; %bb.420:                              ;   in Loop: Header=BB2_126 Depth=2
	s_or_b64 exec, exec, s[22:23]
	v_lshrrev_b16_e32 v10, 8, v32
	v_cmp_ne_u16_e32 vcc, 0, v10
	v_mov_b32_e32 v4, 0
	s_and_saveexec_b64 s[22:23], vcc
	s_cbranch_execz .LBB2_426
; %bb.421:                              ;   in Loop: Header=BB2_126 Depth=2
	v_cmp_ne_u16_e32 vcc, s53, v10
	v_bfrev_b32_e32 v4, 1
	s_and_saveexec_b64 s[88:89], vcc
	s_cbranch_execz .LBB2_425
; %bb.422:                              ;   in Loop: Header=BB2_126 Depth=2
	v_and_b32_e32 v5, 0x7f, v10
	v_cmp_ne_u32_e32 vcc, s51, v5
	v_mov_b32_e32 v4, 0x7f800001
	s_and_saveexec_b64 s[90:91], vcc
	s_cbranch_execz .LBB2_424
; %bb.423:                              ;   in Loop: Header=BB2_126 Depth=2
	v_and_b32_e32 v6, 7, v10
	v_ffbh_u32_e32 v4, v6
	v_min_u32_e32 v8, 32, v4
	v_subrev_u32_e32 v4, 28, v8
	v_lshrrev_b32_e32 v7, 3, v5
	v_cmp_gt_u32_e32 vcc, 8, v5
	v_lshlrev_b64 v[4:5], v4, v[10:11]
	v_sub_u32_e32 v5, 29, v8
	v_and_b32_e32 v4, 7, v4
	v_cndmask_b32_e32 v5, v7, v5, vcc
	v_cndmask_b32_e32 v4, v6, v4, vcc
	v_lshlrev_b32_e32 v6, 16, v32
	v_lshlrev_b32_e32 v4, 20, v4
	v_and_b32_e32 v6, 0x80000000, v6
	v_lshl_add_u32 v5, v5, 23, v3
	v_or3_b32 v4, v6, v5, v4
.LBB2_424:                              ;   in Loop: Header=BB2_126 Depth=2
	s_or_b64 exec, exec, s[90:91]
.LBB2_425:                              ;   in Loop: Header=BB2_126 Depth=2
	s_or_b64 exec, exec, s[88:89]
.LBB2_426:                              ;   in Loop: Header=BB2_126 Depth=2
	s_or_b64 exec, exec, s[22:23]
	v_mul_f32_e32 v5, v14, v4
	v_and_b32_e32 v32, 0x7f800000, v5
	v_cmp_ne_u64_e32 vcc, s[56:57], v[32:33]
                                        ; implicit-def: $vgpr28
	s_and_saveexec_b64 s[22:23], vcc
	s_xor_b64 s[88:89], exec, s[22:23]
	s_cbranch_execz .LBB2_440
; %bb.427:                              ;   in Loop: Header=BB2_126 Depth=2
	v_and_b32_e32 v32, 0x7fffffff, v5
	v_cmp_gt_u64_e32 vcc, s[58:59], v[32:33]
	v_and_b32_sdwa v4, v5, s53 dst_sel:DWORD dst_unused:UNUSED_PAD src0_sel:BYTE_3 src1_sel:DWORD
                                        ; implicit-def: $vgpr28
	s_and_saveexec_b64 s[22:23], vcc
	s_xor_b64 s[90:91], exec, s[22:23]
	s_cbranch_execz .LBB2_437
; %bb.428:                              ;   in Loop: Header=BB2_126 Depth=2
	v_mov_b32_e32 v28, 0
	v_cmp_ne_u32_e32 vcc, 0, v5
	s_and_saveexec_b64 s[92:93], vcc
	s_cbranch_execz .LBB2_436
; %bb.429:                              ;   in Loop: Header=BB2_126 Depth=2
	v_and_b32_e32 v7, 0x7fffff, v5
	v_bfe_u32 v5, v5, 23, 8
	v_cmp_gt_u32_e64 s[22:23], s54, v5
	v_sub_u32_e32 v6, 0x79, v5
	v_cmp_eq_u32_e32 vcc, 0, v5
	v_cndmask_b32_e64 v6, 0, v6, s[22:23]
	v_or_b32_e32 v8, 0x800000, v7
	v_cndmask_b32_e32 v6, v6, v47, vcc
	v_cndmask_b32_e32 v32, v8, v7, vcc
	v_add_u32_e32 v7, 20, v6
	v_lshlrev_b64 v[7:8], v7, -1
	v_add_u32_e32 v9, 19, v6
	v_lshlrev_b64 v[9:10], v9, 1
	v_bfi_b32 v8, v8, 0, 0
	v_bfi_b32 v7, v7, 0, v32
	v_cmp_eq_u64_e64 s[22:23], v[7:8], v[9:10]
	v_lshrrev_b64 v[10:11], v6, v[32:33]
	v_mov_b32_e32 v41, v11
	v_mov_b32_e32 v40, v10
	s_and_saveexec_b64 s[94:95], s[22:23]
; %bb.430:                              ;   in Loop: Header=BB2_126 Depth=2
	v_bfe_u32 v7, v10, 20, 1
	v_add_co_u32_e64 v7, s[22:23], v10, v7
	v_add_co_u32_e64 v40, s[22:23], -1, v7
; %bb.431:                              ;   in Loop: Header=BB2_126 Depth=2
	s_or_b64 exec, exec, s[94:95]
	v_add_u32_e32 v5, 0xffffff81, v5
	v_cndmask_b32_e32 v5, v5, v44, vcc
	v_lshrrev_b32_e32 v7, 23, v10
	v_add3_u32 v7, v6, v5, v7
	v_add_u32_e32 v6, 6, v7
	v_and_b32_e32 v5, 0xfffff, v40
	v_add_u32_e32 v32, v5, v10
	v_cmp_ne_u32_e32 vcc, 0, v6
                                        ; implicit-def: $vgpr10_vgpr11
                                        ; implicit-def: $vgpr5
	s_and_saveexec_b64 s[22:23], vcc
	s_xor_b64 s[22:23], exec, s[22:23]
; %bb.432:                              ;   in Loop: Header=BB2_126 Depth=2
	v_cmp_lt_u64_e32 vcc, s[60:61], v[32:33]
	v_add_u32_e32 v5, 7, v7
	v_cndmask_b32_e32 v5, v6, v5, vcc
	v_cndmask_b32_e64 v6, 0, 1, vcc
	v_lshrrev_b64 v[10:11], v6, v[32:33]
; %bb.433:                              ;   in Loop: Header=BB2_126 Depth=2
	s_andn2_saveexec_b64 s[22:23], s[22:23]
; %bb.434:                              ;   in Loop: Header=BB2_126 Depth=2
	v_mov_b32_e32 v10, v32
	v_bfe_u32 v5, v32, 23, 1
	v_mov_b32_e32 v11, v33
; %bb.435:                              ;   in Loop: Header=BB2_126 Depth=2
	s_or_b64 exec, exec, s[22:23]
	v_lshrrev_b64 v[6:7], 20, v[10:11]
	v_cmp_gt_i32_e32 vcc, 16, v5
	v_cndmask_b32_e32 v7, 0, v7, vcc
	v_cndmask_b32_e32 v6, 7, v6, vcc
	v_cmp_eq_u32_e32 vcc, 0, v5
	v_min_i32_e32 v5, 15, v5
	v_cmp_eq_u64_e64 s[22:23], 0, v[6:7]
	v_lshlrev_b32_e32 v5, 3, v5
	v_and_b32_e32 v5, 0xf8, v5
	v_and_or_b32 v5, v6, 7, v5
	s_and_b64 s[22:23], vcc, s[22:23]
	v_cndmask_b32_e64 v5, v5, 0, s[22:23]
	v_or_b32_e32 v28, v5, v4
.LBB2_436:                              ;   in Loop: Header=BB2_126 Depth=2
	s_or_b64 exec, exec, s[92:93]
                                        ; implicit-def: $vgpr4
.LBB2_437:                              ;   in Loop: Header=BB2_126 Depth=2
	s_andn2_saveexec_b64 s[22:23], s[90:91]
; %bb.438:                              ;   in Loop: Header=BB2_126 Depth=2
	v_or_b32_e32 v28, 0x7e, v4
; %bb.439:                              ;   in Loop: Header=BB2_126 Depth=2
	s_or_b64 exec, exec, s[22:23]
                                        ; implicit-def: $vgpr5
.LBB2_440:                              ;   in Loop: Header=BB2_126 Depth=2
	s_andn2_saveexec_b64 s[22:23], s[88:89]
; %bb.441:                              ;   in Loop: Header=BB2_126 Depth=2
	v_or_b32_sdwa v28, v5, s51 dst_sel:DWORD dst_unused:UNUSED_PAD src0_sel:BYTE_3 src1_sel:DWORD
; %bb.442:                              ;   in Loop: Header=BB2_126 Depth=2
	s_or_b64 exec, exec, s[22:23]
	v_lshrrev_b32_e32 v10, 16, v13
	v_cmp_ne_u16_sdwa s[88:89], v10, v33 src0_sel:BYTE_0 src1_sel:DWORD
	v_mov_b32_e32 v4, 0
	s_and_saveexec_b64 s[22:23], s[88:89]
	s_cbranch_execz .LBB2_448
; %bb.443:                              ;   in Loop: Header=BB2_126 Depth=2
	v_cmp_ne_u16_sdwa s[90:91], v10, s53 src0_sel:BYTE_0 src1_sel:DWORD
	v_bfrev_b32_e32 v4, 1
	s_and_saveexec_b64 s[88:89], s[90:91]
	s_cbranch_execz .LBB2_447
; %bb.444:                              ;   in Loop: Header=BB2_126 Depth=2
	v_bfe_u32 v5, v13, 16, 7
	v_cmp_ne_u32_e32 vcc, s51, v5
	v_mov_b32_e32 v4, 0x7f800001
	s_and_saveexec_b64 s[90:91], vcc
	s_cbranch_execz .LBB2_446
; %bb.445:                              ;   in Loop: Header=BB2_126 Depth=2
	v_and_b32_e32 v6, 7, v10
	v_ffbh_u32_e32 v4, v6
	v_min_u32_e32 v8, 32, v4
	v_subrev_u32_e32 v4, 28, v8
	v_lshrrev_b32_e32 v7, 3, v5
	v_cmp_gt_u32_e32 vcc, 8, v5
	v_lshlrev_b64 v[4:5], v4, v[10:11]
	v_sub_u32_e32 v5, 29, v8
	v_and_b32_e32 v4, 7, v4
	v_cndmask_b32_e32 v5, v7, v5, vcc
	v_cndmask_b32_e32 v4, v6, v4, vcc
	v_lshlrev_b32_e32 v6, 24, v10
	v_lshlrev_b32_e32 v4, 20, v4
	v_and_b32_e32 v6, 0x80000000, v6
	v_lshl_add_u32 v5, v5, 23, v3
	v_or3_b32 v4, v6, v5, v4
.LBB2_446:                              ;   in Loop: Header=BB2_126 Depth=2
	s_or_b64 exec, exec, s[90:91]
.LBB2_447:                              ;   in Loop: Header=BB2_126 Depth=2
	s_or_b64 exec, exec, s[88:89]
.LBB2_448:                              ;   in Loop: Header=BB2_126 Depth=2
	s_or_b64 exec, exec, s[22:23]
	v_mul_f32_e32 v5, v14, v4
	v_and_b32_e32 v32, 0x7f800000, v5
	v_cmp_ne_u64_e32 vcc, s[56:57], v[32:33]
                                        ; implicit-def: $vgpr46
	s_and_saveexec_b64 s[22:23], vcc
	s_xor_b64 s[88:89], exec, s[22:23]
	s_cbranch_execz .LBB2_462
; %bb.449:                              ;   in Loop: Header=BB2_126 Depth=2
	v_and_b32_e32 v32, 0x7fffffff, v5
	v_cmp_gt_u64_e32 vcc, s[58:59], v[32:33]
	v_and_b32_sdwa v4, v5, s53 dst_sel:DWORD dst_unused:UNUSED_PAD src0_sel:BYTE_3 src1_sel:DWORD
                                        ; implicit-def: $vgpr46
	s_and_saveexec_b64 s[22:23], vcc
	s_xor_b64 s[90:91], exec, s[22:23]
	s_cbranch_execz .LBB2_459
; %bb.450:                              ;   in Loop: Header=BB2_126 Depth=2
	v_mov_b32_e32 v46, 0
	v_cmp_ne_u32_e32 vcc, 0, v5
	s_and_saveexec_b64 s[92:93], vcc
	s_cbranch_execz .LBB2_458
; %bb.451:                              ;   in Loop: Header=BB2_126 Depth=2
	v_and_b32_e32 v7, 0x7fffff, v5
	v_bfe_u32 v5, v5, 23, 8
	v_cmp_gt_u32_e64 s[22:23], s54, v5
	v_sub_u32_e32 v6, 0x79, v5
	v_cmp_eq_u32_e32 vcc, 0, v5
	v_cndmask_b32_e64 v6, 0, v6, s[22:23]
	v_or_b32_e32 v8, 0x800000, v7
	v_cndmask_b32_e32 v6, v6, v47, vcc
	v_cndmask_b32_e32 v32, v8, v7, vcc
	v_add_u32_e32 v7, 20, v6
	v_lshlrev_b64 v[7:8], v7, -1
	v_add_u32_e32 v9, 19, v6
	v_lshlrev_b64 v[9:10], v9, 1
	v_bfi_b32 v8, v8, 0, 0
	v_bfi_b32 v7, v7, 0, v32
	v_cmp_eq_u64_e64 s[22:23], v[7:8], v[9:10]
	v_lshrrev_b64 v[10:11], v6, v[32:33]
	v_mov_b32_e32 v41, v11
	v_mov_b32_e32 v40, v10
	s_and_saveexec_b64 s[94:95], s[22:23]
; %bb.452:                              ;   in Loop: Header=BB2_126 Depth=2
	v_bfe_u32 v7, v10, 20, 1
	v_add_co_u32_e64 v7, s[22:23], v10, v7
	v_add_co_u32_e64 v40, s[22:23], -1, v7
; %bb.453:                              ;   in Loop: Header=BB2_126 Depth=2
	s_or_b64 exec, exec, s[94:95]
	v_add_u32_e32 v5, 0xffffff81, v5
	v_cndmask_b32_e32 v5, v5, v44, vcc
	v_lshrrev_b32_e32 v7, 23, v10
	v_add3_u32 v7, v6, v5, v7
	v_add_u32_e32 v6, 6, v7
	v_and_b32_e32 v5, 0xfffff, v40
	v_add_u32_e32 v32, v5, v10
	v_cmp_ne_u32_e32 vcc, 0, v6
                                        ; implicit-def: $vgpr10_vgpr11
                                        ; implicit-def: $vgpr5
	s_and_saveexec_b64 s[22:23], vcc
	s_xor_b64 s[22:23], exec, s[22:23]
; %bb.454:                              ;   in Loop: Header=BB2_126 Depth=2
	v_cmp_lt_u64_e32 vcc, s[60:61], v[32:33]
	v_add_u32_e32 v5, 7, v7
	v_cndmask_b32_e32 v5, v6, v5, vcc
	v_cndmask_b32_e64 v6, 0, 1, vcc
	v_lshrrev_b64 v[10:11], v6, v[32:33]
; %bb.455:                              ;   in Loop: Header=BB2_126 Depth=2
	s_andn2_saveexec_b64 s[22:23], s[22:23]
; %bb.456:                              ;   in Loop: Header=BB2_126 Depth=2
	v_mov_b32_e32 v10, v32
	v_bfe_u32 v5, v32, 23, 1
	v_mov_b32_e32 v11, v33
; %bb.457:                              ;   in Loop: Header=BB2_126 Depth=2
	s_or_b64 exec, exec, s[22:23]
	v_lshrrev_b64 v[6:7], 20, v[10:11]
	v_cmp_gt_i32_e32 vcc, 16, v5
	v_cndmask_b32_e32 v7, 0, v7, vcc
	v_cndmask_b32_e32 v6, 7, v6, vcc
	v_cmp_eq_u32_e32 vcc, 0, v5
	v_min_i32_e32 v5, 15, v5
	v_cmp_eq_u64_e64 s[22:23], 0, v[6:7]
	v_lshlrev_b32_e32 v5, 3, v5
	v_and_b32_e32 v5, 0xf8, v5
	v_and_or_b32 v5, v6, 7, v5
	s_and_b64 s[22:23], vcc, s[22:23]
	v_cndmask_b32_e64 v5, v5, 0, s[22:23]
	v_or_b32_e32 v46, v5, v4
.LBB2_458:                              ;   in Loop: Header=BB2_126 Depth=2
	s_or_b64 exec, exec, s[92:93]
                                        ; implicit-def: $vgpr4
.LBB2_459:                              ;   in Loop: Header=BB2_126 Depth=2
	s_andn2_saveexec_b64 s[22:23], s[90:91]
; %bb.460:                              ;   in Loop: Header=BB2_126 Depth=2
	v_or_b32_e32 v46, 0x7e, v4
; %bb.461:                              ;   in Loop: Header=BB2_126 Depth=2
	s_or_b64 exec, exec, s[22:23]
                                        ; implicit-def: $vgpr5
.LBB2_462:                              ;   in Loop: Header=BB2_126 Depth=2
	s_andn2_saveexec_b64 s[22:23], s[88:89]
; %bb.463:                              ;   in Loop: Header=BB2_126 Depth=2
	v_or_b32_sdwa v46, v5, s51 dst_sel:DWORD dst_unused:UNUSED_PAD src0_sel:BYTE_3 src1_sel:DWORD
; %bb.464:                              ;   in Loop: Header=BB2_126 Depth=2
	s_or_b64 exec, exec, s[22:23]
	v_cmp_lt_u64_e32 vcc, s[62:63], v[12:13]
	v_mov_b32_e32 v4, 0
	s_and_saveexec_b64 s[22:23], vcc
	s_cbranch_execz .LBB2_470
; %bb.465:                              ;   in Loop: Header=BB2_126 Depth=2
	v_lshrrev_b32_e32 v10, 24, v13
	v_cmp_ne_u32_e32 vcc, s53, v10
	v_bfrev_b32_e32 v4, 1
	s_and_saveexec_b64 s[88:89], vcc
	s_cbranch_execz .LBB2_469
; %bb.466:                              ;   in Loop: Header=BB2_126 Depth=2
	v_bfe_u32 v5, v13, 24, 7
	v_cmp_ne_u32_e32 vcc, s51, v5
	v_mov_b32_e32 v4, 0x7f800001
	s_and_saveexec_b64 s[90:91], vcc
	s_cbranch_execz .LBB2_468
; %bb.467:                              ;   in Loop: Header=BB2_126 Depth=2
	v_and_b32_e32 v6, 7, v10
	v_ffbh_u32_e32 v4, v6
	v_min_u32_e32 v8, 32, v4
	v_subrev_u32_e32 v4, 28, v8
	v_lshrrev_b32_e32 v7, 3, v5
	v_cmp_gt_u32_e32 vcc, 8, v5
	v_lshlrev_b64 v[4:5], v4, v[10:11]
	v_sub_u32_e32 v5, 29, v8
	v_and_b32_e32 v4, 7, v4
	v_cndmask_b32_e32 v5, v7, v5, vcc
	v_cndmask_b32_e32 v4, v6, v4, vcc
	v_lshlrev_b32_e32 v6, 24, v10
	v_lshlrev_b32_e32 v4, 20, v4
	v_and_b32_e32 v6, 0x80000000, v6
	v_lshl_add_u32 v5, v5, 23, v3
	v_or3_b32 v4, v6, v5, v4
.LBB2_468:                              ;   in Loop: Header=BB2_126 Depth=2
	s_or_b64 exec, exec, s[90:91]
.LBB2_469:                              ;   in Loop: Header=BB2_126 Depth=2
	s_or_b64 exec, exec, s[88:89]
.LBB2_470:                              ;   in Loop: Header=BB2_126 Depth=2
	s_or_b64 exec, exec, s[22:23]
	v_mul_f32_e32 v5, v14, v4
	v_and_b32_e32 v32, 0x7f800000, v5
	v_cmp_ne_u64_e32 vcc, s[56:57], v[32:33]
                                        ; implicit-def: $vgpr20
	s_and_saveexec_b64 s[22:23], vcc
	s_xor_b64 s[88:89], exec, s[22:23]
	s_cbranch_execz .LBB2_484
; %bb.471:                              ;   in Loop: Header=BB2_126 Depth=2
	v_and_b32_e32 v32, 0x7fffffff, v5
	v_cmp_gt_u64_e32 vcc, s[58:59], v[32:33]
	v_and_b32_sdwa v4, v5, s53 dst_sel:DWORD dst_unused:UNUSED_PAD src0_sel:BYTE_3 src1_sel:DWORD
                                        ; implicit-def: $vgpr20
	s_and_saveexec_b64 s[22:23], vcc
	s_xor_b64 s[90:91], exec, s[22:23]
	s_cbranch_execz .LBB2_481
; %bb.472:                              ;   in Loop: Header=BB2_126 Depth=2
	v_mov_b32_e32 v20, 0
	v_cmp_ne_u32_e32 vcc, 0, v5
	s_and_saveexec_b64 s[92:93], vcc
	s_cbranch_execz .LBB2_480
; %bb.473:                              ;   in Loop: Header=BB2_126 Depth=2
	v_and_b32_e32 v7, 0x7fffff, v5
	v_bfe_u32 v5, v5, 23, 8
	v_cmp_gt_u32_e64 s[22:23], s54, v5
	v_sub_u32_e32 v6, 0x79, v5
	v_cmp_eq_u32_e32 vcc, 0, v5
	v_cndmask_b32_e64 v6, 0, v6, s[22:23]
	v_or_b32_e32 v8, 0x800000, v7
	v_cndmask_b32_e32 v6, v6, v47, vcc
	v_cndmask_b32_e32 v32, v8, v7, vcc
	v_add_u32_e32 v7, 20, v6
	v_lshlrev_b64 v[7:8], v7, -1
	v_add_u32_e32 v9, 19, v6
	v_lshlrev_b64 v[9:10], v9, 1
	v_bfi_b32 v8, v8, 0, 0
	v_bfi_b32 v7, v7, 0, v32
	v_cmp_eq_u64_e64 s[22:23], v[7:8], v[9:10]
	v_lshrrev_b64 v[10:11], v6, v[32:33]
	v_mov_b32_e32 v12, v11
	v_mov_b32_e32 v11, v10
	s_and_saveexec_b64 s[94:95], s[22:23]
; %bb.474:                              ;   in Loop: Header=BB2_126 Depth=2
	v_bfe_u32 v7, v10, 20, 1
	v_add_co_u32_e64 v7, s[22:23], v10, v7
	v_add_co_u32_e64 v11, s[22:23], -1, v7
; %bb.475:                              ;   in Loop: Header=BB2_126 Depth=2
	s_or_b64 exec, exec, s[94:95]
	v_add_u32_e32 v5, 0xffffff81, v5
	v_cndmask_b32_e32 v5, v5, v44, vcc
	v_lshrrev_b32_e32 v7, 23, v10
	v_add3_u32 v7, v6, v5, v7
	v_add_u32_e32 v6, 6, v7
	v_and_b32_e32 v5, 0xfffff, v11
	v_add_u32_e32 v32, v5, v10
	v_cmp_ne_u32_e32 vcc, 0, v6
                                        ; implicit-def: $vgpr10_vgpr11
                                        ; implicit-def: $vgpr5
	s_and_saveexec_b64 s[22:23], vcc
	s_xor_b64 s[22:23], exec, s[22:23]
; %bb.476:                              ;   in Loop: Header=BB2_126 Depth=2
	v_cmp_lt_u64_e32 vcc, s[60:61], v[32:33]
	v_add_u32_e32 v5, 7, v7
	v_cndmask_b32_e32 v5, v6, v5, vcc
	v_cndmask_b32_e64 v6, 0, 1, vcc
	v_lshrrev_b64 v[10:11], v6, v[32:33]
; %bb.477:                              ;   in Loop: Header=BB2_126 Depth=2
	s_andn2_saveexec_b64 s[22:23], s[22:23]
; %bb.478:                              ;   in Loop: Header=BB2_126 Depth=2
	v_mov_b32_e32 v10, v32
	v_bfe_u32 v5, v32, 23, 1
	v_mov_b32_e32 v11, v33
; %bb.479:                              ;   in Loop: Header=BB2_126 Depth=2
	s_or_b64 exec, exec, s[22:23]
	v_lshrrev_b64 v[6:7], 20, v[10:11]
	v_cmp_gt_i32_e32 vcc, 16, v5
	v_cndmask_b32_e32 v7, 0, v7, vcc
	v_cndmask_b32_e32 v6, 7, v6, vcc
	v_cmp_eq_u32_e32 vcc, 0, v5
	v_min_i32_e32 v5, 15, v5
	v_cmp_eq_u64_e64 s[22:23], 0, v[6:7]
	v_lshlrev_b32_e32 v5, 3, v5
	v_and_b32_e32 v5, 0xf8, v5
	v_and_or_b32 v5, v6, 7, v5
	s_and_b64 s[22:23], vcc, s[22:23]
	v_cndmask_b32_e64 v5, v5, 0, s[22:23]
	v_or_b32_e32 v20, v5, v4
.LBB2_480:                              ;   in Loop: Header=BB2_126 Depth=2
	s_or_b64 exec, exec, s[92:93]
                                        ; implicit-def: $vgpr4
.LBB2_481:                              ;   in Loop: Header=BB2_126 Depth=2
	s_andn2_saveexec_b64 s[22:23], s[90:91]
; %bb.482:                              ;   in Loop: Header=BB2_126 Depth=2
	v_or_b32_e32 v20, 0x7e, v4
; %bb.483:                              ;   in Loop: Header=BB2_126 Depth=2
	s_or_b64 exec, exec, s[22:23]
                                        ; implicit-def: $vgpr5
.LBB2_484:                              ;   in Loop: Header=BB2_126 Depth=2
	s_andn2_saveexec_b64 s[22:23], s[88:89]
; %bb.485:                              ;   in Loop: Header=BB2_126 Depth=2
	v_or_b32_sdwa v20, v5, s51 dst_sel:DWORD dst_unused:UNUSED_PAD src0_sel:BYTE_3 src1_sel:DWORD
; %bb.486:                              ;   in Loop: Header=BB2_126 Depth=2
	s_or_b64 exec, exec, s[22:23]
	global_load_dwordx4 v[10:13], v[52:53], off glc slc
	v_lshl_or_b32 v4, v17, 8, v0
	v_lshlrev_b32_e32 v5, 16, v38
	v_lshlrev_b32_e32 v6, 24, v49
	v_or3_b32 v32, v5, v6, v4
	v_cmp_ne_u32_e32 vcc, 0, v0
	v_mov_b32_e32 v5, 0
	s_and_saveexec_b64 s[22:23], vcc
	s_cbranch_execz .LBB2_492
; %bb.487:                              ;   in Loop: Header=BB2_126 Depth=2
	v_cmp_ne_u32_e32 vcc, s53, v0
	v_bfrev_b32_e32 v5, 1
	s_and_saveexec_b64 s[88:89], vcc
	s_cbranch_execz .LBB2_491
; %bb.488:                              ;   in Loop: Header=BB2_126 Depth=2
	v_and_b32_e32 v6, 0x7f, v0
	v_cmp_ne_u32_e32 vcc, s51, v6
	v_mov_b32_e32 v5, 0x7f800001
	s_and_saveexec_b64 s[90:91], vcc
	s_cbranch_execz .LBB2_490
; %bb.489:                              ;   in Loop: Header=BB2_126 Depth=2
	v_and_b32_e32 v0, 7, v0
	v_ffbh_u32_e32 v0, v0
	v_min_u32_e32 v0, 32, v0
	v_lshrrev_b32_e32 v5, 3, v6
	v_cmp_gt_u32_e32 vcc, 8, v6
	v_subrev_u32_e32 v6, 28, v0
	v_sub_u32_e32 v0, 29, v0
	v_cndmask_b32_e32 v0, v5, v0, vcc
	v_cndmask_b32_e32 v5, 0, v6, vcc
	v_lshlrev_b64 v[5:6], v5, v[32:33]
	v_lshlrev_b32_e32 v6, 24, v32
	v_lshlrev_b32_e32 v5, 20, v5
	v_and_b32_e32 v5, 0x700000, v5
	v_and_b32_e32 v6, 0x80000000, v6
	v_lshl_add_u32 v0, v0, 23, v3
	v_or3_b32 v5, v6, v0, v5
.LBB2_490:                              ;   in Loop: Header=BB2_126 Depth=2
	s_or_b64 exec, exec, s[90:91]
.LBB2_491:                              ;   in Loop: Header=BB2_126 Depth=2
	s_or_b64 exec, exec, s[88:89]
.LBB2_492:                              ;   in Loop: Header=BB2_126 Depth=2
	s_or_b64 exec, exec, s[22:23]
	s_waitcnt vmcnt(0)
	v_cmp_gt_i16_sdwa s[88:89], v10, s51 src0_sel:BYTE_0 src1_sel:DWORD
	s_mov_b64 s[22:23], 0
	s_and_saveexec_b64 s[90:91], s[88:89]
	s_xor_b64 s[88:89], exec, s[90:91]
	s_cbranch_execnz .LBB2_894
; %bb.493:                              ;   in Loop: Header=BB2_126 Depth=2
	s_or_saveexec_b64 s[88:89], s[88:89]
	v_bfrev_b32_e32 v0, 1
	s_xor_b64 exec, exec, s[88:89]
	s_cbranch_execnz .LBB2_897
.LBB2_494:                              ;   in Loop: Header=BB2_126 Depth=2
	s_or_b64 exec, exec, s[88:89]
	s_and_saveexec_b64 s[88:89], s[22:23]
	s_cbranch_execz .LBB2_496
.LBB2_495:                              ;   in Loop: Header=BB2_126 Depth=2
	v_and_b32_e32 v0, 7, v10
	v_ffbh_u32_e32 v0, v0
	v_and_b32_e32 v8, 0x7f, v10
	v_min_u32_e32 v0, 32, v0
	v_bfe_u32 v6, v10, 3, 4
	v_subrev_u32_e32 v7, 28, v0
	v_sub_u32_e32 v0, 29, v0
	v_cmp_gt_u32_e32 vcc, 8, v8
	v_cndmask_b32_e32 v0, v6, v0, vcc
	v_cndmask_b32_e32 v6, 0, v7, vcc
	v_lshlrev_b64 v[6:7], v6, v[10:11]
	v_lshlrev_b32_e32 v7, 24, v10
	v_lshlrev_b32_e32 v6, 20, v6
	v_and_b32_e32 v6, 0x700000, v6
	v_and_b32_e32 v7, 0x80000000, v7
	v_lshl_add_u32 v0, v0, 23, v3
	v_or3_b32 v0, v7, v0, v6
	v_cmp_ne_u32_e32 vcc, s51, v8
	v_cndmask_b32_e32 v0, v2, v0, vcc
.LBB2_496:                              ;   in Loop: Header=BB2_126 Depth=2
	s_or_b64 exec, exec, s[88:89]
	v_add_f32_e32 v14, v5, v0
	v_and_b32_e32 v5, 0x7f800000, v14
	v_mov_b32_e32 v6, v33
	v_cmp_ne_u64_e32 vcc, s[56:57], v[5:6]
                                        ; implicit-def: $vgpr0
	s_and_saveexec_b64 s[22:23], vcc
	s_xor_b64 s[88:89], exec, s[22:23]
	s_cbranch_execz .LBB2_510
; %bb.497:                              ;   in Loop: Header=BB2_126 Depth=2
	v_and_b32_e32 v5, 0x7fffffff, v14
	v_mov_b32_e32 v6, v33
	v_cmp_gt_u64_e32 vcc, s[58:59], v[5:6]
	v_and_b32_sdwa v5, v14, s53 dst_sel:DWORD dst_unused:UNUSED_PAD src0_sel:BYTE_3 src1_sel:DWORD
                                        ; implicit-def: $vgpr0
	s_and_saveexec_b64 s[22:23], vcc
	s_xor_b64 s[90:91], exec, s[22:23]
	s_cbranch_execz .LBB2_507
; %bb.498:                              ;   in Loop: Header=BB2_126 Depth=2
	v_mov_b32_e32 v0, 0
	v_cmp_ne_u32_e32 vcc, 0, v14
	s_and_saveexec_b64 s[92:93], vcc
	s_cbranch_execz .LBB2_506
; %bb.499:                              ;   in Loop: Header=BB2_126 Depth=2
	v_bfe_u32 v0, v14, 23, 8
	v_cmp_gt_u32_e64 s[22:23], s54, v0
	v_sub_u32_e32 v6, 0x79, v0
	v_cmp_eq_u32_e32 vcc, 0, v0
	v_cndmask_b32_e64 v6, 0, v6, s[22:23]
	v_and_b32_e32 v7, 0x7fffff, v14
	v_cndmask_b32_e32 v6, v6, v47, vcc
	v_or_b32_e32 v8, 0x800000, v7
	v_add_u32_e32 v9, 20, v6
	v_cndmask_b32_e32 v7, v8, v7, vcc
	v_mov_b32_e32 v8, v33
	v_lshlrev_b64 v[22:23], v9, -1
	v_add_u32_e32 v9, 19, v6
	v_lshlrev_b64 v[26:27], v9, 1
	v_lshrrev_b64 v[40:41], v6, v[7:8]
	v_bfi_b32 v23, v23, 0, 0
	v_bfi_b32 v22, v22, 0, v7
	v_cmp_eq_u64_e64 s[22:23], v[22:23], v[26:27]
	v_mov_b32_e32 v42, v41
	v_mov_b32_e32 v41, v40
	s_and_saveexec_b64 s[94:95], s[22:23]
; %bb.500:                              ;   in Loop: Header=BB2_126 Depth=2
	v_bfe_u32 v7, v40, 20, 1
	v_add_co_u32_e64 v7, s[22:23], v40, v7
	v_add_co_u32_e64 v41, s[22:23], -1, v7
; %bb.501:                              ;   in Loop: Header=BB2_126 Depth=2
	s_or_b64 exec, exec, s[94:95]
	v_add_u32_e32 v0, 0xffffff81, v0
	v_cndmask_b32_e32 v0, v0, v44, vcc
	v_lshrrev_b32_e32 v7, 23, v40
	v_add3_u32 v7, v6, v0, v7
	v_add_u32_e32 v6, 6, v7
	v_and_b32_e32 v0, 0xfffff, v41
	v_add_u32_e32 v40, v0, v40
	v_mov_b32_e32 v41, v33
	v_cmp_ne_u32_e32 vcc, 0, v6
                                        ; implicit-def: $vgpr0
	s_and_saveexec_b64 s[22:23], vcc
	s_xor_b64 s[22:23], exec, s[22:23]
; %bb.502:                              ;   in Loop: Header=BB2_126 Depth=2
	v_cmp_lt_u64_e32 vcc, s[60:61], v[40:41]
	v_add_u32_e32 v0, 7, v7
	v_cndmask_b32_e32 v0, v6, v0, vcc
	v_cndmask_b32_e64 v6, 0, 1, vcc
	v_lshrrev_b64 v[40:41], v6, v[40:41]
; %bb.503:                              ;   in Loop: Header=BB2_126 Depth=2
	s_andn2_saveexec_b64 s[22:23], s[22:23]
; %bb.504:                              ;   in Loop: Header=BB2_126 Depth=2
	v_bfe_u32 v0, v40, 23, 1
; %bb.505:                              ;   in Loop: Header=BB2_126 Depth=2
	s_or_b64 exec, exec, s[22:23]
	v_lshrrev_b64 v[6:7], 20, v[40:41]
	v_cmp_gt_i32_e32 vcc, 16, v0
	v_cndmask_b32_e32 v7, 0, v7, vcc
	v_cndmask_b32_e32 v6, 7, v6, vcc
	v_cmp_eq_u32_e32 vcc, 0, v0
	v_min_i32_e32 v0, 15, v0
	v_cmp_eq_u64_e64 s[22:23], 0, v[6:7]
	v_lshlrev_b32_e32 v0, 3, v0
	v_and_b32_e32 v0, 0xf8, v0
	v_and_or_b32 v0, v6, 7, v0
	s_and_b64 s[22:23], vcc, s[22:23]
	v_cndmask_b32_e64 v0, v0, 0, s[22:23]
	v_or_b32_e32 v0, v0, v5
.LBB2_506:                              ;   in Loop: Header=BB2_126 Depth=2
	s_or_b64 exec, exec, s[92:93]
                                        ; implicit-def: $vgpr5
.LBB2_507:                              ;   in Loop: Header=BB2_126 Depth=2
	s_andn2_saveexec_b64 s[22:23], s[90:91]
; %bb.508:                              ;   in Loop: Header=BB2_126 Depth=2
	v_or_b32_e32 v0, 0x7e, v5
; %bb.509:                              ;   in Loop: Header=BB2_126 Depth=2
	s_or_b64 exec, exec, s[22:23]
                                        ; implicit-def: $vgpr14
.LBB2_510:                              ;   in Loop: Header=BB2_126 Depth=2
	s_andn2_saveexec_b64 s[22:23], s[88:89]
; %bb.511:                              ;   in Loop: Header=BB2_126 Depth=2
	v_or_b32_sdwa v0, v14, s51 dst_sel:DWORD dst_unused:UNUSED_PAD src0_sel:BYTE_3 src1_sel:DWORD
; %bb.512:                              ;   in Loop: Header=BB2_126 Depth=2
	s_or_b64 exec, exec, s[22:23]
	v_lshrrev_b16_e32 v30, 8, v4
	v_cmp_ne_u16_e32 vcc, 0, v30
	v_mov_b32_e32 v5, 0
	s_and_saveexec_b64 s[22:23], vcc
	s_cbranch_execz .LBB2_518
; %bb.513:                              ;   in Loop: Header=BB2_126 Depth=2
	v_cmp_ne_u16_e32 vcc, s53, v30
	v_bfrev_b32_e32 v5, 1
	s_and_saveexec_b64 s[88:89], vcc
	s_cbranch_execz .LBB2_517
; %bb.514:                              ;   in Loop: Header=BB2_126 Depth=2
	v_and_b32_e32 v6, 0x7f, v30
	v_cmp_ne_u32_e32 vcc, s51, v6
	v_mov_b32_e32 v5, 0x7f800001
	s_and_saveexec_b64 s[90:91], vcc
	s_cbranch_execz .LBB2_516
; %bb.515:                              ;   in Loop: Header=BB2_126 Depth=2
	v_and_b32_e32 v7, 7, v30
	v_ffbh_u32_e32 v5, v7
	v_min_u32_e32 v9, 32, v5
	v_subrev_u32_e32 v5, 28, v9
	v_lshrrev_b32_e32 v8, 3, v6
	v_cmp_gt_u32_e32 vcc, 8, v6
	v_lshlrev_b64 v[5:6], v5, v[30:31]
	v_sub_u32_e32 v6, 29, v9
	v_and_b32_e32 v5, 7, v5
	v_cndmask_b32_e32 v6, v8, v6, vcc
	v_cndmask_b32_e32 v5, v7, v5, vcc
	v_lshlrev_b32_e32 v4, 16, v4
	v_lshlrev_b32_e32 v5, 20, v5
	v_and_b32_e32 v4, 0x80000000, v4
	v_lshl_add_u32 v6, v6, 23, v3
	v_or3_b32 v5, v4, v6, v5
.LBB2_516:                              ;   in Loop: Header=BB2_126 Depth=2
	s_or_b64 exec, exec, s[90:91]
.LBB2_517:                              ;   in Loop: Header=BB2_126 Depth=2
	s_or_b64 exec, exec, s[88:89]
.LBB2_518:                              ;   in Loop: Header=BB2_126 Depth=2
	s_or_b64 exec, exec, s[22:23]
	v_lshrrev_b16_e32 v40, 8, v10
	v_cmp_lt_i16_e32 vcc, s51, v40
	s_mov_b64 s[22:23], 0
	s_and_saveexec_b64 s[88:89], vcc
	s_xor_b64 s[88:89], exec, s[88:89]
	s_cbranch_execnz .LBB2_898
; %bb.519:                              ;   in Loop: Header=BB2_126 Depth=2
	s_or_saveexec_b64 s[88:89], s[88:89]
	v_bfrev_b32_e32 v4, 1
	s_xor_b64 exec, exec, s[88:89]
	s_cbranch_execnz .LBB2_901
.LBB2_520:                              ;   in Loop: Header=BB2_126 Depth=2
	s_or_b64 exec, exec, s[88:89]
	s_and_saveexec_b64 s[88:89], s[22:23]
	s_cbranch_execz .LBB2_522
.LBB2_521:                              ;   in Loop: Header=BB2_126 Depth=2
	v_and_b32_e32 v4, 7, v40
	v_ffbh_u32_e32 v6, v4
	v_min_u32_e32 v14, 32, v6
	v_mov_b32_e32 v41, v33
	v_subrev_u32_e32 v6, 28, v14
	v_lshlrev_b64 v[6:7], v6, v[40:41]
	v_and_b32_e32 v8, 0x7f, v40
	v_bfe_u32 v9, v40, 3, 4
	v_sub_u32_e32 v7, 29, v14
	v_and_b32_e32 v6, 7, v6
	v_cmp_gt_u32_e32 vcc, 8, v8
	v_cndmask_b32_e32 v7, v9, v7, vcc
	v_cndmask_b32_e32 v4, v4, v6, vcc
	v_lshlrev_b32_e32 v6, 24, v40
	v_lshlrev_b32_e32 v4, 20, v4
	v_and_b32_e32 v6, 0x80000000, v6
	v_lshl_add_u32 v7, v7, 23, v3
	v_or3_b32 v4, v6, v7, v4
	v_cmp_ne_u32_e32 vcc, s51, v8
	v_cndmask_b32_e32 v4, v2, v4, vcc
.LBB2_522:                              ;   in Loop: Header=BB2_126 Depth=2
	s_or_b64 exec, exec, s[88:89]
	v_add_f32_e32 v5, v5, v4
	v_and_b32_e32 v6, 0x7f800000, v5
	v_mov_b32_e32 v7, v33
	v_cmp_ne_u64_e32 vcc, s[56:57], v[6:7]
                                        ; implicit-def: $vgpr14
	s_and_saveexec_b64 s[22:23], vcc
	s_xor_b64 s[88:89], exec, s[22:23]
	s_cbranch_execz .LBB2_536
; %bb.523:                              ;   in Loop: Header=BB2_126 Depth=2
	v_and_b32_e32 v6, 0x7fffffff, v5
	v_mov_b32_e32 v7, v33
	v_cmp_gt_u64_e32 vcc, s[58:59], v[6:7]
	v_and_b32_sdwa v4, v5, s53 dst_sel:DWORD dst_unused:UNUSED_PAD src0_sel:BYTE_3 src1_sel:DWORD
                                        ; implicit-def: $vgpr14
	s_and_saveexec_b64 s[22:23], vcc
	s_xor_b64 s[90:91], exec, s[22:23]
	s_cbranch_execz .LBB2_533
; %bb.524:                              ;   in Loop: Header=BB2_126 Depth=2
	v_mov_b32_e32 v14, 0
	v_cmp_ne_u32_e32 vcc, 0, v5
	s_and_saveexec_b64 s[92:93], vcc
	s_cbranch_execz .LBB2_532
; %bb.525:                              ;   in Loop: Header=BB2_126 Depth=2
	v_and_b32_e32 v7, 0x7fffff, v5
	v_bfe_u32 v5, v5, 23, 8
	v_cmp_gt_u32_e64 s[22:23], s54, v5
	v_sub_u32_e32 v6, 0x79, v5
	v_cmp_eq_u32_e32 vcc, 0, v5
	v_cndmask_b32_e64 v6, 0, v6, s[22:23]
	v_cndmask_b32_e32 v6, v6, v47, vcc
	v_or_b32_e32 v8, 0x800000, v7
	v_add_u32_e32 v9, 20, v6
	v_cndmask_b32_e32 v7, v8, v7, vcc
	v_mov_b32_e32 v8, v33
	v_lshlrev_b64 v[22:23], v9, -1
	v_add_u32_e32 v9, 19, v6
	v_lshlrev_b64 v[26:27], v9, 1
	v_lshrrev_b64 v[40:41], v6, v[7:8]
	v_bfi_b32 v23, v23, 0, 0
	v_bfi_b32 v22, v22, 0, v7
	v_cmp_eq_u64_e64 s[22:23], v[22:23], v[26:27]
	v_mov_b32_e32 v42, v41
	v_mov_b32_e32 v41, v40
	s_and_saveexec_b64 s[94:95], s[22:23]
; %bb.526:                              ;   in Loop: Header=BB2_126 Depth=2
	v_bfe_u32 v7, v40, 20, 1
	v_add_co_u32_e64 v7, s[22:23], v40, v7
	v_add_co_u32_e64 v41, s[22:23], -1, v7
; %bb.527:                              ;   in Loop: Header=BB2_126 Depth=2
	s_or_b64 exec, exec, s[94:95]
	v_add_u32_e32 v5, 0xffffff81, v5
	v_cndmask_b32_e32 v5, v5, v44, vcc
	v_lshrrev_b32_e32 v7, 23, v40
	v_add3_u32 v7, v6, v5, v7
	v_add_u32_e32 v6, 6, v7
	v_and_b32_e32 v5, 0xfffff, v41
	v_add_u32_e32 v40, v5, v40
	v_mov_b32_e32 v41, v33
	v_cmp_ne_u32_e32 vcc, 0, v6
                                        ; implicit-def: $vgpr5
	s_and_saveexec_b64 s[22:23], vcc
	s_xor_b64 s[22:23], exec, s[22:23]
; %bb.528:                              ;   in Loop: Header=BB2_126 Depth=2
	v_cmp_lt_u64_e32 vcc, s[60:61], v[40:41]
	v_add_u32_e32 v5, 7, v7
	v_cndmask_b32_e32 v5, v6, v5, vcc
	v_cndmask_b32_e64 v6, 0, 1, vcc
	v_lshrrev_b64 v[40:41], v6, v[40:41]
; %bb.529:                              ;   in Loop: Header=BB2_126 Depth=2
	s_andn2_saveexec_b64 s[22:23], s[22:23]
; %bb.530:                              ;   in Loop: Header=BB2_126 Depth=2
	v_bfe_u32 v5, v40, 23, 1
; %bb.531:                              ;   in Loop: Header=BB2_126 Depth=2
	s_or_b64 exec, exec, s[22:23]
	v_lshrrev_b64 v[6:7], 20, v[40:41]
	v_cmp_gt_i32_e32 vcc, 16, v5
	v_cndmask_b32_e32 v7, 0, v7, vcc
	v_cndmask_b32_e32 v6, 7, v6, vcc
	v_cmp_eq_u32_e32 vcc, 0, v5
	v_min_i32_e32 v5, 15, v5
	v_cmp_eq_u64_e64 s[22:23], 0, v[6:7]
	v_lshlrev_b32_e32 v5, 3, v5
	v_and_b32_e32 v5, 0xf8, v5
	v_and_or_b32 v5, v6, 7, v5
	s_and_b64 s[22:23], vcc, s[22:23]
	v_cndmask_b32_e64 v5, v5, 0, s[22:23]
	v_or_b32_e32 v14, v5, v4
.LBB2_532:                              ;   in Loop: Header=BB2_126 Depth=2
	s_or_b64 exec, exec, s[92:93]
                                        ; implicit-def: $vgpr4
.LBB2_533:                              ;   in Loop: Header=BB2_126 Depth=2
	s_andn2_saveexec_b64 s[22:23], s[90:91]
; %bb.534:                              ;   in Loop: Header=BB2_126 Depth=2
	v_or_b32_e32 v14, 0x7e, v4
; %bb.535:                              ;   in Loop: Header=BB2_126 Depth=2
	s_or_b64 exec, exec, s[22:23]
                                        ; implicit-def: $vgpr5
.LBB2_536:                              ;   in Loop: Header=BB2_126 Depth=2
	s_andn2_saveexec_b64 s[22:23], s[88:89]
; %bb.537:                              ;   in Loop: Header=BB2_126 Depth=2
	v_or_b32_sdwa v14, v5, s51 dst_sel:DWORD dst_unused:UNUSED_PAD src0_sel:BYTE_3 src1_sel:DWORD
; %bb.538:                              ;   in Loop: Header=BB2_126 Depth=2
	s_or_b64 exec, exec, s[22:23]
	v_and_b32_sdwa v5, v32, s52 dst_sel:DWORD dst_unused:UNUSED_PAD src0_sel:WORD_1 src1_sel:DWORD
	v_lshrrev_b32_e32 v30, 16, v32
	v_cmp_ne_u16_e32 vcc, 0, v5
	v_mov_b32_e32 v4, 0
	s_and_saveexec_b64 s[22:23], vcc
	s_cbranch_execz .LBB2_544
; %bb.539:                              ;   in Loop: Header=BB2_126 Depth=2
	v_cmp_ne_u16_e32 vcc, s53, v5
	v_bfrev_b32_e32 v4, 1
	s_and_saveexec_b64 s[88:89], vcc
	s_cbranch_execz .LBB2_543
; %bb.540:                              ;   in Loop: Header=BB2_126 Depth=2
	v_bfe_u32 v5, v32, 16, 7
	v_cmp_ne_u32_e32 vcc, s51, v5
	v_mov_b32_e32 v4, 0x7f800001
	s_and_saveexec_b64 s[90:91], vcc
	s_cbranch_execz .LBB2_542
; %bb.541:                              ;   in Loop: Header=BB2_126 Depth=2
	v_and_b32_e32 v6, 7, v30
	v_ffbh_u32_e32 v4, v6
	v_min_u32_e32 v8, 32, v4
	v_subrev_u32_e32 v4, 28, v8
	v_lshrrev_b32_e32 v7, 3, v5
	v_cmp_gt_u32_e32 vcc, 8, v5
	v_lshlrev_b64 v[4:5], v4, v[30:31]
	v_sub_u32_e32 v5, 29, v8
	v_and_b32_e32 v4, 7, v4
	v_cndmask_b32_e32 v4, v6, v4, vcc
	v_mov_b32_e32 v6, 24
	v_cndmask_b32_e32 v5, v7, v5, vcc
	v_lshlrev_b32_sdwa v6, v6, v32 dst_sel:DWORD dst_unused:UNUSED_PAD src0_sel:DWORD src1_sel:WORD_1
	v_lshlrev_b32_e32 v4, 20, v4
	v_and_b32_e32 v6, 0x80000000, v6
	v_lshl_add_u32 v5, v5, 23, v3
	v_or3_b32 v4, v6, v5, v4
.LBB2_542:                              ;   in Loop: Header=BB2_126 Depth=2
	s_or_b64 exec, exec, s[90:91]
.LBB2_543:                              ;   in Loop: Header=BB2_126 Depth=2
	s_or_b64 exec, exec, s[88:89]
.LBB2_544:                              ;   in Loop: Header=BB2_126 Depth=2
	s_or_b64 exec, exec, s[22:23]
	v_lshrrev_b32_e32 v30, 16, v10
	v_cmp_gt_i16_sdwa s[88:89], v30, s51 src0_sel:BYTE_0 src1_sel:DWORD
	s_mov_b64 s[22:23], 0
	s_and_saveexec_b64 s[90:91], s[88:89]
	s_xor_b64 s[88:89], exec, s[90:91]
	s_cbranch_execnz .LBB2_902
; %bb.545:                              ;   in Loop: Header=BB2_126 Depth=2
	s_or_saveexec_b64 s[88:89], s[88:89]
	v_bfrev_b32_e32 v5, 1
	s_xor_b64 exec, exec, s[88:89]
	s_cbranch_execnz .LBB2_905
.LBB2_546:                              ;   in Loop: Header=BB2_126 Depth=2
	s_or_b64 exec, exec, s[88:89]
	s_and_saveexec_b64 s[88:89], s[22:23]
	s_cbranch_execz .LBB2_548
.LBB2_547:                              ;   in Loop: Header=BB2_126 Depth=2
	v_and_b32_e32 v7, 7, v30
	v_ffbh_u32_e32 v5, v7
	v_min_u32_e32 v17, 32, v5
	v_subrev_u32_e32 v5, 28, v17
	v_lshlrev_b64 v[5:6], v5, v[30:31]
	v_and_b32_e32 v8, 0x7f, v30
	v_bfe_u32 v9, v30, 3, 4
	v_sub_u32_e32 v6, 29, v17
	v_and_b32_e32 v5, 7, v5
	v_cmp_gt_u32_e32 vcc, 8, v8
	v_cndmask_b32_e32 v6, v9, v6, vcc
	v_cndmask_b32_e32 v5, v7, v5, vcc
	v_lshlrev_b32_e32 v7, 24, v30
	v_lshlrev_b32_e32 v5, 20, v5
	v_and_b32_e32 v7, 0x80000000, v7
	v_lshl_add_u32 v6, v6, 23, v3
	v_or3_b32 v5, v7, v6, v5
	v_cmp_ne_u32_e32 vcc, s51, v8
	v_cndmask_b32_e32 v5, v2, v5, vcc
.LBB2_548:                              ;   in Loop: Header=BB2_126 Depth=2
	s_or_b64 exec, exec, s[88:89]
	v_add_f32_e32 v5, v4, v5
	v_and_b32_e32 v6, 0x7f800000, v5
	v_mov_b32_e32 v7, v33
	v_cmp_ne_u64_e32 vcc, s[56:57], v[6:7]
                                        ; implicit-def: $vgpr17
	s_and_saveexec_b64 s[22:23], vcc
	s_xor_b64 s[88:89], exec, s[22:23]
	s_cbranch_execz .LBB2_562
; %bb.549:                              ;   in Loop: Header=BB2_126 Depth=2
	v_and_b32_e32 v6, 0x7fffffff, v5
	v_mov_b32_e32 v7, v33
	v_cmp_gt_u64_e32 vcc, s[58:59], v[6:7]
	v_and_b32_sdwa v4, v5, s53 dst_sel:DWORD dst_unused:UNUSED_PAD src0_sel:BYTE_3 src1_sel:DWORD
                                        ; implicit-def: $vgpr17
	s_and_saveexec_b64 s[22:23], vcc
	s_xor_b64 s[90:91], exec, s[22:23]
	s_cbranch_execz .LBB2_559
; %bb.550:                              ;   in Loop: Header=BB2_126 Depth=2
	v_mov_b32_e32 v17, 0
	v_cmp_ne_u32_e32 vcc, 0, v5
	s_and_saveexec_b64 s[92:93], vcc
	s_cbranch_execz .LBB2_558
; %bb.551:                              ;   in Loop: Header=BB2_126 Depth=2
	v_and_b32_e32 v7, 0x7fffff, v5
	v_bfe_u32 v5, v5, 23, 8
	v_cmp_gt_u32_e64 s[22:23], s54, v5
	v_sub_u32_e32 v6, 0x79, v5
	v_cmp_eq_u32_e32 vcc, 0, v5
	v_cndmask_b32_e64 v6, 0, v6, s[22:23]
	v_cndmask_b32_e32 v6, v6, v47, vcc
	v_or_b32_e32 v8, 0x800000, v7
	v_add_u32_e32 v9, 20, v6
	v_cndmask_b32_e32 v7, v8, v7, vcc
	v_mov_b32_e32 v8, v33
	v_lshlrev_b64 v[22:23], v9, -1
	v_add_u32_e32 v9, 19, v6
	v_lshlrev_b64 v[26:27], v9, 1
	v_lshrrev_b64 v[40:41], v6, v[7:8]
	v_bfi_b32 v23, v23, 0, 0
	v_bfi_b32 v22, v22, 0, v7
	v_cmp_eq_u64_e64 s[22:23], v[22:23], v[26:27]
	v_mov_b32_e32 v42, v41
	v_mov_b32_e32 v41, v40
	s_and_saveexec_b64 s[94:95], s[22:23]
; %bb.552:                              ;   in Loop: Header=BB2_126 Depth=2
	v_bfe_u32 v7, v40, 20, 1
	v_add_co_u32_e64 v7, s[22:23], v40, v7
	v_add_co_u32_e64 v41, s[22:23], -1, v7
; %bb.553:                              ;   in Loop: Header=BB2_126 Depth=2
	s_or_b64 exec, exec, s[94:95]
	v_add_u32_e32 v5, 0xffffff81, v5
	v_cndmask_b32_e32 v5, v5, v44, vcc
	v_lshrrev_b32_e32 v7, 23, v40
	v_add3_u32 v7, v6, v5, v7
	v_add_u32_e32 v6, 6, v7
	v_and_b32_e32 v5, 0xfffff, v41
	v_add_u32_e32 v40, v5, v40
	v_mov_b32_e32 v41, v33
	v_cmp_ne_u32_e32 vcc, 0, v6
                                        ; implicit-def: $vgpr5
	s_and_saveexec_b64 s[22:23], vcc
	s_xor_b64 s[22:23], exec, s[22:23]
; %bb.554:                              ;   in Loop: Header=BB2_126 Depth=2
	v_cmp_lt_u64_e32 vcc, s[60:61], v[40:41]
	v_add_u32_e32 v5, 7, v7
	v_cndmask_b32_e32 v5, v6, v5, vcc
	v_cndmask_b32_e64 v6, 0, 1, vcc
	v_lshrrev_b64 v[40:41], v6, v[40:41]
; %bb.555:                              ;   in Loop: Header=BB2_126 Depth=2
	s_andn2_saveexec_b64 s[22:23], s[22:23]
; %bb.556:                              ;   in Loop: Header=BB2_126 Depth=2
	v_bfe_u32 v5, v40, 23, 1
; %bb.557:                              ;   in Loop: Header=BB2_126 Depth=2
	s_or_b64 exec, exec, s[22:23]
	v_lshrrev_b64 v[6:7], 20, v[40:41]
	v_cmp_gt_i32_e32 vcc, 16, v5
	v_cndmask_b32_e32 v7, 0, v7, vcc
	v_cndmask_b32_e32 v6, 7, v6, vcc
	v_cmp_eq_u32_e32 vcc, 0, v5
	v_min_i32_e32 v5, 15, v5
	v_cmp_eq_u64_e64 s[22:23], 0, v[6:7]
	v_lshlrev_b32_e32 v5, 3, v5
	v_and_b32_e32 v5, 0xf8, v5
	v_and_or_b32 v5, v6, 7, v5
	s_and_b64 s[22:23], vcc, s[22:23]
	v_cndmask_b32_e64 v5, v5, 0, s[22:23]
	v_or_b32_e32 v17, v5, v4
.LBB2_558:                              ;   in Loop: Header=BB2_126 Depth=2
	s_or_b64 exec, exec, s[92:93]
                                        ; implicit-def: $vgpr4
.LBB2_559:                              ;   in Loop: Header=BB2_126 Depth=2
	s_andn2_saveexec_b64 s[22:23], s[90:91]
; %bb.560:                              ;   in Loop: Header=BB2_126 Depth=2
	v_or_b32_e32 v17, 0x7e, v4
; %bb.561:                              ;   in Loop: Header=BB2_126 Depth=2
	s_or_b64 exec, exec, s[22:23]
                                        ; implicit-def: $vgpr5
.LBB2_562:                              ;   in Loop: Header=BB2_126 Depth=2
	s_andn2_saveexec_b64 s[22:23], s[88:89]
; %bb.563:                              ;   in Loop: Header=BB2_126 Depth=2
	v_or_b32_sdwa v17, v5, s51 dst_sel:DWORD dst_unused:UNUSED_PAD src0_sel:BYTE_3 src1_sel:DWORD
; %bb.564:                              ;   in Loop: Header=BB2_126 Depth=2
	s_or_b64 exec, exec, s[22:23]
	v_cmp_lt_u32_e32 vcc, s63, v32
	v_mov_b32_e32 v4, 0
	s_and_saveexec_b64 s[22:23], vcc
	s_cbranch_execz .LBB2_570
; %bb.565:                              ;   in Loop: Header=BB2_126 Depth=2
	v_lshrrev_b32_e32 v30, 24, v32
	v_cmp_ne_u32_e32 vcc, s53, v30
	v_bfrev_b32_e32 v4, 1
	s_and_saveexec_b64 s[88:89], vcc
	s_cbranch_execz .LBB2_569
; %bb.566:                              ;   in Loop: Header=BB2_126 Depth=2
	v_bfe_u32 v5, v32, 24, 7
	v_cmp_ne_u32_e32 vcc, s51, v5
	v_mov_b32_e32 v4, 0x7f800001
	s_and_saveexec_b64 s[90:91], vcc
	s_cbranch_execz .LBB2_568
; %bb.567:                              ;   in Loop: Header=BB2_126 Depth=2
	v_and_b32_e32 v6, 7, v30
	v_ffbh_u32_e32 v4, v6
	v_min_u32_e32 v8, 32, v4
	v_subrev_u32_e32 v4, 28, v8
	v_lshrrev_b32_e32 v7, 3, v5
	v_cmp_gt_u32_e32 vcc, 8, v5
	v_lshlrev_b64 v[4:5], v4, v[30:31]
	v_sub_u32_e32 v5, 29, v8
	v_and_b32_e32 v4, 7, v4
	v_cndmask_b32_e32 v5, v7, v5, vcc
	v_cndmask_b32_e32 v4, v6, v4, vcc
	v_lshlrev_b32_e32 v6, 24, v30
	v_lshlrev_b32_e32 v4, 20, v4
	v_and_b32_e32 v6, 0x80000000, v6
	v_lshl_add_u32 v5, v5, 23, v3
	v_or3_b32 v4, v6, v5, v4
.LBB2_568:                              ;   in Loop: Header=BB2_126 Depth=2
	s_or_b64 exec, exec, s[90:91]
.LBB2_569:                              ;   in Loop: Header=BB2_126 Depth=2
	s_or_b64 exec, exec, s[88:89]
.LBB2_570:                              ;   in Loop: Header=BB2_126 Depth=2
	s_or_b64 exec, exec, s[22:23]
	v_bfe_u32 v8, v10, 24, 3
	v_ffbh_u32_e32 v6, v8
	v_min_u32_e32 v23, 32, v6
	v_lshrrev_b32_e32 v5, 24, v10
	v_subrev_u32_e32 v6, 28, v23
	v_lshlrev_b64 v[6:7], v6, v[5:6]
	v_bfe_u32 v9, v10, 24, 7
	v_bfe_u32 v22, v5, 3, 4
	v_sub_u32_e32 v7, 29, v23
	v_and_b32_e32 v6, 7, v6
	v_cmp_gt_u32_e32 vcc, 8, v9
	v_cndmask_b32_e32 v7, v22, v7, vcc
	v_cndmask_b32_e32 v6, v8, v6, vcc
	v_lshlrev_b32_e32 v6, 20, v6
	v_and_b32_e32 v8, 0x80000000, v10
	v_lshl_add_u32 v7, v7, 23, v3
	v_or3_b32 v6, v8, v7, v6
	v_cmp_ne_u32_e32 vcc, s51, v9
	v_cndmask_b32_e32 v6, v2, v6, vcc
	v_cmp_ne_u32_e32 vcc, s53, v5
	v_cndmask_b32_e32 v5, v31, v6, vcc
	v_cmp_lt_u32_e32 vcc, s63, v10
	v_cndmask_b32_e32 v5, 0, v5, vcc
	v_add_f32_e32 v5, v5, v4
	v_and_b32_e32 v32, 0x7f800000, v5
	v_cmp_ne_u64_e32 vcc, s[56:57], v[32:33]
                                        ; implicit-def: $vgpr38
	s_and_saveexec_b64 s[22:23], vcc
	s_xor_b64 s[88:89], exec, s[22:23]
	s_cbranch_execz .LBB2_584
; %bb.571:                              ;   in Loop: Header=BB2_126 Depth=2
	v_and_b32_e32 v32, 0x7fffffff, v5
	v_cmp_gt_u64_e32 vcc, s[58:59], v[32:33]
	v_and_b32_sdwa v4, v5, s53 dst_sel:DWORD dst_unused:UNUSED_PAD src0_sel:BYTE_3 src1_sel:DWORD
                                        ; implicit-def: $vgpr38
	s_and_saveexec_b64 s[22:23], vcc
	s_xor_b64 s[90:91], exec, s[22:23]
	s_cbranch_execz .LBB2_581
; %bb.572:                              ;   in Loop: Header=BB2_126 Depth=2
	v_mov_b32_e32 v38, 0
	v_cmp_ne_u32_e32 vcc, 0, v5
	s_and_saveexec_b64 s[92:93], vcc
	s_cbranch_execz .LBB2_580
; %bb.573:                              ;   in Loop: Header=BB2_126 Depth=2
	v_and_b32_e32 v7, 0x7fffff, v5
	v_bfe_u32 v5, v5, 23, 8
	v_cmp_gt_u32_e64 s[22:23], s54, v5
	v_sub_u32_e32 v6, 0x79, v5
	v_cmp_eq_u32_e32 vcc, 0, v5
	v_cndmask_b32_e64 v6, 0, v6, s[22:23]
	v_or_b32_e32 v8, 0x800000, v7
	v_cndmask_b32_e32 v6, v6, v47, vcc
	v_cndmask_b32_e32 v32, v8, v7, vcc
	v_add_u32_e32 v7, 20, v6
	v_lshlrev_b64 v[7:8], v7, -1
	v_add_u32_e32 v9, 19, v6
	v_lshlrev_b64 v[22:23], v9, 1
	v_lshrrev_b64 v[40:41], v6, v[32:33]
	v_bfi_b32 v8, v8, 0, 0
	v_bfi_b32 v7, v7, 0, v32
	v_cmp_eq_u64_e64 s[22:23], v[7:8], v[22:23]
	v_mov_b32_e32 v42, v41
	v_mov_b32_e32 v41, v40
	s_and_saveexec_b64 s[94:95], s[22:23]
; %bb.574:                              ;   in Loop: Header=BB2_126 Depth=2
	v_bfe_u32 v7, v40, 20, 1
	v_add_co_u32_e64 v7, s[22:23], v40, v7
	v_add_co_u32_e64 v41, s[22:23], -1, v7
; %bb.575:                              ;   in Loop: Header=BB2_126 Depth=2
	s_or_b64 exec, exec, s[94:95]
	v_add_u32_e32 v5, 0xffffff81, v5
	v_cndmask_b32_e32 v5, v5, v44, vcc
	v_lshrrev_b32_e32 v7, 23, v40
	v_add3_u32 v7, v6, v5, v7
	v_add_u32_e32 v6, 6, v7
	v_and_b32_e32 v5, 0xfffff, v41
	v_add_u32_e32 v32, v5, v40
	v_cmp_ne_u32_e32 vcc, 0, v6
                                        ; implicit-def: $vgpr40_vgpr41
                                        ; implicit-def: $vgpr5
	s_and_saveexec_b64 s[22:23], vcc
	s_xor_b64 s[22:23], exec, s[22:23]
; %bb.576:                              ;   in Loop: Header=BB2_126 Depth=2
	v_cmp_lt_u64_e32 vcc, s[60:61], v[32:33]
	v_add_u32_e32 v5, 7, v7
	v_cndmask_b32_e32 v5, v6, v5, vcc
	v_cndmask_b32_e64 v6, 0, 1, vcc
	v_lshrrev_b64 v[40:41], v6, v[32:33]
; %bb.577:                              ;   in Loop: Header=BB2_126 Depth=2
	s_andn2_saveexec_b64 s[22:23], s[22:23]
; %bb.578:                              ;   in Loop: Header=BB2_126 Depth=2
	v_mov_b32_e32 v41, v33
	v_bfe_u32 v5, v32, 23, 1
	v_mov_b32_e32 v40, v32
; %bb.579:                              ;   in Loop: Header=BB2_126 Depth=2
	s_or_b64 exec, exec, s[22:23]
	v_lshrrev_b64 v[6:7], 20, v[40:41]
	v_cmp_gt_i32_e32 vcc, 16, v5
	v_cndmask_b32_e32 v7, 0, v7, vcc
	v_cndmask_b32_e32 v6, 7, v6, vcc
	v_cmp_eq_u32_e32 vcc, 0, v5
	v_min_i32_e32 v5, 15, v5
	v_cmp_eq_u64_e64 s[22:23], 0, v[6:7]
	v_lshlrev_b32_e32 v5, 3, v5
	v_and_b32_e32 v5, 0xf8, v5
	v_and_or_b32 v5, v6, 7, v5
	s_and_b64 s[22:23], vcc, s[22:23]
	v_cndmask_b32_e64 v5, v5, 0, s[22:23]
	v_or_b32_e32 v38, v5, v4
.LBB2_580:                              ;   in Loop: Header=BB2_126 Depth=2
	s_or_b64 exec, exec, s[92:93]
                                        ; implicit-def: $vgpr4
.LBB2_581:                              ;   in Loop: Header=BB2_126 Depth=2
	s_andn2_saveexec_b64 s[22:23], s[90:91]
; %bb.582:                              ;   in Loop: Header=BB2_126 Depth=2
	v_or_b32_e32 v38, 0x7e, v4
; %bb.583:                              ;   in Loop: Header=BB2_126 Depth=2
	s_or_b64 exec, exec, s[22:23]
                                        ; implicit-def: $vgpr5
.LBB2_584:                              ;   in Loop: Header=BB2_126 Depth=2
	s_andn2_saveexec_b64 s[22:23], s[88:89]
; %bb.585:                              ;   in Loop: Header=BB2_126 Depth=2
	v_or_b32_sdwa v38, v5, s51 dst_sel:DWORD dst_unused:UNUSED_PAD src0_sel:BYTE_3 src1_sel:DWORD
; %bb.586:                              ;   in Loop: Header=BB2_126 Depth=2
	s_or_b64 exec, exec, s[22:23]
	v_lshl_or_b32 v4, v43, 8, v29
	v_lshlrev_b32_e32 v5, 16, v61
	v_lshlrev_b32_e32 v6, 24, v48
	v_or3_b32 v32, v5, v6, v4
	v_cmp_ne_u32_e32 vcc, 0, v29
	v_mov_b32_e32 v5, 0
	s_and_saveexec_b64 s[22:23], vcc
	s_cbranch_execz .LBB2_592
; %bb.587:                              ;   in Loop: Header=BB2_126 Depth=2
	v_cmp_ne_u32_e32 vcc, s53, v29
	v_bfrev_b32_e32 v5, 1
	s_and_saveexec_b64 s[88:89], vcc
	s_cbranch_execz .LBB2_591
; %bb.588:                              ;   in Loop: Header=BB2_126 Depth=2
	v_and_b32_e32 v6, 0x7f, v29
	v_cmp_ne_u32_e32 vcc, s51, v6
	v_mov_b32_e32 v5, 0x7f800001
	s_and_saveexec_b64 s[90:91], vcc
	s_cbranch_execz .LBB2_590
; %bb.589:                              ;   in Loop: Header=BB2_126 Depth=2
	v_and_b32_e32 v5, 7, v29
	v_ffbh_u32_e32 v5, v5
	v_min_u32_e32 v5, 32, v5
	v_lshrrev_b32_e32 v7, 3, v6
	v_cmp_gt_u32_e32 vcc, 8, v6
	v_subrev_u32_e32 v6, 28, v5
	v_sub_u32_e32 v5, 29, v5
	v_cndmask_b32_e32 v7, v7, v5, vcc
	v_cndmask_b32_e32 v5, 0, v6, vcc
	v_lshlrev_b64 v[5:6], v5, v[32:33]
	v_lshlrev_b32_e32 v6, 24, v32
	v_lshlrev_b32_e32 v5, 20, v5
	v_and_b32_e32 v5, 0x700000, v5
	v_and_b32_e32 v6, 0x80000000, v6
	v_lshl_add_u32 v7, v7, 23, v3
	v_or3_b32 v5, v6, v7, v5
.LBB2_590:                              ;   in Loop: Header=BB2_126 Depth=2
	s_or_b64 exec, exec, s[90:91]
.LBB2_591:                              ;   in Loop: Header=BB2_126 Depth=2
	s_or_b64 exec, exec, s[88:89]
.LBB2_592:                              ;   in Loop: Header=BB2_126 Depth=2
	s_or_b64 exec, exec, s[22:23]
	v_cmp_gt_i16_sdwa s[88:89], v11, s51 src0_sel:BYTE_0 src1_sel:DWORD
	s_mov_b64 s[22:23], 0
	s_and_saveexec_b64 s[90:91], s[88:89]
	s_xor_b64 s[88:89], exec, s[90:91]
	s_cbranch_execz .LBB2_596
; %bb.593:                              ;   in Loop: Header=BB2_126 Depth=2
	v_cmp_eq_u16_sdwa s[92:93], v11, s53 src0_sel:BYTE_0 src1_sel:DWORD
	s_mov_b64 s[22:23], -1
	s_and_saveexec_b64 s[90:91], s[92:93]
; %bb.594:                              ;   in Loop: Header=BB2_126 Depth=2
	s_xor_b64 s[22:23], exec, -1
; %bb.595:                              ;   in Loop: Header=BB2_126 Depth=2
	s_or_b64 exec, exec, s[90:91]
	s_and_b64 s[22:23], s[22:23], exec
.LBB2_596:                              ;   in Loop: Header=BB2_126 Depth=2
	s_or_saveexec_b64 s[88:89], s[88:89]
	v_bfrev_b32_e32 v6, 1
	s_xor_b64 exec, exec, s[88:89]
; %bb.597:                              ;   in Loop: Header=BB2_126 Depth=2
	v_cmp_ne_u16_sdwa s[90:91], v11, v33 src0_sel:BYTE_0 src1_sel:DWORD
	s_andn2_b64 s[22:23], s[22:23], exec
	s_and_b64 s[90:91], s[90:91], exec
	v_mov_b32_e32 v6, 0
	s_or_b64 s[22:23], s[22:23], s[90:91]
; %bb.598:                              ;   in Loop: Header=BB2_126 Depth=2
	s_or_b64 exec, exec, s[88:89]
	v_mov_b32_e32 v40, v11
	v_mov_b32_e32 v41, v33
	s_and_saveexec_b64 s[88:89], s[22:23]
	s_cbranch_execz .LBB2_600
; %bb.599:                              ;   in Loop: Header=BB2_126 Depth=2
	v_and_b32_e32 v6, 7, v11
	v_ffbh_u32_e32 v6, v6
	v_and_b32_e32 v8, 0x7f, v11
	v_min_u32_e32 v6, 32, v6
	v_bfe_u32 v7, v11, 3, 4
	v_subrev_u32_e32 v9, 28, v6
	v_sub_u32_e32 v6, 29, v6
	v_cmp_gt_u32_e32 vcc, 8, v8
	v_cndmask_b32_e32 v22, v7, v6, vcc
	v_cndmask_b32_e32 v6, 0, v9, vcc
	v_lshlrev_b64 v[6:7], v6, v[40:41]
	v_lshlrev_b32_e32 v7, 24, v40
	v_lshlrev_b32_e32 v6, 20, v6
	v_and_b32_e32 v6, 0x700000, v6
	v_and_b32_e32 v7, 0x80000000, v7
	v_lshl_add_u32 v9, v22, 23, v3
	v_or3_b32 v6, v7, v9, v6
	v_cmp_ne_u32_e32 vcc, s51, v8
	v_cndmask_b32_e32 v6, v2, v6, vcc
.LBB2_600:                              ;   in Loop: Header=BB2_126 Depth=2
	s_or_b64 exec, exec, s[88:89]
	v_add_f32_e32 v22, v5, v6
	v_and_b32_e32 v5, 0x7f800000, v22
	v_mov_b32_e32 v6, v33
	v_cmp_ne_u64_e32 vcc, s[56:57], v[5:6]
                                        ; implicit-def: $vgpr29
	s_and_saveexec_b64 s[22:23], vcc
	s_xor_b64 s[88:89], exec, s[22:23]
	s_cbranch_execz .LBB2_614
; %bb.601:                              ;   in Loop: Header=BB2_126 Depth=2
	v_and_b32_e32 v5, 0x7fffffff, v22
	v_mov_b32_e32 v6, v33
	v_cmp_gt_u64_e32 vcc, s[58:59], v[5:6]
	v_and_b32_sdwa v5, v22, s53 dst_sel:DWORD dst_unused:UNUSED_PAD src0_sel:BYTE_3 src1_sel:DWORD
                                        ; implicit-def: $vgpr29
	s_and_saveexec_b64 s[22:23], vcc
	s_xor_b64 s[90:91], exec, s[22:23]
	s_cbranch_execz .LBB2_611
; %bb.602:                              ;   in Loop: Header=BB2_126 Depth=2
	v_mov_b32_e32 v29, 0
	v_cmp_ne_u32_e32 vcc, 0, v22
	s_and_saveexec_b64 s[92:93], vcc
	s_cbranch_execz .LBB2_610
; %bb.603:                              ;   in Loop: Header=BB2_126 Depth=2
	v_and_b32_e32 v7, 0x7fffff, v22
	v_bfe_u32 v22, v22, 23, 8
	v_cmp_gt_u32_e64 s[22:23], s54, v22
	v_sub_u32_e32 v6, 0x79, v22
	v_cmp_eq_u32_e32 vcc, 0, v22
	v_cndmask_b32_e64 v6, 0, v6, s[22:23]
	v_cndmask_b32_e32 v6, v6, v47, vcc
	v_or_b32_e32 v8, 0x800000, v7
	v_add_u32_e32 v9, 20, v6
	v_cndmask_b32_e32 v7, v8, v7, vcc
	v_mov_b32_e32 v8, v33
	v_lshlrev_b64 v[26:27], v9, -1
	v_add_u32_e32 v9, 19, v6
	v_lshlrev_b64 v[29:30], v9, 1
	v_lshrrev_b64 v[41:42], v6, v[7:8]
	v_bfi_b32 v27, v27, 0, 0
	v_bfi_b32 v26, v26, 0, v7
	v_cmp_eq_u64_e64 s[22:23], v[26:27], v[29:30]
	v_mov_b32_e32 v43, v42
	v_mov_b32_e32 v42, v41
	s_and_saveexec_b64 s[94:95], s[22:23]
; %bb.604:                              ;   in Loop: Header=BB2_126 Depth=2
	v_bfe_u32 v7, v41, 20, 1
	v_add_co_u32_e64 v7, s[22:23], v41, v7
	v_add_co_u32_e64 v42, s[22:23], -1, v7
; %bb.605:                              ;   in Loop: Header=BB2_126 Depth=2
	s_or_b64 exec, exec, s[94:95]
	v_add_u32_e32 v7, 0xffffff81, v22
	v_cndmask_b32_e32 v7, v7, v44, vcc
	v_lshrrev_b32_e32 v8, 23, v41
	v_add3_u32 v8, v6, v7, v8
	v_add_u32_e32 v7, 6, v8
	v_and_b32_e32 v6, 0xfffff, v42
	v_add_u32_e32 v41, v6, v41
	v_mov_b32_e32 v42, v33
	v_cmp_ne_u32_e32 vcc, 0, v7
                                        ; implicit-def: $vgpr6
	s_and_saveexec_b64 s[22:23], vcc
	s_xor_b64 s[22:23], exec, s[22:23]
; %bb.606:                              ;   in Loop: Header=BB2_126 Depth=2
	v_cmp_lt_u64_e32 vcc, s[60:61], v[41:42]
	v_add_u32_e32 v6, 7, v8
	v_cndmask_b32_e32 v6, v7, v6, vcc
	v_cndmask_b32_e64 v7, 0, 1, vcc
	v_lshrrev_b64 v[41:42], v7, v[41:42]
; %bb.607:                              ;   in Loop: Header=BB2_126 Depth=2
	s_andn2_saveexec_b64 s[22:23], s[22:23]
; %bb.608:                              ;   in Loop: Header=BB2_126 Depth=2
	v_bfe_u32 v6, v41, 23, 1
; %bb.609:                              ;   in Loop: Header=BB2_126 Depth=2
	s_or_b64 exec, exec, s[22:23]
	v_lshrrev_b64 v[7:8], 20, v[41:42]
	v_cmp_gt_i32_e32 vcc, 16, v6
	v_cndmask_b32_e32 v8, 0, v8, vcc
	v_cndmask_b32_e32 v7, 7, v7, vcc
	v_cmp_eq_u32_e32 vcc, 0, v6
	v_min_i32_e32 v6, 15, v6
	v_cmp_eq_u64_e64 s[22:23], 0, v[7:8]
	v_lshlrev_b32_e32 v6, 3, v6
	v_and_b32_e32 v6, 0xf8, v6
	v_and_or_b32 v6, v7, 7, v6
	s_and_b64 s[22:23], vcc, s[22:23]
	v_cndmask_b32_e64 v6, v6, 0, s[22:23]
	v_or_b32_e32 v29, v6, v5
.LBB2_610:                              ;   in Loop: Header=BB2_126 Depth=2
	s_or_b64 exec, exec, s[92:93]
                                        ; implicit-def: $vgpr5
.LBB2_611:                              ;   in Loop: Header=BB2_126 Depth=2
	s_andn2_saveexec_b64 s[22:23], s[90:91]
; %bb.612:                              ;   in Loop: Header=BB2_126 Depth=2
	v_or_b32_e32 v29, 0x7e, v5
; %bb.613:                              ;   in Loop: Header=BB2_126 Depth=2
	s_or_b64 exec, exec, s[22:23]
                                        ; implicit-def: $vgpr22
.LBB2_614:                              ;   in Loop: Header=BB2_126 Depth=2
	s_andn2_saveexec_b64 s[22:23], s[88:89]
; %bb.615:                              ;   in Loop: Header=BB2_126 Depth=2
	v_or_b32_sdwa v29, v22, s51 dst_sel:DWORD dst_unused:UNUSED_PAD src0_sel:BYTE_3 src1_sel:DWORD
; %bb.616:                              ;   in Loop: Header=BB2_126 Depth=2
	s_or_b64 exec, exec, s[22:23]
	v_lshrrev_b16_e32 v30, 8, v4
	v_cmp_ne_u16_e32 vcc, 0, v30
	v_mov_b32_e32 v5, 0
	s_and_saveexec_b64 s[22:23], vcc
	s_cbranch_execz .LBB2_622
; %bb.617:                              ;   in Loop: Header=BB2_126 Depth=2
	v_cmp_ne_u16_e32 vcc, s53, v30
	v_bfrev_b32_e32 v5, 1
	s_and_saveexec_b64 s[88:89], vcc
	s_cbranch_execz .LBB2_621
; %bb.618:                              ;   in Loop: Header=BB2_126 Depth=2
	v_and_b32_e32 v6, 0x7f, v30
	v_cmp_ne_u32_e32 vcc, s51, v6
	v_mov_b32_e32 v5, 0x7f800001
	s_and_saveexec_b64 s[90:91], vcc
	s_cbranch_execz .LBB2_620
; %bb.619:                              ;   in Loop: Header=BB2_126 Depth=2
	v_and_b32_e32 v7, 7, v30
	v_ffbh_u32_e32 v5, v7
	v_min_u32_e32 v9, 32, v5
	v_subrev_u32_e32 v5, 28, v9
	v_lshrrev_b32_e32 v8, 3, v6
	v_cmp_gt_u32_e32 vcc, 8, v6
	v_lshlrev_b64 v[5:6], v5, v[30:31]
	v_sub_u32_e32 v6, 29, v9
	v_and_b32_e32 v5, 7, v5
	v_cndmask_b32_e32 v6, v8, v6, vcc
	v_cndmask_b32_e32 v5, v7, v5, vcc
	v_lshlrev_b32_e32 v4, 16, v4
	v_lshlrev_b32_e32 v5, 20, v5
	v_and_b32_e32 v4, 0x80000000, v4
	v_lshl_add_u32 v6, v6, 23, v3
	v_or3_b32 v5, v4, v6, v5
.LBB2_620:                              ;   in Loop: Header=BB2_126 Depth=2
	s_or_b64 exec, exec, s[90:91]
.LBB2_621:                              ;   in Loop: Header=BB2_126 Depth=2
	s_or_b64 exec, exec, s[88:89]
.LBB2_622:                              ;   in Loop: Header=BB2_126 Depth=2
	s_or_b64 exec, exec, s[22:23]
	v_lshrrev_b16_e32 v40, 8, v40
	v_cmp_lt_i16_e32 vcc, s51, v40
	s_mov_b64 s[22:23], 0
	s_and_saveexec_b64 s[88:89], vcc
	s_xor_b64 s[88:89], exec, s[88:89]
	s_cbranch_execnz .LBB2_906
; %bb.623:                              ;   in Loop: Header=BB2_126 Depth=2
	s_or_saveexec_b64 s[88:89], s[88:89]
	v_bfrev_b32_e32 v4, 1
	s_xor_b64 exec, exec, s[88:89]
	s_cbranch_execnz .LBB2_909
.LBB2_624:                              ;   in Loop: Header=BB2_126 Depth=2
	s_or_b64 exec, exec, s[88:89]
	s_and_saveexec_b64 s[88:89], s[22:23]
	s_cbranch_execz .LBB2_626
.LBB2_625:                              ;   in Loop: Header=BB2_126 Depth=2
	v_and_b32_e32 v4, 7, v40
	v_ffbh_u32_e32 v6, v4
	v_min_u32_e32 v22, 32, v6
	v_mov_b32_e32 v41, v33
	v_subrev_u32_e32 v6, 28, v22
	v_lshlrev_b64 v[6:7], v6, v[40:41]
	v_and_b32_e32 v8, 0x7f, v40
	v_bfe_u32 v9, v40, 3, 4
	v_sub_u32_e32 v7, 29, v22
	v_and_b32_e32 v6, 7, v6
	v_cmp_gt_u32_e32 vcc, 8, v8
	v_cndmask_b32_e32 v7, v9, v7, vcc
	v_cndmask_b32_e32 v4, v4, v6, vcc
	v_lshlrev_b32_e32 v6, 24, v40
	v_lshlrev_b32_e32 v4, 20, v4
	v_and_b32_e32 v6, 0x80000000, v6
	v_lshl_add_u32 v7, v7, 23, v3
	v_or3_b32 v4, v6, v7, v4
	v_cmp_ne_u32_e32 vcc, s51, v8
	v_cndmask_b32_e32 v4, v2, v4, vcc
.LBB2_626:                              ;   in Loop: Header=BB2_126 Depth=2
	s_or_b64 exec, exec, s[88:89]
	v_add_f32_e32 v5, v5, v4
	v_and_b32_e32 v6, 0x7f800000, v5
	v_mov_b32_e32 v7, v33
	v_cmp_ne_u64_e32 vcc, s[56:57], v[6:7]
                                        ; implicit-def: $vgpr48
	s_and_saveexec_b64 s[22:23], vcc
	s_xor_b64 s[88:89], exec, s[22:23]
	s_cbranch_execz .LBB2_640
; %bb.627:                              ;   in Loop: Header=BB2_126 Depth=2
	v_and_b32_e32 v6, 0x7fffffff, v5
	v_mov_b32_e32 v7, v33
	v_cmp_gt_u64_e32 vcc, s[58:59], v[6:7]
	v_and_b32_sdwa v4, v5, s53 dst_sel:DWORD dst_unused:UNUSED_PAD src0_sel:BYTE_3 src1_sel:DWORD
                                        ; implicit-def: $vgpr48
	s_and_saveexec_b64 s[22:23], vcc
	s_xor_b64 s[90:91], exec, s[22:23]
	s_cbranch_execz .LBB2_637
; %bb.628:                              ;   in Loop: Header=BB2_126 Depth=2
	v_mov_b32_e32 v48, 0
	v_cmp_ne_u32_e32 vcc, 0, v5
	s_and_saveexec_b64 s[92:93], vcc
	s_cbranch_execz .LBB2_636
; %bb.629:                              ;   in Loop: Header=BB2_126 Depth=2
	v_and_b32_e32 v7, 0x7fffff, v5
	v_bfe_u32 v5, v5, 23, 8
	v_cmp_gt_u32_e64 s[22:23], s54, v5
	v_sub_u32_e32 v6, 0x79, v5
	v_cmp_eq_u32_e32 vcc, 0, v5
	v_cndmask_b32_e64 v6, 0, v6, s[22:23]
	v_cndmask_b32_e32 v6, v6, v47, vcc
	v_or_b32_e32 v8, 0x800000, v7
	v_add_u32_e32 v9, 20, v6
	v_cndmask_b32_e32 v7, v8, v7, vcc
	v_mov_b32_e32 v8, v33
	v_lshlrev_b64 v[22:23], v9, -1
	v_add_u32_e32 v9, 19, v6
	v_lshlrev_b64 v[26:27], v9, 1
	v_lshrrev_b64 v[40:41], v6, v[7:8]
	v_bfi_b32 v23, v23, 0, 0
	v_bfi_b32 v22, v22, 0, v7
	v_cmp_eq_u64_e64 s[22:23], v[22:23], v[26:27]
	v_mov_b32_e32 v42, v41
	v_mov_b32_e32 v41, v40
	s_and_saveexec_b64 s[94:95], s[22:23]
; %bb.630:                              ;   in Loop: Header=BB2_126 Depth=2
	v_bfe_u32 v7, v40, 20, 1
	v_add_co_u32_e64 v7, s[22:23], v40, v7
	v_add_co_u32_e64 v41, s[22:23], -1, v7
; %bb.631:                              ;   in Loop: Header=BB2_126 Depth=2
	s_or_b64 exec, exec, s[94:95]
	v_add_u32_e32 v5, 0xffffff81, v5
	v_cndmask_b32_e32 v5, v5, v44, vcc
	v_lshrrev_b32_e32 v7, 23, v40
	v_add3_u32 v7, v6, v5, v7
	v_add_u32_e32 v6, 6, v7
	v_and_b32_e32 v5, 0xfffff, v41
	v_add_u32_e32 v40, v5, v40
	v_mov_b32_e32 v41, v33
	v_cmp_ne_u32_e32 vcc, 0, v6
                                        ; implicit-def: $vgpr5
	s_and_saveexec_b64 s[22:23], vcc
	s_xor_b64 s[22:23], exec, s[22:23]
; %bb.632:                              ;   in Loop: Header=BB2_126 Depth=2
	v_cmp_lt_u64_e32 vcc, s[60:61], v[40:41]
	v_add_u32_e32 v5, 7, v7
	v_cndmask_b32_e32 v5, v6, v5, vcc
	v_cndmask_b32_e64 v6, 0, 1, vcc
	v_lshrrev_b64 v[40:41], v6, v[40:41]
; %bb.633:                              ;   in Loop: Header=BB2_126 Depth=2
	s_andn2_saveexec_b64 s[22:23], s[22:23]
; %bb.634:                              ;   in Loop: Header=BB2_126 Depth=2
	v_bfe_u32 v5, v40, 23, 1
; %bb.635:                              ;   in Loop: Header=BB2_126 Depth=2
	s_or_b64 exec, exec, s[22:23]
	v_lshrrev_b64 v[6:7], 20, v[40:41]
	v_cmp_gt_i32_e32 vcc, 16, v5
	v_cndmask_b32_e32 v7, 0, v7, vcc
	v_cndmask_b32_e32 v6, 7, v6, vcc
	v_cmp_eq_u32_e32 vcc, 0, v5
	v_min_i32_e32 v5, 15, v5
	v_cmp_eq_u64_e64 s[22:23], 0, v[6:7]
	v_lshlrev_b32_e32 v5, 3, v5
	v_and_b32_e32 v5, 0xf8, v5
	v_and_or_b32 v5, v6, 7, v5
	s_and_b64 s[22:23], vcc, s[22:23]
	v_cndmask_b32_e64 v5, v5, 0, s[22:23]
	v_or_b32_e32 v48, v5, v4
.LBB2_636:                              ;   in Loop: Header=BB2_126 Depth=2
	s_or_b64 exec, exec, s[92:93]
                                        ; implicit-def: $vgpr4
.LBB2_637:                              ;   in Loop: Header=BB2_126 Depth=2
	s_andn2_saveexec_b64 s[22:23], s[90:91]
; %bb.638:                              ;   in Loop: Header=BB2_126 Depth=2
	v_or_b32_e32 v48, 0x7e, v4
; %bb.639:                              ;   in Loop: Header=BB2_126 Depth=2
	s_or_b64 exec, exec, s[22:23]
                                        ; implicit-def: $vgpr5
.LBB2_640:                              ;   in Loop: Header=BB2_126 Depth=2
	s_andn2_saveexec_b64 s[22:23], s[88:89]
; %bb.641:                              ;   in Loop: Header=BB2_126 Depth=2
	v_or_b32_sdwa v48, v5, s51 dst_sel:DWORD dst_unused:UNUSED_PAD src0_sel:BYTE_3 src1_sel:DWORD
; %bb.642:                              ;   in Loop: Header=BB2_126 Depth=2
	s_or_b64 exec, exec, s[22:23]
	v_lshrrev_b32_e32 v30, 16, v32
	v_cmp_ne_u16_sdwa s[88:89], v30, v33 src0_sel:BYTE_0 src1_sel:DWORD
	v_mov_b32_e32 v4, 0
	s_and_saveexec_b64 s[22:23], s[88:89]
	s_cbranch_execz .LBB2_648
; %bb.643:                              ;   in Loop: Header=BB2_126 Depth=2
	v_cmp_ne_u16_sdwa s[90:91], v30, s53 src0_sel:BYTE_0 src1_sel:DWORD
	v_bfrev_b32_e32 v4, 1
	s_and_saveexec_b64 s[88:89], s[90:91]
	s_cbranch_execz .LBB2_647
; %bb.644:                              ;   in Loop: Header=BB2_126 Depth=2
	v_bfe_u32 v5, v32, 16, 7
	v_cmp_ne_u32_e32 vcc, s51, v5
	v_mov_b32_e32 v4, 0x7f800001
	s_and_saveexec_b64 s[90:91], vcc
	s_cbranch_execz .LBB2_646
; %bb.645:                              ;   in Loop: Header=BB2_126 Depth=2
	v_and_b32_e32 v6, 7, v30
	v_ffbh_u32_e32 v4, v6
	v_min_u32_e32 v8, 32, v4
	v_subrev_u32_e32 v4, 28, v8
	v_lshrrev_b32_e32 v7, 3, v5
	v_cmp_gt_u32_e32 vcc, 8, v5
	v_lshlrev_b64 v[4:5], v4, v[30:31]
	v_sub_u32_e32 v5, 29, v8
	v_and_b32_e32 v4, 7, v4
	v_cndmask_b32_e32 v5, v7, v5, vcc
	v_cndmask_b32_e32 v4, v6, v4, vcc
	v_lshlrev_b32_e32 v6, 24, v30
	v_lshlrev_b32_e32 v4, 20, v4
	v_and_b32_e32 v6, 0x80000000, v6
	v_lshl_add_u32 v5, v5, 23, v3
	v_or3_b32 v4, v6, v5, v4
.LBB2_646:                              ;   in Loop: Header=BB2_126 Depth=2
	s_or_b64 exec, exec, s[90:91]
.LBB2_647:                              ;   in Loop: Header=BB2_126 Depth=2
	s_or_b64 exec, exec, s[88:89]
.LBB2_648:                              ;   in Loop: Header=BB2_126 Depth=2
	s_or_b64 exec, exec, s[22:23]
	v_lshrrev_b32_e32 v30, 16, v11
	v_cmp_gt_i16_sdwa s[88:89], v30, s51 src0_sel:BYTE_0 src1_sel:DWORD
	s_mov_b64 s[22:23], 0
	s_and_saveexec_b64 s[90:91], s[88:89]
	s_xor_b64 s[88:89], exec, s[90:91]
	s_cbranch_execnz .LBB2_910
; %bb.649:                              ;   in Loop: Header=BB2_126 Depth=2
	s_or_saveexec_b64 s[88:89], s[88:89]
	v_bfrev_b32_e32 v5, 1
	s_xor_b64 exec, exec, s[88:89]
	s_cbranch_execnz .LBB2_913
.LBB2_650:                              ;   in Loop: Header=BB2_126 Depth=2
	s_or_b64 exec, exec, s[88:89]
	s_and_saveexec_b64 s[88:89], s[22:23]
	s_cbranch_execz .LBB2_652
.LBB2_651:                              ;   in Loop: Header=BB2_126 Depth=2
	v_and_b32_e32 v7, 7, v30
	v_ffbh_u32_e32 v5, v7
	v_min_u32_e32 v22, 32, v5
	v_subrev_u32_e32 v5, 28, v22
	v_lshlrev_b64 v[5:6], v5, v[30:31]
	v_and_b32_e32 v8, 0x7f, v30
	v_bfe_u32 v9, v30, 3, 4
	v_sub_u32_e32 v6, 29, v22
	v_and_b32_e32 v5, 7, v5
	v_cmp_gt_u32_e32 vcc, 8, v8
	v_cndmask_b32_e32 v6, v9, v6, vcc
	v_cndmask_b32_e32 v5, v7, v5, vcc
	v_lshlrev_b32_e32 v7, 24, v30
	v_lshlrev_b32_e32 v5, 20, v5
	v_and_b32_e32 v7, 0x80000000, v7
	v_lshl_add_u32 v6, v6, 23, v3
	v_or3_b32 v5, v7, v6, v5
	v_cmp_ne_u32_e32 vcc, s51, v8
	v_cndmask_b32_e32 v5, v2, v5, vcc
.LBB2_652:                              ;   in Loop: Header=BB2_126 Depth=2
	s_or_b64 exec, exec, s[88:89]
	v_add_f32_e32 v5, v4, v5
	v_and_b32_e32 v6, 0x7f800000, v5
	v_mov_b32_e32 v7, v33
	v_cmp_ne_u64_e32 vcc, s[56:57], v[6:7]
                                        ; implicit-def: $vgpr49
	s_and_saveexec_b64 s[22:23], vcc
	s_xor_b64 s[88:89], exec, s[22:23]
	s_cbranch_execz .LBB2_666
; %bb.653:                              ;   in Loop: Header=BB2_126 Depth=2
	v_and_b32_e32 v6, 0x7fffffff, v5
	v_mov_b32_e32 v7, v33
	v_cmp_gt_u64_e32 vcc, s[58:59], v[6:7]
	v_and_b32_sdwa v4, v5, s53 dst_sel:DWORD dst_unused:UNUSED_PAD src0_sel:BYTE_3 src1_sel:DWORD
                                        ; implicit-def: $vgpr49
	s_and_saveexec_b64 s[22:23], vcc
	s_xor_b64 s[90:91], exec, s[22:23]
	s_cbranch_execz .LBB2_663
; %bb.654:                              ;   in Loop: Header=BB2_126 Depth=2
	v_mov_b32_e32 v49, 0
	v_cmp_ne_u32_e32 vcc, 0, v5
	s_and_saveexec_b64 s[92:93], vcc
	s_cbranch_execz .LBB2_662
; %bb.655:                              ;   in Loop: Header=BB2_126 Depth=2
	v_and_b32_e32 v7, 0x7fffff, v5
	v_bfe_u32 v5, v5, 23, 8
	v_cmp_gt_u32_e64 s[22:23], s54, v5
	v_sub_u32_e32 v6, 0x79, v5
	v_cmp_eq_u32_e32 vcc, 0, v5
	v_cndmask_b32_e64 v6, 0, v6, s[22:23]
	v_cndmask_b32_e32 v6, v6, v47, vcc
	v_or_b32_e32 v8, 0x800000, v7
	v_add_u32_e32 v9, 20, v6
	v_cndmask_b32_e32 v7, v8, v7, vcc
	v_mov_b32_e32 v8, v33
	v_lshlrev_b64 v[22:23], v9, -1
	v_add_u32_e32 v9, 19, v6
	v_lshlrev_b64 v[26:27], v9, 1
	v_lshrrev_b64 v[40:41], v6, v[7:8]
	v_bfi_b32 v23, v23, 0, 0
	v_bfi_b32 v22, v22, 0, v7
	v_cmp_eq_u64_e64 s[22:23], v[22:23], v[26:27]
	v_mov_b32_e32 v42, v41
	v_mov_b32_e32 v41, v40
	s_and_saveexec_b64 s[94:95], s[22:23]
; %bb.656:                              ;   in Loop: Header=BB2_126 Depth=2
	v_bfe_u32 v7, v40, 20, 1
	v_add_co_u32_e64 v7, s[22:23], v40, v7
	v_add_co_u32_e64 v41, s[22:23], -1, v7
; %bb.657:                              ;   in Loop: Header=BB2_126 Depth=2
	s_or_b64 exec, exec, s[94:95]
	v_add_u32_e32 v5, 0xffffff81, v5
	v_cndmask_b32_e32 v5, v5, v44, vcc
	v_lshrrev_b32_e32 v7, 23, v40
	v_add3_u32 v7, v6, v5, v7
	v_add_u32_e32 v6, 6, v7
	v_and_b32_e32 v5, 0xfffff, v41
	v_add_u32_e32 v40, v5, v40
	v_mov_b32_e32 v41, v33
	v_cmp_ne_u32_e32 vcc, 0, v6
                                        ; implicit-def: $vgpr5
	s_and_saveexec_b64 s[22:23], vcc
	s_xor_b64 s[22:23], exec, s[22:23]
; %bb.658:                              ;   in Loop: Header=BB2_126 Depth=2
	v_cmp_lt_u64_e32 vcc, s[60:61], v[40:41]
	v_add_u32_e32 v5, 7, v7
	v_cndmask_b32_e32 v5, v6, v5, vcc
	v_cndmask_b32_e64 v6, 0, 1, vcc
	v_lshrrev_b64 v[40:41], v6, v[40:41]
; %bb.659:                              ;   in Loop: Header=BB2_126 Depth=2
	s_andn2_saveexec_b64 s[22:23], s[22:23]
; %bb.660:                              ;   in Loop: Header=BB2_126 Depth=2
	v_bfe_u32 v5, v40, 23, 1
; %bb.661:                              ;   in Loop: Header=BB2_126 Depth=2
	s_or_b64 exec, exec, s[22:23]
	v_lshrrev_b64 v[6:7], 20, v[40:41]
	v_cmp_gt_i32_e32 vcc, 16, v5
	v_cndmask_b32_e32 v7, 0, v7, vcc
	v_cndmask_b32_e32 v6, 7, v6, vcc
	v_cmp_eq_u32_e32 vcc, 0, v5
	v_min_i32_e32 v5, 15, v5
	v_cmp_eq_u64_e64 s[22:23], 0, v[6:7]
	v_lshlrev_b32_e32 v5, 3, v5
	v_and_b32_e32 v5, 0xf8, v5
	v_and_or_b32 v5, v6, 7, v5
	s_and_b64 s[22:23], vcc, s[22:23]
	v_cndmask_b32_e64 v5, v5, 0, s[22:23]
	v_or_b32_e32 v49, v5, v4
.LBB2_662:                              ;   in Loop: Header=BB2_126 Depth=2
	s_or_b64 exec, exec, s[92:93]
                                        ; implicit-def: $vgpr4
.LBB2_663:                              ;   in Loop: Header=BB2_126 Depth=2
	s_andn2_saveexec_b64 s[22:23], s[90:91]
; %bb.664:                              ;   in Loop: Header=BB2_126 Depth=2
	v_or_b32_e32 v49, 0x7e, v4
; %bb.665:                              ;   in Loop: Header=BB2_126 Depth=2
	s_or_b64 exec, exec, s[22:23]
                                        ; implicit-def: $vgpr5
.LBB2_666:                              ;   in Loop: Header=BB2_126 Depth=2
	s_andn2_saveexec_b64 s[22:23], s[88:89]
; %bb.667:                              ;   in Loop: Header=BB2_126 Depth=2
	v_or_b32_sdwa v49, v5, s51 dst_sel:DWORD dst_unused:UNUSED_PAD src0_sel:BYTE_3 src1_sel:DWORD
; %bb.668:                              ;   in Loop: Header=BB2_126 Depth=2
	s_or_b64 exec, exec, s[22:23]
	v_cmp_lt_u32_e32 vcc, s63, v32
	v_mov_b32_e32 v4, 0
	s_and_saveexec_b64 s[22:23], vcc
	s_cbranch_execz .LBB2_674
; %bb.669:                              ;   in Loop: Header=BB2_126 Depth=2
	v_lshrrev_b32_e32 v30, 24, v32
	v_cmp_ne_u32_sdwa s[90:91], v32, s53 src0_sel:BYTE_3 src1_sel:DWORD
	v_bfrev_b32_e32 v4, 1
	s_and_saveexec_b64 s[88:89], s[90:91]
	s_cbranch_execz .LBB2_673
; %bb.670:                              ;   in Loop: Header=BB2_126 Depth=2
	v_bfe_u32 v5, v32, 24, 7
	v_cmp_ne_u32_e32 vcc, s51, v5
	v_mov_b32_e32 v4, 0x7f800001
	s_and_saveexec_b64 s[90:91], vcc
	s_cbranch_execz .LBB2_672
; %bb.671:                              ;   in Loop: Header=BB2_126 Depth=2
	v_and_b32_e32 v6, 7, v30
	v_ffbh_u32_e32 v4, v6
	v_min_u32_e32 v8, 32, v4
	v_subrev_u32_e32 v4, 28, v8
	v_lshrrev_b32_e32 v7, 3, v5
	v_cmp_gt_u32_e32 vcc, 8, v5
	v_lshlrev_b64 v[4:5], v4, v[30:31]
	v_sub_u32_e32 v5, 29, v8
	v_and_b32_e32 v4, 7, v4
	v_cndmask_b32_e32 v4, v6, v4, vcc
	v_mov_b32_e32 v6, 24
	v_cndmask_b32_e32 v5, v7, v5, vcc
	v_lshlrev_b32_sdwa v6, v6, v32 dst_sel:DWORD dst_unused:UNUSED_PAD src0_sel:DWORD src1_sel:BYTE_3
	v_lshlrev_b32_e32 v4, 20, v4
	v_and_b32_e32 v6, 0x80000000, v6
	v_lshl_add_u32 v5, v5, 23, v3
	v_or3_b32 v4, v6, v5, v4
.LBB2_672:                              ;   in Loop: Header=BB2_126 Depth=2
	s_or_b64 exec, exec, s[90:91]
.LBB2_673:                              ;   in Loop: Header=BB2_126 Depth=2
	s_or_b64 exec, exec, s[88:89]
.LBB2_674:                              ;   in Loop: Header=BB2_126 Depth=2
	s_or_b64 exec, exec, s[22:23]
	v_bfe_u32 v8, v11, 24, 3
	v_ffbh_u32_e32 v6, v8
	v_min_u32_e32 v23, 32, v6
	v_lshrrev_b32_e32 v5, 24, v11
	v_subrev_u32_e32 v6, 28, v23
	v_lshlrev_b64 v[6:7], v6, v[5:6]
	v_bfe_u32 v9, v11, 24, 7
	v_bfe_u32 v22, v5, 3, 4
	v_sub_u32_e32 v7, 29, v23
	v_and_b32_e32 v6, 7, v6
	v_cmp_gt_u32_e32 vcc, 8, v9
	v_cndmask_b32_e32 v7, v22, v7, vcc
	v_cndmask_b32_e32 v6, v8, v6, vcc
	v_lshlrev_b32_e32 v6, 20, v6
	v_and_b32_e32 v8, 0x80000000, v11
	v_lshl_add_u32 v7, v7, 23, v3
	v_or3_b32 v6, v8, v7, v6
	v_cmp_ne_u32_e32 vcc, s51, v9
	v_cndmask_b32_e32 v6, v2, v6, vcc
	v_cmp_ne_u32_e32 vcc, s53, v5
	v_cndmask_b32_e32 v5, v31, v6, vcc
	v_cmp_lt_u64_e32 vcc, s[62:63], v[10:11]
                                        ; implicit-def: $vgpr30
	v_cndmask_b32_e32 v5, 0, v5, vcc
	v_add_f32_e32 v5, v5, v4
	v_and_b32_e32 v32, 0x7f800000, v5
	v_cmp_ne_u64_e32 vcc, s[56:57], v[32:33]
	s_and_saveexec_b64 s[22:23], vcc
	s_xor_b64 s[88:89], exec, s[22:23]
	s_cbranch_execz .LBB2_688
; %bb.675:                              ;   in Loop: Header=BB2_126 Depth=2
	v_and_b32_e32 v32, 0x7fffffff, v5
	v_cmp_gt_u64_e32 vcc, s[58:59], v[32:33]
	v_and_b32_sdwa v4, v5, s53 dst_sel:DWORD dst_unused:UNUSED_PAD src0_sel:BYTE_3 src1_sel:DWORD
                                        ; implicit-def: $vgpr30
	s_and_saveexec_b64 s[22:23], vcc
	s_xor_b64 s[90:91], exec, s[22:23]
	s_cbranch_execz .LBB2_685
; %bb.676:                              ;   in Loop: Header=BB2_126 Depth=2
	v_mov_b32_e32 v30, 0
	v_cmp_ne_u32_e32 vcc, 0, v5
	s_and_saveexec_b64 s[92:93], vcc
	s_cbranch_execz .LBB2_684
; %bb.677:                              ;   in Loop: Header=BB2_126 Depth=2
	v_and_b32_e32 v7, 0x7fffff, v5
	v_bfe_u32 v5, v5, 23, 8
	v_cmp_gt_u32_e64 s[22:23], s54, v5
	v_sub_u32_e32 v6, 0x79, v5
	v_cmp_eq_u32_e32 vcc, 0, v5
	v_cndmask_b32_e64 v6, 0, v6, s[22:23]
	v_or_b32_e32 v8, 0x800000, v7
	v_cndmask_b32_e32 v6, v6, v47, vcc
	v_cndmask_b32_e32 v32, v8, v7, vcc
	v_add_u32_e32 v7, 20, v6
	v_lshlrev_b64 v[7:8], v7, -1
	v_add_u32_e32 v9, 19, v6
	v_lshlrev_b64 v[9:10], v9, 1
	v_bfi_b32 v8, v8, 0, 0
	v_bfi_b32 v7, v7, 0, v32
	v_cmp_eq_u64_e64 s[22:23], v[7:8], v[9:10]
	v_lshrrev_b64 v[10:11], v6, v[32:33]
	v_mov_b32_e32 v41, v11
	v_mov_b32_e32 v40, v10
	s_and_saveexec_b64 s[94:95], s[22:23]
; %bb.678:                              ;   in Loop: Header=BB2_126 Depth=2
	v_bfe_u32 v7, v10, 20, 1
	v_add_co_u32_e64 v7, s[22:23], v10, v7
	v_add_co_u32_e64 v40, s[22:23], -1, v7
; %bb.679:                              ;   in Loop: Header=BB2_126 Depth=2
	s_or_b64 exec, exec, s[94:95]
	v_add_u32_e32 v5, 0xffffff81, v5
	v_cndmask_b32_e32 v5, v5, v44, vcc
	v_lshrrev_b32_e32 v7, 23, v10
	v_add3_u32 v7, v6, v5, v7
	v_add_u32_e32 v6, 6, v7
	v_and_b32_e32 v5, 0xfffff, v40
	v_add_u32_e32 v32, v5, v10
	v_cmp_ne_u32_e32 vcc, 0, v6
                                        ; implicit-def: $vgpr10_vgpr11
                                        ; implicit-def: $vgpr5
	s_and_saveexec_b64 s[22:23], vcc
	s_xor_b64 s[22:23], exec, s[22:23]
; %bb.680:                              ;   in Loop: Header=BB2_126 Depth=2
	v_cmp_lt_u64_e32 vcc, s[60:61], v[32:33]
	v_add_u32_e32 v5, 7, v7
	v_cndmask_b32_e32 v5, v6, v5, vcc
	v_cndmask_b32_e64 v6, 0, 1, vcc
	v_lshrrev_b64 v[10:11], v6, v[32:33]
; %bb.681:                              ;   in Loop: Header=BB2_126 Depth=2
	s_andn2_saveexec_b64 s[22:23], s[22:23]
; %bb.682:                              ;   in Loop: Header=BB2_126 Depth=2
	v_mov_b32_e32 v10, v32
	v_bfe_u32 v5, v32, 23, 1
	v_mov_b32_e32 v11, v33
; %bb.683:                              ;   in Loop: Header=BB2_126 Depth=2
	s_or_b64 exec, exec, s[22:23]
	v_lshrrev_b64 v[6:7], 20, v[10:11]
	v_cmp_gt_i32_e32 vcc, 16, v5
	v_cndmask_b32_e32 v7, 0, v7, vcc
	v_cndmask_b32_e32 v6, 7, v6, vcc
	v_cmp_eq_u32_e32 vcc, 0, v5
	v_min_i32_e32 v5, 15, v5
	v_cmp_eq_u64_e64 s[22:23], 0, v[6:7]
	v_lshlrev_b32_e32 v5, 3, v5
	v_and_b32_e32 v5, 0xf8, v5
	v_and_or_b32 v5, v6, 7, v5
	s_and_b64 s[22:23], vcc, s[22:23]
	v_cndmask_b32_e64 v5, v5, 0, s[22:23]
	v_or_b32_e32 v30, v5, v4
.LBB2_684:                              ;   in Loop: Header=BB2_126 Depth=2
	s_or_b64 exec, exec, s[92:93]
                                        ; implicit-def: $vgpr4
.LBB2_685:                              ;   in Loop: Header=BB2_126 Depth=2
	s_andn2_saveexec_b64 s[22:23], s[90:91]
; %bb.686:                              ;   in Loop: Header=BB2_126 Depth=2
	v_or_b32_e32 v30, 0x7e, v4
; %bb.687:                              ;   in Loop: Header=BB2_126 Depth=2
	s_or_b64 exec, exec, s[22:23]
                                        ; implicit-def: $vgpr5
.LBB2_688:                              ;   in Loop: Header=BB2_126 Depth=2
	s_andn2_saveexec_b64 s[22:23], s[88:89]
; %bb.689:                              ;   in Loop: Header=BB2_126 Depth=2
	v_or_b32_sdwa v30, v5, s51 dst_sel:DWORD dst_unused:UNUSED_PAD src0_sel:BYTE_3 src1_sel:DWORD
; %bb.690:                              ;   in Loop: Header=BB2_126 Depth=2
	s_or_b64 exec, exec, s[22:23]
	v_lshl_or_b32 v4, v57, 8, v15
	v_lshlrev_b32_e32 v5, 16, v21
	v_lshlrev_b32_e32 v6, 24, v39
	v_or3_b32 v32, v5, v6, v4
	v_cmp_ne_u32_e32 vcc, 0, v15
	v_mov_b32_e32 v5, 0
	s_and_saveexec_b64 s[22:23], vcc
	s_cbranch_execz .LBB2_696
; %bb.691:                              ;   in Loop: Header=BB2_126 Depth=2
	v_cmp_ne_u32_e32 vcc, s53, v15
	v_bfrev_b32_e32 v5, 1
	s_and_saveexec_b64 s[88:89], vcc
	s_cbranch_execz .LBB2_695
; %bb.692:                              ;   in Loop: Header=BB2_126 Depth=2
	v_and_b32_e32 v6, 0x7f, v15
	v_cmp_ne_u32_e32 vcc, s51, v6
	v_mov_b32_e32 v5, 0x7f800001
	s_and_saveexec_b64 s[90:91], vcc
	s_cbranch_execz .LBB2_694
; %bb.693:                              ;   in Loop: Header=BB2_126 Depth=2
	v_and_b32_e32 v5, 7, v15
	v_ffbh_u32_e32 v5, v5
	v_min_u32_e32 v5, 32, v5
	v_lshrrev_b32_e32 v7, 3, v6
	v_cmp_gt_u32_e32 vcc, 8, v6
	v_subrev_u32_e32 v6, 28, v5
	v_sub_u32_e32 v5, 29, v5
	v_cndmask_b32_e32 v7, v7, v5, vcc
	v_cndmask_b32_e32 v5, 0, v6, vcc
	v_lshlrev_b64 v[5:6], v5, v[32:33]
	v_lshlrev_b32_e32 v6, 24, v32
	v_lshlrev_b32_e32 v5, 20, v5
	v_and_b32_e32 v5, 0x700000, v5
	v_and_b32_e32 v6, 0x80000000, v6
	v_lshl_add_u32 v7, v7, 23, v3
	v_or3_b32 v5, v6, v7, v5
.LBB2_694:                              ;   in Loop: Header=BB2_126 Depth=2
	s_or_b64 exec, exec, s[90:91]
.LBB2_695:                              ;   in Loop: Header=BB2_126 Depth=2
	s_or_b64 exec, exec, s[88:89]
.LBB2_696:                              ;   in Loop: Header=BB2_126 Depth=2
	s_or_b64 exec, exec, s[22:23]
	v_cmp_gt_i16_sdwa s[88:89], v12, s51 src0_sel:BYTE_0 src1_sel:DWORD
	s_mov_b64 s[22:23], 0
	s_and_saveexec_b64 s[90:91], s[88:89]
	s_xor_b64 s[88:89], exec, s[90:91]
	s_cbranch_execnz .LBB2_914
; %bb.697:                              ;   in Loop: Header=BB2_126 Depth=2
	s_or_saveexec_b64 s[88:89], s[88:89]
	v_bfrev_b32_e32 v6, 1
	s_xor_b64 exec, exec, s[88:89]
	s_cbranch_execnz .LBB2_917
.LBB2_698:                              ;   in Loop: Header=BB2_126 Depth=2
	s_or_b64 exec, exec, s[88:89]
	s_and_saveexec_b64 s[88:89], s[22:23]
	s_cbranch_execz .LBB2_700
.LBB2_699:                              ;   in Loop: Header=BB2_126 Depth=2
	v_and_b32_e32 v6, 7, v12
	v_ffbh_u32_e32 v6, v6
	v_and_b32_e32 v8, 0x7f, v12
	v_min_u32_e32 v6, 32, v6
	v_bfe_u32 v7, v12, 3, 4
	v_subrev_u32_e32 v9, 28, v6
	v_sub_u32_e32 v6, 29, v6
	v_cmp_gt_u32_e32 vcc, 8, v8
	v_cndmask_b32_e32 v10, v7, v6, vcc
	v_cndmask_b32_e32 v6, 0, v9, vcc
	v_lshlrev_b64 v[6:7], v6, v[12:13]
	v_lshlrev_b32_e32 v7, 24, v12
	v_lshlrev_b32_e32 v6, 20, v6
	v_and_b32_e32 v6, 0x700000, v6
	v_and_b32_e32 v7, 0x80000000, v7
	v_lshl_add_u32 v9, v10, 23, v3
	v_or3_b32 v6, v7, v9, v6
	v_cmp_ne_u32_e32 vcc, s51, v8
	v_cndmask_b32_e32 v6, v2, v6, vcc
.LBB2_700:                              ;   in Loop: Header=BB2_126 Depth=2
	s_or_b64 exec, exec, s[88:89]
	v_add_f32_e32 v10, v5, v6
	v_and_b32_e32 v5, 0x7f800000, v10
	v_mov_b32_e32 v6, v33
	v_cmp_ne_u64_e32 vcc, s[56:57], v[5:6]
                                        ; implicit-def: $vgpr15
	s_and_saveexec_b64 s[22:23], vcc
	s_xor_b64 s[88:89], exec, s[22:23]
	s_cbranch_execz .LBB2_714
; %bb.701:                              ;   in Loop: Header=BB2_126 Depth=2
	v_and_b32_e32 v5, 0x7fffffff, v10
	v_mov_b32_e32 v6, v33
	v_cmp_gt_u64_e32 vcc, s[58:59], v[5:6]
	v_and_b32_sdwa v5, v10, s53 dst_sel:DWORD dst_unused:UNUSED_PAD src0_sel:BYTE_3 src1_sel:DWORD
                                        ; implicit-def: $vgpr15
	s_and_saveexec_b64 s[22:23], vcc
	s_xor_b64 s[90:91], exec, s[22:23]
	s_cbranch_execz .LBB2_711
; %bb.702:                              ;   in Loop: Header=BB2_126 Depth=2
	v_mov_b32_e32 v15, 0
	v_cmp_ne_u32_e32 vcc, 0, v10
	s_and_saveexec_b64 s[92:93], vcc
	s_cbranch_execz .LBB2_710
; %bb.703:                              ;   in Loop: Header=BB2_126 Depth=2
	v_bfe_u32 v15, v10, 23, 8
	v_cmp_gt_u32_e64 s[22:23], s54, v15
	v_sub_u32_e32 v6, 0x79, v15
	v_cmp_eq_u32_e32 vcc, 0, v15
	v_cndmask_b32_e64 v6, 0, v6, s[22:23]
	v_cndmask_b32_e32 v6, v6, v47, vcc
	v_and_b32_e32 v7, 0x7fffff, v10
	v_add_u32_e32 v9, 20, v6
	v_or_b32_e32 v8, 0x800000, v7
	v_lshlrev_b64 v[9:10], v9, -1
	v_add_u32_e32 v11, 19, v6
	v_cndmask_b32_e32 v7, v8, v7, vcc
	v_lshlrev_b64 v[21:22], v11, 1
	v_mov_b32_e32 v8, v33
	v_bfi_b32 v10, v10, 0, 0
	v_bfi_b32 v9, v9, 0, v7
	v_cmp_eq_u64_e64 s[22:23], v[9:10], v[21:22]
	v_lshrrev_b64 v[10:11], v6, v[7:8]
	v_mov_b32_e32 v41, v11
	v_mov_b32_e32 v40, v10
	s_and_saveexec_b64 s[94:95], s[22:23]
; %bb.704:                              ;   in Loop: Header=BB2_126 Depth=2
	v_bfe_u32 v7, v10, 20, 1
	v_add_co_u32_e64 v7, s[22:23], v10, v7
	v_add_co_u32_e64 v40, s[22:23], -1, v7
; %bb.705:                              ;   in Loop: Header=BB2_126 Depth=2
	s_or_b64 exec, exec, s[94:95]
	v_add_u32_e32 v7, 0xffffff81, v15
	v_cndmask_b32_e32 v7, v7, v44, vcc
	v_lshrrev_b32_e32 v8, 23, v10
	v_add3_u32 v8, v6, v7, v8
	v_add_u32_e32 v7, 6, v8
	v_and_b32_e32 v6, 0xfffff, v40
	v_add_u32_e32 v10, v6, v10
	v_mov_b32_e32 v11, v33
	v_cmp_ne_u32_e32 vcc, 0, v7
                                        ; implicit-def: $vgpr6
	s_and_saveexec_b64 s[22:23], vcc
	s_xor_b64 s[22:23], exec, s[22:23]
; %bb.706:                              ;   in Loop: Header=BB2_126 Depth=2
	v_cmp_lt_u64_e32 vcc, s[60:61], v[10:11]
	v_add_u32_e32 v6, 7, v8
	v_cndmask_b32_e32 v6, v7, v6, vcc
	v_cndmask_b32_e64 v7, 0, 1, vcc
	v_lshrrev_b64 v[10:11], v7, v[10:11]
; %bb.707:                              ;   in Loop: Header=BB2_126 Depth=2
	s_andn2_saveexec_b64 s[22:23], s[22:23]
; %bb.708:                              ;   in Loop: Header=BB2_126 Depth=2
	v_bfe_u32 v6, v10, 23, 1
; %bb.709:                              ;   in Loop: Header=BB2_126 Depth=2
	s_or_b64 exec, exec, s[22:23]
	v_lshrrev_b64 v[7:8], 20, v[10:11]
	v_cmp_gt_i32_e32 vcc, 16, v6
	v_cndmask_b32_e32 v8, 0, v8, vcc
	v_cndmask_b32_e32 v7, 7, v7, vcc
	v_cmp_eq_u32_e32 vcc, 0, v6
	v_min_i32_e32 v6, 15, v6
	v_cmp_eq_u64_e64 s[22:23], 0, v[7:8]
	v_lshlrev_b32_e32 v6, 3, v6
	v_and_b32_e32 v6, 0xf8, v6
	v_and_or_b32 v6, v7, 7, v6
	s_and_b64 s[22:23], vcc, s[22:23]
	v_cndmask_b32_e64 v6, v6, 0, s[22:23]
	v_or_b32_e32 v15, v6, v5
.LBB2_710:                              ;   in Loop: Header=BB2_126 Depth=2
	s_or_b64 exec, exec, s[92:93]
                                        ; implicit-def: $vgpr5
.LBB2_711:                              ;   in Loop: Header=BB2_126 Depth=2
	s_andn2_saveexec_b64 s[22:23], s[90:91]
; %bb.712:                              ;   in Loop: Header=BB2_126 Depth=2
	v_or_b32_e32 v15, 0x7e, v5
; %bb.713:                              ;   in Loop: Header=BB2_126 Depth=2
	s_or_b64 exec, exec, s[22:23]
                                        ; implicit-def: $vgpr10
.LBB2_714:                              ;   in Loop: Header=BB2_126 Depth=2
	s_andn2_saveexec_b64 s[22:23], s[88:89]
; %bb.715:                              ;   in Loop: Header=BB2_126 Depth=2
	v_or_b32_sdwa v15, v10, s51 dst_sel:DWORD dst_unused:UNUSED_PAD src0_sel:BYTE_3 src1_sel:DWORD
; %bb.716:                              ;   in Loop: Header=BB2_126 Depth=2
	s_or_b64 exec, exec, s[22:23]
	v_lshrrev_b16_e32 v10, 8, v4
	v_cmp_ne_u16_e32 vcc, 0, v10
	v_mov_b32_e32 v5, 0
	s_and_saveexec_b64 s[22:23], vcc
	s_cbranch_execz .LBB2_722
; %bb.717:                              ;   in Loop: Header=BB2_126 Depth=2
	v_cmp_ne_u16_e32 vcc, s53, v10
	v_bfrev_b32_e32 v5, 1
	s_and_saveexec_b64 s[88:89], vcc
	s_cbranch_execz .LBB2_721
; %bb.718:                              ;   in Loop: Header=BB2_126 Depth=2
	v_and_b32_e32 v6, 0x7f, v10
	v_cmp_ne_u32_e32 vcc, s51, v6
	v_mov_b32_e32 v5, 0x7f800001
	s_and_saveexec_b64 s[90:91], vcc
	s_cbranch_execz .LBB2_720
; %bb.719:                              ;   in Loop: Header=BB2_126 Depth=2
	v_and_b32_e32 v7, 7, v10
	v_ffbh_u32_e32 v5, v7
	v_min_u32_e32 v9, 32, v5
	v_subrev_u32_e32 v5, 28, v9
	v_lshrrev_b32_e32 v8, 3, v6
	v_cmp_gt_u32_e32 vcc, 8, v6
	v_lshlrev_b64 v[5:6], v5, v[10:11]
	v_sub_u32_e32 v6, 29, v9
	v_and_b32_e32 v5, 7, v5
	v_cndmask_b32_e32 v6, v8, v6, vcc
	v_cndmask_b32_e32 v5, v7, v5, vcc
	v_lshlrev_b32_e32 v4, 16, v4
	v_lshlrev_b32_e32 v5, 20, v5
	v_and_b32_e32 v4, 0x80000000, v4
	v_lshl_add_u32 v6, v6, 23, v3
	v_or3_b32 v5, v4, v6, v5
.LBB2_720:                              ;   in Loop: Header=BB2_126 Depth=2
	s_or_b64 exec, exec, s[90:91]
.LBB2_721:                              ;   in Loop: Header=BB2_126 Depth=2
	s_or_b64 exec, exec, s[88:89]
.LBB2_722:                              ;   in Loop: Header=BB2_126 Depth=2
	s_or_b64 exec, exec, s[22:23]
	v_lshrrev_b16_e32 v10, 8, v12
	v_cmp_lt_i16_e32 vcc, s51, v10
	s_mov_b64 s[22:23], 0
	s_and_saveexec_b64 s[88:89], vcc
	s_xor_b64 s[88:89], exec, s[88:89]
	s_cbranch_execnz .LBB2_918
; %bb.723:                              ;   in Loop: Header=BB2_126 Depth=2
	s_or_saveexec_b64 s[88:89], s[88:89]
	v_bfrev_b32_e32 v4, 1
	s_xor_b64 exec, exec, s[88:89]
	s_cbranch_execnz .LBB2_921
.LBB2_724:                              ;   in Loop: Header=BB2_126 Depth=2
	s_or_b64 exec, exec, s[88:89]
	s_and_saveexec_b64 s[88:89], s[22:23]
	s_cbranch_execz .LBB2_726
.LBB2_725:                              ;   in Loop: Header=BB2_126 Depth=2
	v_and_b32_e32 v4, 7, v10
	v_ffbh_u32_e32 v6, v4
	v_min_u32_e32 v21, 32, v6
	v_mov_b32_e32 v11, v33
	v_subrev_u32_e32 v6, 28, v21
	v_lshlrev_b64 v[6:7], v6, v[10:11]
	v_and_b32_e32 v8, 0x7f, v10
	v_bfe_u32 v9, v10, 3, 4
	v_sub_u32_e32 v7, 29, v21
	v_and_b32_e32 v6, 7, v6
	v_cmp_gt_u32_e32 vcc, 8, v8
	v_cndmask_b32_e32 v7, v9, v7, vcc
	v_cndmask_b32_e32 v4, v4, v6, vcc
	v_lshlrev_b32_e32 v6, 24, v10
	v_lshlrev_b32_e32 v4, 20, v4
	v_and_b32_e32 v6, 0x80000000, v6
	v_lshl_add_u32 v7, v7, 23, v3
	v_or3_b32 v4, v6, v7, v4
	v_cmp_ne_u32_e32 vcc, s51, v8
	v_cndmask_b32_e32 v4, v2, v4, vcc
.LBB2_726:                              ;   in Loop: Header=BB2_126 Depth=2
	s_or_b64 exec, exec, s[88:89]
	v_add_f32_e32 v5, v5, v4
	v_and_b32_e32 v6, 0x7f800000, v5
	v_mov_b32_e32 v7, v33
	v_cmp_ne_u64_e32 vcc, s[56:57], v[6:7]
                                        ; implicit-def: $vgpr21
	s_and_saveexec_b64 s[22:23], vcc
	s_xor_b64 s[88:89], exec, s[22:23]
	s_cbranch_execz .LBB2_740
; %bb.727:                              ;   in Loop: Header=BB2_126 Depth=2
	v_and_b32_e32 v6, 0x7fffffff, v5
	v_mov_b32_e32 v7, v33
	v_cmp_gt_u64_e32 vcc, s[58:59], v[6:7]
	v_and_b32_sdwa v4, v5, s53 dst_sel:DWORD dst_unused:UNUSED_PAD src0_sel:BYTE_3 src1_sel:DWORD
                                        ; implicit-def: $vgpr21
	s_and_saveexec_b64 s[22:23], vcc
	s_xor_b64 s[90:91], exec, s[22:23]
	s_cbranch_execz .LBB2_737
; %bb.728:                              ;   in Loop: Header=BB2_126 Depth=2
	v_mov_b32_e32 v21, 0
	v_cmp_ne_u32_e32 vcc, 0, v5
	s_and_saveexec_b64 s[92:93], vcc
	s_cbranch_execz .LBB2_736
; %bb.729:                              ;   in Loop: Header=BB2_126 Depth=2
	v_and_b32_e32 v7, 0x7fffff, v5
	v_bfe_u32 v5, v5, 23, 8
	v_cmp_gt_u32_e64 s[22:23], s54, v5
	v_sub_u32_e32 v6, 0x79, v5
	v_cmp_eq_u32_e32 vcc, 0, v5
	v_cndmask_b32_e64 v6, 0, v6, s[22:23]
	v_cndmask_b32_e32 v6, v6, v47, vcc
	v_add_u32_e32 v9, 20, v6
	v_or_b32_e32 v8, 0x800000, v7
	v_lshlrev_b64 v[9:10], v9, -1
	v_add_u32_e32 v11, 19, v6
	v_cndmask_b32_e32 v7, v8, v7, vcc
	v_lshlrev_b64 v[21:22], v11, 1
	v_mov_b32_e32 v8, v33
	v_bfi_b32 v10, v10, 0, 0
	v_bfi_b32 v9, v9, 0, v7
	v_cmp_eq_u64_e64 s[22:23], v[9:10], v[21:22]
	v_lshrrev_b64 v[10:11], v6, v[7:8]
	v_mov_b32_e32 v41, v11
	v_mov_b32_e32 v40, v10
	s_and_saveexec_b64 s[94:95], s[22:23]
; %bb.730:                              ;   in Loop: Header=BB2_126 Depth=2
	v_bfe_u32 v7, v10, 20, 1
	v_add_co_u32_e64 v7, s[22:23], v10, v7
	v_add_co_u32_e64 v40, s[22:23], -1, v7
; %bb.731:                              ;   in Loop: Header=BB2_126 Depth=2
	s_or_b64 exec, exec, s[94:95]
	v_add_u32_e32 v5, 0xffffff81, v5
	v_cndmask_b32_e32 v5, v5, v44, vcc
	v_lshrrev_b32_e32 v7, 23, v10
	v_add3_u32 v7, v6, v5, v7
	v_add_u32_e32 v6, 6, v7
	v_and_b32_e32 v5, 0xfffff, v40
	v_add_u32_e32 v10, v5, v10
	v_mov_b32_e32 v11, v33
	v_cmp_ne_u32_e32 vcc, 0, v6
                                        ; implicit-def: $vgpr5
	s_and_saveexec_b64 s[22:23], vcc
	s_xor_b64 s[22:23], exec, s[22:23]
; %bb.732:                              ;   in Loop: Header=BB2_126 Depth=2
	v_cmp_lt_u64_e32 vcc, s[60:61], v[10:11]
	v_add_u32_e32 v5, 7, v7
	v_cndmask_b32_e32 v5, v6, v5, vcc
	v_cndmask_b32_e64 v6, 0, 1, vcc
	v_lshrrev_b64 v[10:11], v6, v[10:11]
; %bb.733:                              ;   in Loop: Header=BB2_126 Depth=2
	s_andn2_saveexec_b64 s[22:23], s[22:23]
; %bb.734:                              ;   in Loop: Header=BB2_126 Depth=2
	v_bfe_u32 v5, v10, 23, 1
; %bb.735:                              ;   in Loop: Header=BB2_126 Depth=2
	s_or_b64 exec, exec, s[22:23]
	v_lshrrev_b64 v[6:7], 20, v[10:11]
	v_cmp_gt_i32_e32 vcc, 16, v5
	v_cndmask_b32_e32 v7, 0, v7, vcc
	v_cndmask_b32_e32 v6, 7, v6, vcc
	v_cmp_eq_u32_e32 vcc, 0, v5
	v_min_i32_e32 v5, 15, v5
	v_cmp_eq_u64_e64 s[22:23], 0, v[6:7]
	v_lshlrev_b32_e32 v5, 3, v5
	v_and_b32_e32 v5, 0xf8, v5
	v_and_or_b32 v5, v6, 7, v5
	s_and_b64 s[22:23], vcc, s[22:23]
	v_cndmask_b32_e64 v5, v5, 0, s[22:23]
	v_or_b32_e32 v21, v5, v4
.LBB2_736:                              ;   in Loop: Header=BB2_126 Depth=2
	s_or_b64 exec, exec, s[92:93]
                                        ; implicit-def: $vgpr4
.LBB2_737:                              ;   in Loop: Header=BB2_126 Depth=2
	s_andn2_saveexec_b64 s[22:23], s[90:91]
; %bb.738:                              ;   in Loop: Header=BB2_126 Depth=2
	v_or_b32_e32 v21, 0x7e, v4
; %bb.739:                              ;   in Loop: Header=BB2_126 Depth=2
	s_or_b64 exec, exec, s[22:23]
                                        ; implicit-def: $vgpr5
.LBB2_740:                              ;   in Loop: Header=BB2_126 Depth=2
	s_andn2_saveexec_b64 s[22:23], s[88:89]
; %bb.741:                              ;   in Loop: Header=BB2_126 Depth=2
	v_or_b32_sdwa v21, v5, s51 dst_sel:DWORD dst_unused:UNUSED_PAD src0_sel:BYTE_3 src1_sel:DWORD
; %bb.742:                              ;   in Loop: Header=BB2_126 Depth=2
	s_or_b64 exec, exec, s[22:23]
	v_lshrrev_b32_e32 v10, 16, v32
	v_cmp_ne_u16_sdwa s[88:89], v10, v33 src0_sel:BYTE_0 src1_sel:DWORD
	v_mov_b32_e32 v4, 0
	s_and_saveexec_b64 s[22:23], s[88:89]
	s_cbranch_execz .LBB2_748
; %bb.743:                              ;   in Loop: Header=BB2_126 Depth=2
	v_cmp_ne_u16_sdwa s[90:91], v10, s53 src0_sel:BYTE_0 src1_sel:DWORD
	v_bfrev_b32_e32 v4, 1
	s_and_saveexec_b64 s[88:89], s[90:91]
	s_cbranch_execz .LBB2_747
; %bb.744:                              ;   in Loop: Header=BB2_126 Depth=2
	v_bfe_u32 v5, v32, 16, 7
	v_cmp_ne_u32_e32 vcc, s51, v5
	v_mov_b32_e32 v4, 0x7f800001
	s_and_saveexec_b64 s[90:91], vcc
	s_cbranch_execz .LBB2_746
; %bb.745:                              ;   in Loop: Header=BB2_126 Depth=2
	v_and_b32_e32 v6, 7, v10
	v_ffbh_u32_e32 v4, v6
	v_min_u32_e32 v8, 32, v4
	v_subrev_u32_e32 v4, 28, v8
	v_lshrrev_b32_e32 v7, 3, v5
	v_cmp_gt_u32_e32 vcc, 8, v5
	v_lshlrev_b64 v[4:5], v4, v[10:11]
	v_sub_u32_e32 v5, 29, v8
	v_and_b32_e32 v4, 7, v4
	v_cndmask_b32_e32 v5, v7, v5, vcc
	v_cndmask_b32_e32 v4, v6, v4, vcc
	v_lshlrev_b32_e32 v6, 24, v10
	v_lshlrev_b32_e32 v4, 20, v4
	v_and_b32_e32 v6, 0x80000000, v6
	v_lshl_add_u32 v5, v5, 23, v3
	v_or3_b32 v4, v6, v5, v4
.LBB2_746:                              ;   in Loop: Header=BB2_126 Depth=2
	s_or_b64 exec, exec, s[90:91]
.LBB2_747:                              ;   in Loop: Header=BB2_126 Depth=2
	s_or_b64 exec, exec, s[88:89]
.LBB2_748:                              ;   in Loop: Header=BB2_126 Depth=2
	s_or_b64 exec, exec, s[22:23]
	v_lshrrev_b32_e32 v10, 16, v12
	v_cmp_gt_i16_sdwa s[88:89], v10, s51 src0_sel:BYTE_0 src1_sel:DWORD
	s_mov_b64 s[22:23], 0
	s_and_saveexec_b64 s[90:91], s[88:89]
	s_xor_b64 s[88:89], exec, s[90:91]
	s_cbranch_execnz .LBB2_922
; %bb.749:                              ;   in Loop: Header=BB2_126 Depth=2
	s_or_saveexec_b64 s[88:89], s[88:89]
	v_bfrev_b32_e32 v5, 1
	s_xor_b64 exec, exec, s[88:89]
	s_cbranch_execnz .LBB2_925
.LBB2_750:                              ;   in Loop: Header=BB2_126 Depth=2
	s_or_b64 exec, exec, s[88:89]
	s_and_saveexec_b64 s[88:89], s[22:23]
	s_cbranch_execz .LBB2_752
.LBB2_751:                              ;   in Loop: Header=BB2_126 Depth=2
	v_and_b32_e32 v7, 7, v10
	v_ffbh_u32_e32 v5, v7
	v_min_u32_e32 v11, 32, v5
	v_subrev_u32_e32 v5, 28, v11
	v_lshlrev_b64 v[5:6], v5, v[10:11]
	v_and_b32_e32 v8, 0x7f, v10
	v_bfe_u32 v9, v10, 3, 4
	v_sub_u32_e32 v6, 29, v11
	v_and_b32_e32 v5, 7, v5
	v_cmp_gt_u32_e32 vcc, 8, v8
	v_cndmask_b32_e32 v6, v9, v6, vcc
	v_cndmask_b32_e32 v5, v7, v5, vcc
	v_lshlrev_b32_e32 v7, 24, v10
	v_lshlrev_b32_e32 v5, 20, v5
	v_and_b32_e32 v7, 0x80000000, v7
	v_lshl_add_u32 v6, v6, 23, v3
	v_or3_b32 v5, v7, v6, v5
	v_cmp_ne_u32_e32 vcc, s51, v8
	v_cndmask_b32_e32 v5, v2, v5, vcc
.LBB2_752:                              ;   in Loop: Header=BB2_126 Depth=2
	s_or_b64 exec, exec, s[88:89]
	v_add_f32_e32 v5, v4, v5
	v_and_b32_e32 v6, 0x7f800000, v5
	v_mov_b32_e32 v7, v33
	v_cmp_ne_u64_e32 vcc, s[56:57], v[6:7]
                                        ; implicit-def: $vgpr26
	s_and_saveexec_b64 s[22:23], vcc
	s_xor_b64 s[88:89], exec, s[22:23]
	s_cbranch_execz .LBB2_766
; %bb.753:                              ;   in Loop: Header=BB2_126 Depth=2
	v_and_b32_e32 v6, 0x7fffffff, v5
	v_mov_b32_e32 v7, v33
	v_cmp_gt_u64_e32 vcc, s[58:59], v[6:7]
	v_and_b32_sdwa v4, v5, s53 dst_sel:DWORD dst_unused:UNUSED_PAD src0_sel:BYTE_3 src1_sel:DWORD
                                        ; implicit-def: $vgpr26
	s_and_saveexec_b64 s[22:23], vcc
	s_xor_b64 s[90:91], exec, s[22:23]
	s_cbranch_execz .LBB2_763
; %bb.754:                              ;   in Loop: Header=BB2_126 Depth=2
	v_mov_b32_e32 v26, 0
	v_cmp_ne_u32_e32 vcc, 0, v5
	s_and_saveexec_b64 s[92:93], vcc
	s_cbranch_execz .LBB2_762
; %bb.755:                              ;   in Loop: Header=BB2_126 Depth=2
	v_and_b32_e32 v7, 0x7fffff, v5
	v_bfe_u32 v5, v5, 23, 8
	v_cmp_gt_u32_e64 s[22:23], s54, v5
	v_sub_u32_e32 v6, 0x79, v5
	v_cmp_eq_u32_e32 vcc, 0, v5
	v_cndmask_b32_e64 v6, 0, v6, s[22:23]
	v_cndmask_b32_e32 v6, v6, v47, vcc
	v_add_u32_e32 v9, 20, v6
	v_or_b32_e32 v8, 0x800000, v7
	v_lshlrev_b64 v[9:10], v9, -1
	v_add_u32_e32 v11, 19, v6
	v_cndmask_b32_e32 v7, v8, v7, vcc
	v_lshlrev_b64 v[22:23], v11, 1
	v_mov_b32_e32 v8, v33
	v_bfi_b32 v10, v10, 0, 0
	v_bfi_b32 v9, v9, 0, v7
	v_cmp_eq_u64_e64 s[22:23], v[9:10], v[22:23]
	v_lshrrev_b64 v[10:11], v6, v[7:8]
	v_mov_b32_e32 v41, v11
	v_mov_b32_e32 v40, v10
	s_and_saveexec_b64 s[94:95], s[22:23]
; %bb.756:                              ;   in Loop: Header=BB2_126 Depth=2
	v_bfe_u32 v7, v10, 20, 1
	v_add_co_u32_e64 v7, s[22:23], v10, v7
	v_add_co_u32_e64 v40, s[22:23], -1, v7
; %bb.757:                              ;   in Loop: Header=BB2_126 Depth=2
	s_or_b64 exec, exec, s[94:95]
	v_add_u32_e32 v5, 0xffffff81, v5
	v_cndmask_b32_e32 v5, v5, v44, vcc
	v_lshrrev_b32_e32 v7, 23, v10
	v_add3_u32 v7, v6, v5, v7
	v_add_u32_e32 v6, 6, v7
	v_and_b32_e32 v5, 0xfffff, v40
	v_add_u32_e32 v10, v5, v10
	v_mov_b32_e32 v11, v33
	v_cmp_ne_u32_e32 vcc, 0, v6
                                        ; implicit-def: $vgpr5
	s_and_saveexec_b64 s[22:23], vcc
	s_xor_b64 s[22:23], exec, s[22:23]
; %bb.758:                              ;   in Loop: Header=BB2_126 Depth=2
	v_cmp_lt_u64_e32 vcc, s[60:61], v[10:11]
	v_add_u32_e32 v5, 7, v7
	v_cndmask_b32_e32 v5, v6, v5, vcc
	v_cndmask_b32_e64 v6, 0, 1, vcc
	v_lshrrev_b64 v[10:11], v6, v[10:11]
; %bb.759:                              ;   in Loop: Header=BB2_126 Depth=2
	s_andn2_saveexec_b64 s[22:23], s[22:23]
; %bb.760:                              ;   in Loop: Header=BB2_126 Depth=2
	v_bfe_u32 v5, v10, 23, 1
; %bb.761:                              ;   in Loop: Header=BB2_126 Depth=2
	s_or_b64 exec, exec, s[22:23]
	v_lshrrev_b64 v[6:7], 20, v[10:11]
	v_cmp_gt_i32_e32 vcc, 16, v5
	v_cndmask_b32_e32 v7, 0, v7, vcc
	v_cndmask_b32_e32 v6, 7, v6, vcc
	v_cmp_eq_u32_e32 vcc, 0, v5
	v_min_i32_e32 v5, 15, v5
	v_cmp_eq_u64_e64 s[22:23], 0, v[6:7]
	v_lshlrev_b32_e32 v5, 3, v5
	v_and_b32_e32 v5, 0xf8, v5
	v_and_or_b32 v5, v6, 7, v5
	s_and_b64 s[22:23], vcc, s[22:23]
	v_cndmask_b32_e64 v5, v5, 0, s[22:23]
	v_or_b32_e32 v26, v5, v4
.LBB2_762:                              ;   in Loop: Header=BB2_126 Depth=2
	s_or_b64 exec, exec, s[92:93]
                                        ; implicit-def: $vgpr4
.LBB2_763:                              ;   in Loop: Header=BB2_126 Depth=2
	s_andn2_saveexec_b64 s[22:23], s[90:91]
; %bb.764:                              ;   in Loop: Header=BB2_126 Depth=2
	v_or_b32_e32 v26, 0x7e, v4
; %bb.765:                              ;   in Loop: Header=BB2_126 Depth=2
	s_or_b64 exec, exec, s[22:23]
                                        ; implicit-def: $vgpr5
.LBB2_766:                              ;   in Loop: Header=BB2_126 Depth=2
	s_andn2_saveexec_b64 s[22:23], s[88:89]
; %bb.767:                              ;   in Loop: Header=BB2_126 Depth=2
	v_or_b32_sdwa v26, v5, s51 dst_sel:DWORD dst_unused:UNUSED_PAD src0_sel:BYTE_3 src1_sel:DWORD
; %bb.768:                              ;   in Loop: Header=BB2_126 Depth=2
	s_or_b64 exec, exec, s[22:23]
	v_cmp_lt_u32_e32 vcc, s63, v32
	v_mov_b32_e32 v4, 0
	s_and_saveexec_b64 s[22:23], vcc
	s_cbranch_execz .LBB2_774
; %bb.769:                              ;   in Loop: Header=BB2_126 Depth=2
	v_lshrrev_b32_e32 v10, 24, v32
	v_cmp_ne_u32_sdwa s[90:91], v32, s53 src0_sel:BYTE_3 src1_sel:DWORD
	v_bfrev_b32_e32 v4, 1
	s_and_saveexec_b64 s[88:89], s[90:91]
	s_cbranch_execz .LBB2_773
; %bb.770:                              ;   in Loop: Header=BB2_126 Depth=2
	v_bfe_u32 v5, v32, 24, 7
	v_cmp_ne_u32_e32 vcc, s51, v5
	v_mov_b32_e32 v4, 0x7f800001
	s_and_saveexec_b64 s[90:91], vcc
	s_cbranch_execz .LBB2_772
; %bb.771:                              ;   in Loop: Header=BB2_126 Depth=2
	v_and_b32_e32 v6, 7, v10
	v_ffbh_u32_e32 v4, v6
	v_min_u32_e32 v8, 32, v4
	v_subrev_u32_e32 v4, 28, v8
	v_lshrrev_b32_e32 v7, 3, v5
	v_cmp_gt_u32_e32 vcc, 8, v5
	v_lshlrev_b64 v[4:5], v4, v[10:11]
	v_sub_u32_e32 v5, 29, v8
	v_and_b32_e32 v4, 7, v4
	v_cndmask_b32_e32 v4, v6, v4, vcc
	v_mov_b32_e32 v6, 24
	v_cndmask_b32_e32 v5, v7, v5, vcc
	v_lshlrev_b32_sdwa v6, v6, v32 dst_sel:DWORD dst_unused:UNUSED_PAD src0_sel:DWORD src1_sel:BYTE_3
	v_lshlrev_b32_e32 v4, 20, v4
	v_and_b32_e32 v6, 0x80000000, v6
	v_lshl_add_u32 v5, v5, 23, v3
	v_or3_b32 v4, v6, v5, v4
.LBB2_772:                              ;   in Loop: Header=BB2_126 Depth=2
	s_or_b64 exec, exec, s[90:91]
.LBB2_773:                              ;   in Loop: Header=BB2_126 Depth=2
	s_or_b64 exec, exec, s[88:89]
.LBB2_774:                              ;   in Loop: Header=BB2_126 Depth=2
	s_or_b64 exec, exec, s[22:23]
	v_bfe_u32 v8, v12, 24, 3
	v_ffbh_u32_e32 v6, v8
	v_min_u32_e32 v11, 32, v6
	v_lshrrev_b32_e32 v5, 24, v12
	v_subrev_u32_e32 v6, 28, v11
	v_lshlrev_b64 v[6:7], v6, v[5:6]
	v_bfe_u32 v9, v12, 24, 7
	v_bfe_u32 v10, v5, 3, 4
	v_sub_u32_e32 v7, 29, v11
	v_and_b32_e32 v6, 7, v6
	v_cmp_gt_u32_e32 vcc, 8, v9
	v_cndmask_b32_e32 v7, v10, v7, vcc
	v_cndmask_b32_e32 v6, v8, v6, vcc
	v_lshlrev_b32_e32 v6, 20, v6
	v_and_b32_e32 v8, 0x80000000, v12
	v_lshl_add_u32 v7, v7, 23, v3
	v_or3_b32 v6, v8, v7, v6
	v_cmp_ne_u32_e32 vcc, s51, v9
	v_cndmask_b32_e32 v6, v2, v6, vcc
	v_cmp_ne_u32_e32 vcc, s53, v5
	v_cndmask_b32_e32 v5, v31, v6, vcc
	v_cmp_lt_u32_e32 vcc, s63, v12
	v_cndmask_b32_e32 v5, 0, v5, vcc
	v_add_f32_e32 v10, v5, v4
	v_and_b32_e32 v32, 0x7f800000, v10
	v_cmp_ne_u64_e32 vcc, s[56:57], v[32:33]
                                        ; implicit-def: $vgpr4
	s_and_saveexec_b64 s[22:23], vcc
	s_xor_b64 s[88:89], exec, s[22:23]
	s_cbranch_execz .LBB2_788
; %bb.775:                              ;   in Loop: Header=BB2_126 Depth=2
	v_and_b32_e32 v32, 0x7fffffff, v10
	v_cmp_gt_u64_e32 vcc, s[58:59], v[32:33]
	v_and_b32_sdwa v5, v10, s53 dst_sel:DWORD dst_unused:UNUSED_PAD src0_sel:BYTE_3 src1_sel:DWORD
                                        ; implicit-def: $vgpr4
	s_and_saveexec_b64 s[22:23], vcc
	s_xor_b64 s[90:91], exec, s[22:23]
	s_cbranch_execz .LBB2_785
; %bb.776:                              ;   in Loop: Header=BB2_126 Depth=2
	v_mov_b32_e32 v4, 0
	v_cmp_ne_u32_e32 vcc, 0, v10
	s_and_saveexec_b64 s[92:93], vcc
	s_cbranch_execz .LBB2_784
; %bb.777:                              ;   in Loop: Header=BB2_126 Depth=2
	v_bfe_u32 v4, v10, 23, 8
	v_cmp_gt_u32_e64 s[22:23], s54, v4
	v_sub_u32_e32 v6, 0x79, v4
	v_and_b32_e32 v7, 0x7fffff, v10
	v_cmp_eq_u32_e32 vcc, 0, v4
	v_cndmask_b32_e64 v6, 0, v6, s[22:23]
	v_or_b32_e32 v8, 0x800000, v7
	v_cndmask_b32_e32 v6, v6, v47, vcc
	v_cndmask_b32_e32 v32, v8, v7, vcc
	v_add_u32_e32 v7, 20, v6
	v_lshlrev_b64 v[7:8], v7, -1
	v_add_u32_e32 v9, 19, v6
	v_lshlrev_b64 v[9:10], v9, 1
	v_bfi_b32 v8, v8, 0, 0
	v_bfi_b32 v7, v7, 0, v32
	v_cmp_eq_u64_e64 s[22:23], v[7:8], v[9:10]
	v_lshrrev_b64 v[10:11], v6, v[32:33]
	v_mov_b32_e32 v41, v11
	v_mov_b32_e32 v40, v10
	s_and_saveexec_b64 s[94:95], s[22:23]
; %bb.778:                              ;   in Loop: Header=BB2_126 Depth=2
	v_bfe_u32 v7, v10, 20, 1
	v_add_co_u32_e64 v7, s[22:23], v10, v7
	v_add_co_u32_e64 v40, s[22:23], -1, v7
; %bb.779:                              ;   in Loop: Header=BB2_126 Depth=2
	s_or_b64 exec, exec, s[94:95]
	v_add_u32_e32 v4, 0xffffff81, v4
	v_cndmask_b32_e32 v4, v4, v44, vcc
	v_lshrrev_b32_e32 v7, 23, v10
	v_add3_u32 v7, v6, v4, v7
	v_add_u32_e32 v6, 6, v7
	v_and_b32_e32 v4, 0xfffff, v40
	v_add_u32_e32 v32, v4, v10
	v_cmp_ne_u32_e32 vcc, 0, v6
                                        ; implicit-def: $vgpr10_vgpr11
                                        ; implicit-def: $vgpr4
	s_and_saveexec_b64 s[22:23], vcc
	s_xor_b64 s[22:23], exec, s[22:23]
; %bb.780:                              ;   in Loop: Header=BB2_126 Depth=2
	v_cmp_lt_u64_e32 vcc, s[60:61], v[32:33]
	v_add_u32_e32 v4, 7, v7
	v_cndmask_b32_e32 v4, v6, v4, vcc
	v_cndmask_b32_e64 v6, 0, 1, vcc
	v_lshrrev_b64 v[10:11], v6, v[32:33]
; %bb.781:                              ;   in Loop: Header=BB2_126 Depth=2
	s_andn2_saveexec_b64 s[22:23], s[22:23]
; %bb.782:                              ;   in Loop: Header=BB2_126 Depth=2
	v_mov_b32_e32 v10, v32
	v_bfe_u32 v4, v32, 23, 1
	v_mov_b32_e32 v11, v33
; %bb.783:                              ;   in Loop: Header=BB2_126 Depth=2
	s_or_b64 exec, exec, s[22:23]
	v_lshrrev_b64 v[6:7], 20, v[10:11]
	v_cmp_gt_i32_e32 vcc, 16, v4
	v_cndmask_b32_e32 v7, 0, v7, vcc
	v_cndmask_b32_e32 v6, 7, v6, vcc
	v_cmp_eq_u32_e32 vcc, 0, v4
	v_min_i32_e32 v4, 15, v4
	v_cmp_eq_u64_e64 s[22:23], 0, v[6:7]
	v_lshlrev_b32_e32 v4, 3, v4
	v_and_b32_e32 v4, 0xf8, v4
	v_and_or_b32 v4, v6, 7, v4
	s_and_b64 s[22:23], vcc, s[22:23]
	v_cndmask_b32_e64 v4, v4, 0, s[22:23]
	v_or_b32_e32 v4, v4, v5
.LBB2_784:                              ;   in Loop: Header=BB2_126 Depth=2
	s_or_b64 exec, exec, s[92:93]
                                        ; implicit-def: $vgpr5
.LBB2_785:                              ;   in Loop: Header=BB2_126 Depth=2
	s_andn2_saveexec_b64 s[22:23], s[90:91]
; %bb.786:                              ;   in Loop: Header=BB2_126 Depth=2
	v_or_b32_e32 v4, 0x7e, v5
; %bb.787:                              ;   in Loop: Header=BB2_126 Depth=2
	s_or_b64 exec, exec, s[22:23]
                                        ; implicit-def: $vgpr10
.LBB2_788:                              ;   in Loop: Header=BB2_126 Depth=2
	s_andn2_saveexec_b64 s[22:23], s[88:89]
; %bb.789:                              ;   in Loop: Header=BB2_126 Depth=2
	v_or_b32_sdwa v4, v10, s51 dst_sel:DWORD dst_unused:UNUSED_PAD src0_sel:BYTE_3 src1_sel:DWORD
; %bb.790:                              ;   in Loop: Header=BB2_126 Depth=2
	s_or_b64 exec, exec, s[22:23]
	v_lshlrev_b32_e32 v6, 24, v20
	v_lshlrev_b32_e32 v7, 16, v46
	v_lshl_or_b32 v5, v28, 8, v1
	v_or3_b32 v32, v7, v6, v5
	v_cmp_ne_u32_e32 vcc, 0, v1
	v_mov_b32_e32 v20, 0
	s_and_saveexec_b64 s[22:23], vcc
	s_cbranch_execz .LBB2_796
; %bb.791:                              ;   in Loop: Header=BB2_126 Depth=2
	v_cmp_ne_u32_e32 vcc, s53, v1
	v_bfrev_b32_e32 v20, 1
	s_and_saveexec_b64 s[88:89], vcc
	s_cbranch_execz .LBB2_795
; %bb.792:                              ;   in Loop: Header=BB2_126 Depth=2
	v_and_b32_e32 v6, 0x7f, v1
	v_cmp_ne_u32_e32 vcc, s51, v6
	v_mov_b32_e32 v20, 0x7f800001
	s_and_saveexec_b64 s[90:91], vcc
	s_cbranch_execz .LBB2_794
; %bb.793:                              ;   in Loop: Header=BB2_126 Depth=2
	v_and_b32_e32 v1, 7, v1
	v_ffbh_u32_e32 v1, v1
	v_min_u32_e32 v1, 32, v1
	v_lshrrev_b32_e32 v7, 3, v6
	v_cmp_gt_u32_e32 vcc, 8, v6
	v_subrev_u32_e32 v6, 28, v1
	v_sub_u32_e32 v1, 29, v1
	v_cndmask_b32_e32 v6, 0, v6, vcc
	v_cndmask_b32_e32 v1, v7, v1, vcc
	v_lshlrev_b64 v[6:7], v6, v[32:33]
	v_lshlrev_b32_e32 v7, 24, v32
	v_lshlrev_b32_e32 v6, 20, v6
	v_and_b32_e32 v6, 0x700000, v6
	v_and_b32_e32 v7, 0x80000000, v7
	v_lshl_add_u32 v1, v1, 23, v3
	v_or3_b32 v20, v7, v1, v6
.LBB2_794:                              ;   in Loop: Header=BB2_126 Depth=2
	s_or_b64 exec, exec, s[90:91]
.LBB2_795:                              ;   in Loop: Header=BB2_126 Depth=2
	s_or_b64 exec, exec, s[88:89]
.LBB2_796:                              ;   in Loop: Header=BB2_126 Depth=2
	s_or_b64 exec, exec, s[22:23]
	v_cmp_gt_i16_sdwa s[88:89], v13, s51 src0_sel:BYTE_0 src1_sel:DWORD
	s_mov_b64 s[22:23], 0
	s_and_saveexec_b64 s[90:91], s[88:89]
	s_xor_b64 s[88:89], exec, s[90:91]
	s_cbranch_execz .LBB2_800
; %bb.797:                              ;   in Loop: Header=BB2_126 Depth=2
	v_cmp_eq_u16_sdwa s[92:93], v13, s53 src0_sel:BYTE_0 src1_sel:DWORD
	s_mov_b64 s[22:23], -1
	s_and_saveexec_b64 s[90:91], s[92:93]
; %bb.798:                              ;   in Loop: Header=BB2_126 Depth=2
	s_xor_b64 s[22:23], exec, -1
; %bb.799:                              ;   in Loop: Header=BB2_126 Depth=2
	s_or_b64 exec, exec, s[90:91]
	s_and_b64 s[22:23], s[22:23], exec
.LBB2_800:                              ;   in Loop: Header=BB2_126 Depth=2
	s_or_saveexec_b64 s[88:89], s[88:89]
	v_bfrev_b32_e32 v1, 1
	s_xor_b64 exec, exec, s[88:89]
; %bb.801:                              ;   in Loop: Header=BB2_126 Depth=2
	v_cmp_ne_u16_sdwa s[90:91], v13, v33 src0_sel:BYTE_0 src1_sel:DWORD
	s_andn2_b64 s[22:23], s[22:23], exec
	s_and_b64 s[90:91], s[90:91], exec
	v_mov_b32_e32 v1, 0
	s_or_b64 s[22:23], s[22:23], s[90:91]
; %bb.802:                              ;   in Loop: Header=BB2_126 Depth=2
	s_or_b64 exec, exec, s[88:89]
	v_mov_b32_e32 v10, v13
	v_mov_b32_e32 v11, v33
	s_and_saveexec_b64 s[88:89], s[22:23]
	s_cbranch_execz .LBB2_804
; %bb.803:                              ;   in Loop: Header=BB2_126 Depth=2
	v_and_b32_e32 v1, 7, v13
	v_ffbh_u32_e32 v1, v1
	v_and_b32_e32 v8, 0x7f, v13
	v_min_u32_e32 v1, 32, v1
	v_bfe_u32 v6, v13, 3, 4
	v_subrev_u32_e32 v7, 28, v1
	v_sub_u32_e32 v1, 29, v1
	v_cmp_gt_u32_e32 vcc, 8, v8
	v_cndmask_b32_e32 v1, v6, v1, vcc
	v_cndmask_b32_e32 v6, 0, v7, vcc
	v_lshlrev_b64 v[6:7], v6, v[10:11]
	v_lshlrev_b32_e32 v7, 24, v10
	v_lshlrev_b32_e32 v6, 20, v6
	v_and_b32_e32 v6, 0x700000, v6
	v_and_b32_e32 v7, 0x80000000, v7
	v_lshl_add_u32 v1, v1, 23, v3
	v_or3_b32 v1, v7, v1, v6
	v_cmp_ne_u32_e32 vcc, s51, v8
	v_cndmask_b32_e32 v1, v2, v1, vcc
.LBB2_804:                              ;   in Loop: Header=BB2_126 Depth=2
	s_or_b64 exec, exec, s[88:89]
	v_add_f32_e32 v20, v20, v1
	v_and_b32_e32 v6, 0x7f800000, v20
	v_mov_b32_e32 v7, v33
	v_cmp_ne_u64_e32 vcc, s[56:57], v[6:7]
                                        ; implicit-def: $vgpr1
	s_and_saveexec_b64 s[22:23], vcc
	s_xor_b64 s[88:89], exec, s[22:23]
	s_cbranch_execz .LBB2_818
; %bb.805:                              ;   in Loop: Header=BB2_126 Depth=2
	v_and_b32_e32 v6, 0x7fffffff, v20
	v_mov_b32_e32 v7, v33
	v_cmp_gt_u64_e32 vcc, s[58:59], v[6:7]
	v_and_b32_sdwa v11, v20, s53 dst_sel:DWORD dst_unused:UNUSED_PAD src0_sel:BYTE_3 src1_sel:DWORD
                                        ; implicit-def: $vgpr1
	s_and_saveexec_b64 s[22:23], vcc
	s_xor_b64 s[90:91], exec, s[22:23]
	s_cbranch_execz .LBB2_815
; %bb.806:                              ;   in Loop: Header=BB2_126 Depth=2
	v_mov_b32_e32 v1, 0
	v_cmp_ne_u32_e32 vcc, 0, v20
	s_and_saveexec_b64 s[92:93], vcc
	s_cbranch_execz .LBB2_814
; %bb.807:                              ;   in Loop: Header=BB2_126 Depth=2
	v_bfe_u32 v1, v20, 23, 8
	v_cmp_gt_u32_e64 s[22:23], s54, v1
	v_sub_u32_e32 v6, 0x79, v1
	v_cmp_eq_u32_e32 vcc, 0, v1
	v_cndmask_b32_e64 v6, 0, v6, s[22:23]
	v_and_b32_e32 v7, 0x7fffff, v20
	v_cndmask_b32_e32 v6, v6, v47, vcc
	v_or_b32_e32 v8, 0x800000, v7
	v_add_u32_e32 v9, 20, v6
	v_cndmask_b32_e32 v7, v8, v7, vcc
	v_mov_b32_e32 v8, v33
	v_lshlrev_b64 v[22:23], v9, -1
	v_add_u32_e32 v9, 19, v6
	v_lshlrev_b64 v[27:28], v9, 1
	v_lshrrev_b64 v[40:41], v6, v[7:8]
	v_bfi_b32 v23, v23, 0, 0
	v_bfi_b32 v22, v22, 0, v7
	v_cmp_eq_u64_e64 s[22:23], v[22:23], v[27:28]
	v_mov_b32_e32 v42, v41
	v_mov_b32_e32 v41, v40
	s_and_saveexec_b64 s[94:95], s[22:23]
; %bb.808:                              ;   in Loop: Header=BB2_126 Depth=2
	v_bfe_u32 v7, v40, 20, 1
	v_add_co_u32_e64 v7, s[22:23], v40, v7
	v_add_co_u32_e64 v41, s[22:23], -1, v7
; %bb.809:                              ;   in Loop: Header=BB2_126 Depth=2
	s_or_b64 exec, exec, s[94:95]
	v_add_u32_e32 v1, 0xffffff81, v1
	v_cndmask_b32_e32 v1, v1, v44, vcc
	v_lshrrev_b32_e32 v7, 23, v40
	v_add3_u32 v7, v6, v1, v7
	v_add_u32_e32 v6, 6, v7
	v_and_b32_e32 v1, 0xfffff, v41
	v_add_u32_e32 v40, v1, v40
	v_mov_b32_e32 v41, v33
	v_cmp_ne_u32_e32 vcc, 0, v6
                                        ; implicit-def: $vgpr1
	s_and_saveexec_b64 s[22:23], vcc
	s_xor_b64 s[22:23], exec, s[22:23]
; %bb.810:                              ;   in Loop: Header=BB2_126 Depth=2
	v_cmp_lt_u64_e32 vcc, s[60:61], v[40:41]
	v_add_u32_e32 v1, 7, v7
	v_cndmask_b32_e32 v1, v6, v1, vcc
	v_cndmask_b32_e64 v6, 0, 1, vcc
	v_lshrrev_b64 v[40:41], v6, v[40:41]
; %bb.811:                              ;   in Loop: Header=BB2_126 Depth=2
	s_andn2_saveexec_b64 s[22:23], s[22:23]
; %bb.812:                              ;   in Loop: Header=BB2_126 Depth=2
	v_bfe_u32 v1, v40, 23, 1
; %bb.813:                              ;   in Loop: Header=BB2_126 Depth=2
	s_or_b64 exec, exec, s[22:23]
	v_lshrrev_b64 v[6:7], 20, v[40:41]
	v_cmp_gt_i32_e32 vcc, 16, v1
	v_cndmask_b32_e32 v7, 0, v7, vcc
	v_cndmask_b32_e32 v6, 7, v6, vcc
	v_cmp_eq_u32_e32 vcc, 0, v1
	v_min_i32_e32 v1, 15, v1
	v_cmp_eq_u64_e64 s[22:23], 0, v[6:7]
	v_lshlrev_b32_e32 v1, 3, v1
	v_and_b32_e32 v1, 0xf8, v1
	v_and_or_b32 v1, v6, 7, v1
	s_and_b64 s[22:23], vcc, s[22:23]
	v_cndmask_b32_e64 v1, v1, 0, s[22:23]
	v_or_b32_e32 v1, v1, v11
.LBB2_814:                              ;   in Loop: Header=BB2_126 Depth=2
	s_or_b64 exec, exec, s[92:93]
                                        ; implicit-def: $vgpr11
.LBB2_815:                              ;   in Loop: Header=BB2_126 Depth=2
	s_andn2_saveexec_b64 s[22:23], s[90:91]
; %bb.816:                              ;   in Loop: Header=BB2_126 Depth=2
	v_or_b32_e32 v1, 0x7e, v11
; %bb.817:                              ;   in Loop: Header=BB2_126 Depth=2
	s_or_b64 exec, exec, s[22:23]
                                        ; implicit-def: $vgpr20
.LBB2_818:                              ;   in Loop: Header=BB2_126 Depth=2
	s_andn2_saveexec_b64 s[22:23], s[88:89]
; %bb.819:                              ;   in Loop: Header=BB2_126 Depth=2
	v_or_b32_sdwa v1, v20, s51 dst_sel:DWORD dst_unused:UNUSED_PAD src0_sel:BYTE_3 src1_sel:DWORD
; %bb.820:                              ;   in Loop: Header=BB2_126 Depth=2
	s_or_b64 exec, exec, s[22:23]
	v_lshrrev_b16_e32 v11, 8, v5
	v_cmp_ne_u16_e32 vcc, 0, v11
	v_mov_b32_e32 v20, 0
	s_and_saveexec_b64 s[22:23], vcc
	s_cbranch_execz .LBB2_826
; %bb.821:                              ;   in Loop: Header=BB2_126 Depth=2
	v_cmp_ne_u16_e32 vcc, s53, v11
	v_bfrev_b32_e32 v20, 1
	s_and_saveexec_b64 s[88:89], vcc
	s_cbranch_execz .LBB2_825
; %bb.822:                              ;   in Loop: Header=BB2_126 Depth=2
	v_and_b32_e32 v6, 0x7f, v11
	v_cmp_ne_u32_e32 vcc, s51, v6
	v_mov_b32_e32 v20, 0x7f800001
	s_and_saveexec_b64 s[90:91], vcc
	s_cbranch_execz .LBB2_824
; %bb.823:                              ;   in Loop: Header=BB2_126 Depth=2
	v_and_b32_e32 v8, 7, v11
	v_lshrrev_b32_e32 v9, 3, v6
	v_cmp_gt_u32_e32 vcc, 8, v6
	v_ffbh_u32_e32 v6, v8
	v_min_u32_e32 v20, 32, v6
	v_subrev_u32_e32 v6, 28, v20
	v_lshlrev_b64 v[6:7], v6, v[11:12]
	v_sub_u32_e32 v7, 29, v20
	v_and_b32_e32 v6, 7, v6
	v_cndmask_b32_e32 v7, v9, v7, vcc
	v_cndmask_b32_e32 v6, v8, v6, vcc
	v_lshlrev_b32_e32 v5, 16, v5
	v_lshlrev_b32_e32 v6, 20, v6
	v_and_b32_e32 v5, 0x80000000, v5
	v_lshl_add_u32 v7, v7, 23, v3
	v_or3_b32 v20, v5, v7, v6
.LBB2_824:                              ;   in Loop: Header=BB2_126 Depth=2
	s_or_b64 exec, exec, s[90:91]
.LBB2_825:                              ;   in Loop: Header=BB2_126 Depth=2
	s_or_b64 exec, exec, s[88:89]
.LBB2_826:                              ;   in Loop: Header=BB2_126 Depth=2
	s_or_b64 exec, exec, s[22:23]
	v_lshrrev_b16_e32 v10, 8, v10
	v_cmp_lt_i16_e32 vcc, s51, v10
	s_mov_b64 s[22:23], 0
	s_and_saveexec_b64 s[88:89], vcc
	s_xor_b64 s[88:89], exec, s[88:89]
	s_cbranch_execnz .LBB2_926
; %bb.827:                              ;   in Loop: Header=BB2_126 Depth=2
	s_or_saveexec_b64 s[88:89], s[88:89]
	v_bfrev_b32_e32 v5, 1
	s_xor_b64 exec, exec, s[88:89]
	s_cbranch_execnz .LBB2_929
.LBB2_828:                              ;   in Loop: Header=BB2_126 Depth=2
	s_or_b64 exec, exec, s[88:89]
	s_and_saveexec_b64 s[88:89], s[22:23]
	s_cbranch_execz .LBB2_830
.LBB2_829:                              ;   in Loop: Header=BB2_126 Depth=2
	v_and_b32_e32 v7, 7, v10
	v_ffbh_u32_e32 v5, v7
	v_min_u32_e32 v22, 32, v5
	v_mov_b32_e32 v11, v33
	v_subrev_u32_e32 v5, 28, v22
	v_lshlrev_b64 v[5:6], v5, v[10:11]
	v_and_b32_e32 v8, 0x7f, v10
	v_bfe_u32 v9, v10, 3, 4
	v_sub_u32_e32 v6, 29, v22
	v_and_b32_e32 v5, 7, v5
	v_cmp_gt_u32_e32 vcc, 8, v8
	v_cndmask_b32_e32 v6, v9, v6, vcc
	v_cndmask_b32_e32 v5, v7, v5, vcc
	v_lshlrev_b32_e32 v7, 24, v10
	v_lshlrev_b32_e32 v5, 20, v5
	v_and_b32_e32 v7, 0x80000000, v7
	v_lshl_add_u32 v6, v6, 23, v3
	v_or3_b32 v5, v7, v6, v5
	v_cmp_ne_u32_e32 vcc, s51, v8
	v_cndmask_b32_e32 v5, v2, v5, vcc
.LBB2_830:                              ;   in Loop: Header=BB2_126 Depth=2
	s_or_b64 exec, exec, s[88:89]
	v_add_f32_e32 v10, v20, v5
	v_and_b32_e32 v5, 0x7f800000, v10
	v_mov_b32_e32 v6, v33
	v_cmp_ne_u64_e32 vcc, s[56:57], v[5:6]
                                        ; implicit-def: $vgpr5
	s_and_saveexec_b64 s[22:23], vcc
	s_xor_b64 s[88:89], exec, s[22:23]
	s_cbranch_execz .LBB2_844
; %bb.831:                              ;   in Loop: Header=BB2_126 Depth=2
	v_and_b32_e32 v5, 0x7fffffff, v10
	v_mov_b32_e32 v6, v33
	v_cmp_gt_u64_e32 vcc, s[58:59], v[5:6]
	v_and_b32_sdwa v20, v10, s53 dst_sel:DWORD dst_unused:UNUSED_PAD src0_sel:BYTE_3 src1_sel:DWORD
                                        ; implicit-def: $vgpr5
	s_and_saveexec_b64 s[22:23], vcc
	s_xor_b64 s[90:91], exec, s[22:23]
	s_cbranch_execz .LBB2_841
; %bb.832:                              ;   in Loop: Header=BB2_126 Depth=2
	v_mov_b32_e32 v5, 0
	v_cmp_ne_u32_e32 vcc, 0, v10
	s_and_saveexec_b64 s[92:93], vcc
	s_cbranch_execz .LBB2_840
; %bb.833:                              ;   in Loop: Header=BB2_126 Depth=2
	v_bfe_u32 v5, v10, 23, 8
	v_cmp_gt_u32_e64 s[22:23], s54, v5
	v_sub_u32_e32 v6, 0x79, v5
	v_cmp_eq_u32_e32 vcc, 0, v5
	v_cndmask_b32_e64 v6, 0, v6, s[22:23]
	v_cndmask_b32_e32 v6, v6, v47, vcc
	v_and_b32_e32 v7, 0x7fffff, v10
	v_add_u32_e32 v9, 20, v6
	v_or_b32_e32 v8, 0x800000, v7
	v_lshlrev_b64 v[9:10], v9, -1
	v_add_u32_e32 v11, 19, v6
	v_cndmask_b32_e32 v7, v8, v7, vcc
	v_lshlrev_b64 v[22:23], v11, 1
	v_mov_b32_e32 v8, v33
	v_bfi_b32 v10, v10, 0, 0
	v_bfi_b32 v9, v9, 0, v7
	v_cmp_eq_u64_e64 s[22:23], v[9:10], v[22:23]
	v_lshrrev_b64 v[10:11], v6, v[7:8]
	v_mov_b32_e32 v41, v11
	v_mov_b32_e32 v40, v10
	s_and_saveexec_b64 s[94:95], s[22:23]
; %bb.834:                              ;   in Loop: Header=BB2_126 Depth=2
	v_bfe_u32 v7, v10, 20, 1
	v_add_co_u32_e64 v7, s[22:23], v10, v7
	v_add_co_u32_e64 v40, s[22:23], -1, v7
; %bb.835:                              ;   in Loop: Header=BB2_126 Depth=2
	s_or_b64 exec, exec, s[94:95]
	v_add_u32_e32 v5, 0xffffff81, v5
	v_cndmask_b32_e32 v5, v5, v44, vcc
	v_lshrrev_b32_e32 v7, 23, v10
	v_add3_u32 v7, v6, v5, v7
	v_add_u32_e32 v6, 6, v7
	v_and_b32_e32 v5, 0xfffff, v40
	v_add_u32_e32 v10, v5, v10
	v_mov_b32_e32 v11, v33
	v_cmp_ne_u32_e32 vcc, 0, v6
                                        ; implicit-def: $vgpr5
	s_and_saveexec_b64 s[22:23], vcc
	s_xor_b64 s[22:23], exec, s[22:23]
; %bb.836:                              ;   in Loop: Header=BB2_126 Depth=2
	v_cmp_lt_u64_e32 vcc, s[60:61], v[10:11]
	v_add_u32_e32 v5, 7, v7
	v_cndmask_b32_e32 v5, v6, v5, vcc
	v_cndmask_b32_e64 v6, 0, 1, vcc
	v_lshrrev_b64 v[10:11], v6, v[10:11]
; %bb.837:                              ;   in Loop: Header=BB2_126 Depth=2
	s_andn2_saveexec_b64 s[22:23], s[22:23]
; %bb.838:                              ;   in Loop: Header=BB2_126 Depth=2
	v_bfe_u32 v5, v10, 23, 1
; %bb.839:                              ;   in Loop: Header=BB2_126 Depth=2
	s_or_b64 exec, exec, s[22:23]
	v_lshrrev_b64 v[6:7], 20, v[10:11]
	v_cmp_gt_i32_e32 vcc, 16, v5
	v_cndmask_b32_e32 v7, 0, v7, vcc
	v_cndmask_b32_e32 v6, 7, v6, vcc
	v_cmp_eq_u32_e32 vcc, 0, v5
	v_min_i32_e32 v5, 15, v5
	v_cmp_eq_u64_e64 s[22:23], 0, v[6:7]
	v_lshlrev_b32_e32 v5, 3, v5
	v_and_b32_e32 v5, 0xf8, v5
	v_and_or_b32 v5, v6, 7, v5
	s_and_b64 s[22:23], vcc, s[22:23]
	v_cndmask_b32_e64 v5, v5, 0, s[22:23]
	v_or_b32_e32 v5, v5, v20
.LBB2_840:                              ;   in Loop: Header=BB2_126 Depth=2
	s_or_b64 exec, exec, s[92:93]
                                        ; implicit-def: $vgpr20
.LBB2_841:                              ;   in Loop: Header=BB2_126 Depth=2
	s_andn2_saveexec_b64 s[22:23], s[90:91]
; %bb.842:                              ;   in Loop: Header=BB2_126 Depth=2
	v_or_b32_e32 v5, 0x7e, v20
; %bb.843:                              ;   in Loop: Header=BB2_126 Depth=2
	s_or_b64 exec, exec, s[22:23]
                                        ; implicit-def: $vgpr10
.LBB2_844:                              ;   in Loop: Header=BB2_126 Depth=2
	s_andn2_saveexec_b64 s[22:23], s[88:89]
; %bb.845:                              ;   in Loop: Header=BB2_126 Depth=2
	v_or_b32_sdwa v5, v10, s51 dst_sel:DWORD dst_unused:UNUSED_PAD src0_sel:BYTE_3 src1_sel:DWORD
; %bb.846:                              ;   in Loop: Header=BB2_126 Depth=2
	s_or_b64 exec, exec, s[22:23]
	v_lshrrev_b32_e32 v10, 16, v32
	v_cmp_ne_u16_sdwa s[88:89], v10, v33 src0_sel:BYTE_0 src1_sel:DWORD
	v_mov_b32_e32 v11, 0
	s_and_saveexec_b64 s[22:23], s[88:89]
	s_cbranch_execz .LBB2_852
; %bb.847:                              ;   in Loop: Header=BB2_126 Depth=2
	v_cmp_ne_u16_sdwa s[90:91], v10, s53 src0_sel:BYTE_0 src1_sel:DWORD
	v_bfrev_b32_e32 v11, 1
	s_and_saveexec_b64 s[88:89], s[90:91]
	s_cbranch_execz .LBB2_851
; %bb.848:                              ;   in Loop: Header=BB2_126 Depth=2
	v_bfe_u32 v6, v32, 16, 7
	v_cmp_ne_u32_e32 vcc, s51, v6
	v_mov_b32_e32 v11, 0x7f800001
	s_and_saveexec_b64 s[90:91], vcc
	s_cbranch_execz .LBB2_850
; %bb.849:                              ;   in Loop: Header=BB2_126 Depth=2
	v_and_b32_e32 v8, 7, v10
	v_lshrrev_b32_e32 v9, 3, v6
	v_cmp_gt_u32_e32 vcc, 8, v6
	v_ffbh_u32_e32 v6, v8
	v_min_u32_e32 v11, 32, v6
	v_subrev_u32_e32 v6, 28, v11
	v_lshlrev_b64 v[6:7], v6, v[10:11]
	v_sub_u32_e32 v7, 29, v11
	v_and_b32_e32 v6, 7, v6
	v_cndmask_b32_e32 v7, v9, v7, vcc
	v_cndmask_b32_e32 v6, v8, v6, vcc
	v_lshlrev_b32_e32 v8, 24, v10
	v_lshlrev_b32_e32 v6, 20, v6
	v_and_b32_e32 v8, 0x80000000, v8
	v_lshl_add_u32 v7, v7, 23, v3
	v_or3_b32 v11, v8, v7, v6
.LBB2_850:                              ;   in Loop: Header=BB2_126 Depth=2
	s_or_b64 exec, exec, s[90:91]
.LBB2_851:                              ;   in Loop: Header=BB2_126 Depth=2
	s_or_b64 exec, exec, s[88:89]
.LBB2_852:                              ;   in Loop: Header=BB2_126 Depth=2
	s_or_b64 exec, exec, s[22:23]
	v_lshrrev_b32_e32 v10, 16, v13
	v_cmp_gt_i16_sdwa s[88:89], v10, s51 src0_sel:BYTE_0 src1_sel:DWORD
	s_mov_b64 s[22:23], 0
	s_and_saveexec_b64 s[90:91], s[88:89]
	s_xor_b64 s[88:89], exec, s[90:91]
	s_cbranch_execnz .LBB2_930
; %bb.853:                              ;   in Loop: Header=BB2_126 Depth=2
	s_or_saveexec_b64 s[88:89], s[88:89]
	v_bfrev_b32_e32 v6, 1
	s_xor_b64 exec, exec, s[88:89]
	s_cbranch_execnz .LBB2_933
.LBB2_854:                              ;   in Loop: Header=BB2_126 Depth=2
	s_or_b64 exec, exec, s[88:89]
	s_and_saveexec_b64 s[88:89], s[22:23]
	s_cbranch_execz .LBB2_856
.LBB2_855:                              ;   in Loop: Header=BB2_126 Depth=2
	v_and_b32_e32 v8, 7, v10
	v_ffbh_u32_e32 v6, v8
	v_min_u32_e32 v22, 32, v6
	v_subrev_u32_e32 v6, 28, v22
	v_lshlrev_b64 v[6:7], v6, v[10:11]
	v_and_b32_e32 v9, 0x7f, v10
	v_bfe_u32 v20, v10, 3, 4
	v_sub_u32_e32 v7, 29, v22
	v_and_b32_e32 v6, 7, v6
	v_cmp_gt_u32_e32 vcc, 8, v9
	v_cndmask_b32_e32 v7, v20, v7, vcc
	v_cndmask_b32_e32 v6, v8, v6, vcc
	v_lshlrev_b32_e32 v8, 24, v10
	v_lshlrev_b32_e32 v6, 20, v6
	v_and_b32_e32 v8, 0x80000000, v8
	v_lshl_add_u32 v7, v7, 23, v3
	v_or3_b32 v6, v8, v7, v6
	v_cmp_ne_u32_e32 vcc, s51, v9
	v_cndmask_b32_e32 v6, v2, v6, vcc
.LBB2_856:                              ;   in Loop: Header=BB2_126 Depth=2
	s_or_b64 exec, exec, s[88:89]
	v_add_f32_e32 v10, v11, v6
	v_and_b32_e32 v6, 0x7f800000, v10
	v_mov_b32_e32 v7, v33
	v_cmp_ne_u64_e32 vcc, s[56:57], v[6:7]
                                        ; implicit-def: $vgpr20
	s_and_saveexec_b64 s[22:23], vcc
	s_xor_b64 s[88:89], exec, s[22:23]
	s_cbranch_execz .LBB2_870
; %bb.857:                              ;   in Loop: Header=BB2_126 Depth=2
	v_and_b32_e32 v6, 0x7fffffff, v10
	v_mov_b32_e32 v7, v33
	v_cmp_gt_u64_e32 vcc, s[58:59], v[6:7]
	v_and_b32_sdwa v22, v10, s53 dst_sel:DWORD dst_unused:UNUSED_PAD src0_sel:BYTE_3 src1_sel:DWORD
                                        ; implicit-def: $vgpr20
	s_and_saveexec_b64 s[22:23], vcc
	s_xor_b64 s[90:91], exec, s[22:23]
	s_cbranch_execz .LBB2_867
; %bb.858:                              ;   in Loop: Header=BB2_126 Depth=2
	v_mov_b32_e32 v20, 0
	v_cmp_ne_u32_e32 vcc, 0, v10
	s_and_saveexec_b64 s[92:93], vcc
	s_cbranch_execz .LBB2_866
; %bb.859:                              ;   in Loop: Header=BB2_126 Depth=2
	v_bfe_u32 v20, v10, 23, 8
	v_cmp_gt_u32_e64 s[22:23], s54, v20
	v_sub_u32_e32 v6, 0x79, v20
	v_cmp_eq_u32_e32 vcc, 0, v20
	v_cndmask_b32_e64 v6, 0, v6, s[22:23]
	v_cndmask_b32_e32 v6, v6, v47, vcc
	v_and_b32_e32 v7, 0x7fffff, v10
	v_add_u32_e32 v9, 20, v6
	v_or_b32_e32 v8, 0x800000, v7
	v_lshlrev_b64 v[9:10], v9, -1
	v_add_u32_e32 v11, 19, v6
	v_cndmask_b32_e32 v7, v8, v7, vcc
	v_lshlrev_b64 v[27:28], v11, 1
	v_mov_b32_e32 v8, v33
	v_bfi_b32 v10, v10, 0, 0
	v_bfi_b32 v9, v9, 0, v7
	v_cmp_eq_u64_e64 s[22:23], v[9:10], v[27:28]
	v_lshrrev_b64 v[10:11], v6, v[7:8]
	v_mov_b32_e32 v41, v11
	v_mov_b32_e32 v40, v10
	s_and_saveexec_b64 s[94:95], s[22:23]
; %bb.860:                              ;   in Loop: Header=BB2_126 Depth=2
	v_bfe_u32 v7, v10, 20, 1
	v_add_co_u32_e64 v7, s[22:23], v10, v7
	v_add_co_u32_e64 v40, s[22:23], -1, v7
; %bb.861:                              ;   in Loop: Header=BB2_126 Depth=2
	s_or_b64 exec, exec, s[94:95]
	v_add_u32_e32 v7, 0xffffff81, v20
	v_cndmask_b32_e32 v7, v7, v44, vcc
	v_lshrrev_b32_e32 v8, 23, v10
	v_add3_u32 v8, v6, v7, v8
	v_add_u32_e32 v7, 6, v8
	v_and_b32_e32 v6, 0xfffff, v40
	v_add_u32_e32 v10, v6, v10
	v_mov_b32_e32 v11, v33
	v_cmp_ne_u32_e32 vcc, 0, v7
                                        ; implicit-def: $vgpr6
	s_and_saveexec_b64 s[22:23], vcc
	s_xor_b64 s[22:23], exec, s[22:23]
; %bb.862:                              ;   in Loop: Header=BB2_126 Depth=2
	v_cmp_lt_u64_e32 vcc, s[60:61], v[10:11]
	v_add_u32_e32 v6, 7, v8
	v_cndmask_b32_e32 v6, v7, v6, vcc
	v_cndmask_b32_e64 v7, 0, 1, vcc
	v_lshrrev_b64 v[10:11], v7, v[10:11]
; %bb.863:                              ;   in Loop: Header=BB2_126 Depth=2
	s_andn2_saveexec_b64 s[22:23], s[22:23]
; %bb.864:                              ;   in Loop: Header=BB2_126 Depth=2
	v_bfe_u32 v6, v10, 23, 1
; %bb.865:                              ;   in Loop: Header=BB2_126 Depth=2
	s_or_b64 exec, exec, s[22:23]
	v_lshrrev_b64 v[7:8], 20, v[10:11]
	v_cmp_gt_i32_e32 vcc, 16, v6
	v_cndmask_b32_e32 v8, 0, v8, vcc
	v_cndmask_b32_e32 v7, 7, v7, vcc
	v_cmp_eq_u32_e32 vcc, 0, v6
	v_min_i32_e32 v6, 15, v6
	v_cmp_eq_u64_e64 s[22:23], 0, v[7:8]
	v_lshlrev_b32_e32 v6, 3, v6
	v_and_b32_e32 v6, 0xf8, v6
	v_and_or_b32 v6, v7, 7, v6
	s_and_b64 s[22:23], vcc, s[22:23]
	v_cndmask_b32_e64 v6, v6, 0, s[22:23]
	v_or_b32_e32 v20, v6, v22
.LBB2_866:                              ;   in Loop: Header=BB2_126 Depth=2
	s_or_b64 exec, exec, s[92:93]
                                        ; implicit-def: $vgpr22
.LBB2_867:                              ;   in Loop: Header=BB2_126 Depth=2
	s_andn2_saveexec_b64 s[22:23], s[90:91]
; %bb.868:                              ;   in Loop: Header=BB2_126 Depth=2
	v_or_b32_e32 v20, 0x7e, v22
; %bb.869:                              ;   in Loop: Header=BB2_126 Depth=2
	s_or_b64 exec, exec, s[22:23]
                                        ; implicit-def: $vgpr10
.LBB2_870:                              ;   in Loop: Header=BB2_126 Depth=2
	s_andn2_saveexec_b64 s[22:23], s[88:89]
; %bb.871:                              ;   in Loop: Header=BB2_126 Depth=2
	v_or_b32_sdwa v20, v10, s51 dst_sel:DWORD dst_unused:UNUSED_PAD src0_sel:BYTE_3 src1_sel:DWORD
; %bb.872:                              ;   in Loop: Header=BB2_126 Depth=2
	s_or_b64 exec, exec, s[22:23]
	v_cmp_lt_u32_e32 vcc, s63, v32
	v_mov_b32_e32 v11, 0
	s_and_saveexec_b64 s[22:23], vcc
	s_cbranch_execz .LBB2_878
; %bb.873:                              ;   in Loop: Header=BB2_126 Depth=2
	v_lshrrev_b32_e32 v10, 24, v32
	v_cmp_ne_u32_sdwa s[90:91], v32, s53 src0_sel:BYTE_3 src1_sel:DWORD
	v_bfrev_b32_e32 v11, 1
	s_and_saveexec_b64 s[88:89], s[90:91]
	s_cbranch_execz .LBB2_877
; %bb.874:                              ;   in Loop: Header=BB2_126 Depth=2
	v_bfe_u32 v6, v32, 24, 7
	v_cmp_ne_u32_e32 vcc, s51, v6
	v_mov_b32_e32 v11, 0x7f800001
	s_and_saveexec_b64 s[90:91], vcc
	s_cbranch_execz .LBB2_876
; %bb.875:                              ;   in Loop: Header=BB2_126 Depth=2
	v_and_b32_e32 v8, 7, v10
	v_lshrrev_b32_e32 v9, 3, v6
	v_cmp_gt_u32_e32 vcc, 8, v6
	v_ffbh_u32_e32 v6, v8
	v_min_u32_e32 v11, 32, v6
	v_subrev_u32_e32 v6, 28, v11
	v_lshlrev_b64 v[6:7], v6, v[10:11]
	v_sub_u32_e32 v7, 29, v11
	v_and_b32_e32 v6, 7, v6
	v_cndmask_b32_e32 v6, v8, v6, vcc
	v_mov_b32_e32 v8, 24
	v_cndmask_b32_e32 v7, v9, v7, vcc
	v_lshlrev_b32_sdwa v8, v8, v32 dst_sel:DWORD dst_unused:UNUSED_PAD src0_sel:DWORD src1_sel:BYTE_3
	v_lshlrev_b32_e32 v6, 20, v6
	v_and_b32_e32 v8, 0x80000000, v8
	v_lshl_add_u32 v7, v7, 23, v3
	v_or3_b32 v11, v8, v7, v6
.LBB2_876:                              ;   in Loop: Header=BB2_126 Depth=2
	s_or_b64 exec, exec, s[90:91]
.LBB2_877:                              ;   in Loop: Header=BB2_126 Depth=2
	s_or_b64 exec, exec, s[88:89]
.LBB2_878:                              ;   in Loop: Header=BB2_126 Depth=2
	s_or_b64 exec, exec, s[22:23]
	v_bfe_u32 v9, v13, 24, 3
	v_ffbh_u32_e32 v7, v9
	v_min_u32_e32 v23, 32, v7
	v_lshrrev_b32_e32 v6, 24, v13
	v_subrev_u32_e32 v7, 28, v23
	v_lshlrev_b64 v[7:8], v7, v[6:7]
	v_bfe_u32 v10, v13, 24, 7
	v_bfe_u32 v22, v6, 3, 4
	v_sub_u32_e32 v8, 29, v23
	v_and_b32_e32 v7, 7, v7
	v_cmp_gt_u32_e32 vcc, 8, v10
	v_cndmask_b32_e32 v8, v22, v8, vcc
	v_cndmask_b32_e32 v7, v9, v7, vcc
	v_lshlrev_b32_e32 v7, 20, v7
	v_and_b32_e32 v9, 0x80000000, v13
	v_lshl_add_u32 v8, v8, 23, v3
	v_or3_b32 v7, v9, v8, v7
	v_cmp_ne_u32_e32 vcc, s51, v10
	v_cndmask_b32_e32 v7, v2, v7, vcc
	v_cmp_ne_u32_e32 vcc, s53, v6
	v_cndmask_b32_e32 v6, v31, v7, vcc
	v_cmp_lt_u64_e32 vcc, s[62:63], v[12:13]
                                        ; implicit-def: $vgpr10
	v_cndmask_b32_e32 v6, 0, v6, vcc
	v_add_f32_e32 v11, v6, v11
	v_and_b32_e32 v32, 0x7f800000, v11
	v_cmp_ne_u64_e32 vcc, s[56:57], v[32:33]
	s_and_saveexec_b64 s[22:23], vcc
	s_xor_b64 s[88:89], exec, s[22:23]
	s_cbranch_execz .LBB2_892
; %bb.879:                              ;   in Loop: Header=BB2_126 Depth=2
	v_and_b32_e32 v32, 0x7fffffff, v11
	v_cmp_gt_u64_e32 vcc, s[58:59], v[32:33]
	v_and_b32_sdwa v13, v11, s53 dst_sel:DWORD dst_unused:UNUSED_PAD src0_sel:BYTE_3 src1_sel:DWORD
                                        ; implicit-def: $vgpr10
	s_and_saveexec_b64 s[22:23], vcc
	s_xor_b64 s[90:91], exec, s[22:23]
	s_cbranch_execz .LBB2_889
; %bb.880:                              ;   in Loop: Header=BB2_126 Depth=2
	v_mov_b32_e32 v10, 0
	v_cmp_ne_u32_e32 vcc, 0, v11
	s_and_saveexec_b64 s[92:93], vcc
	s_cbranch_execz .LBB2_888
; %bb.881:                              ;   in Loop: Header=BB2_126 Depth=2
	v_bfe_u32 v22, v11, 23, 8
	v_cmp_gt_u32_e64 s[22:23], s54, v22
	v_sub_u32_e32 v6, 0x79, v22
	v_and_b32_e32 v7, 0x7fffff, v11
	v_cmp_eq_u32_e32 vcc, 0, v22
	v_cndmask_b32_e64 v6, 0, v6, s[22:23]
	v_or_b32_e32 v8, 0x800000, v7
	v_cndmask_b32_e32 v6, v6, v47, vcc
	v_cndmask_b32_e32 v32, v8, v7, vcc
	v_add_u32_e32 v7, 20, v6
	v_lshlrev_b64 v[7:8], v7, -1
	v_add_u32_e32 v9, 19, v6
	v_lshlrev_b64 v[9:10], v9, 1
	v_bfi_b32 v8, v8, 0, 0
	v_bfi_b32 v7, v7, 0, v32
	v_cmp_eq_u64_e64 s[22:23], v[7:8], v[9:10]
	v_lshrrev_b64 v[10:11], v6, v[32:33]
	v_mov_b32_e32 v12, v11
	v_mov_b32_e32 v11, v10
	s_and_saveexec_b64 s[94:95], s[22:23]
; %bb.882:                              ;   in Loop: Header=BB2_126 Depth=2
	v_bfe_u32 v7, v10, 20, 1
	v_add_co_u32_e64 v7, s[22:23], v10, v7
	v_add_co_u32_e64 v11, s[22:23], -1, v7
; %bb.883:                              ;   in Loop: Header=BB2_126 Depth=2
	s_or_b64 exec, exec, s[94:95]
	v_add_u32_e32 v7, 0xffffff81, v22
	v_cndmask_b32_e32 v7, v7, v44, vcc
	v_lshrrev_b32_e32 v8, 23, v10
	v_add3_u32 v8, v6, v7, v8
	v_add_u32_e32 v7, 6, v8
	v_and_b32_e32 v6, 0xfffff, v11
	v_add_u32_e32 v32, v6, v10
	v_cmp_ne_u32_e32 vcc, 0, v7
                                        ; implicit-def: $vgpr10_vgpr11
                                        ; implicit-def: $vgpr6
	s_and_saveexec_b64 s[22:23], vcc
	s_xor_b64 s[22:23], exec, s[22:23]
; %bb.884:                              ;   in Loop: Header=BB2_126 Depth=2
	v_cmp_lt_u64_e32 vcc, s[60:61], v[32:33]
	v_add_u32_e32 v6, 7, v8
	v_cndmask_b32_e32 v6, v7, v6, vcc
	v_cndmask_b32_e64 v7, 0, 1, vcc
	v_lshrrev_b64 v[10:11], v7, v[32:33]
; %bb.885:                              ;   in Loop: Header=BB2_126 Depth=2
	s_andn2_saveexec_b64 s[22:23], s[22:23]
; %bb.886:                              ;   in Loop: Header=BB2_126 Depth=2
	v_mov_b32_e32 v10, v32
	v_bfe_u32 v6, v32, 23, 1
	v_mov_b32_e32 v11, v33
; %bb.887:                              ;   in Loop: Header=BB2_126 Depth=2
	s_or_b64 exec, exec, s[22:23]
	v_lshrrev_b64 v[7:8], 20, v[10:11]
	v_cmp_gt_i32_e32 vcc, 16, v6
	v_cndmask_b32_e32 v8, 0, v8, vcc
	v_cndmask_b32_e32 v7, 7, v7, vcc
	v_cmp_eq_u32_e32 vcc, 0, v6
	v_min_i32_e32 v6, 15, v6
	v_cmp_eq_u64_e64 s[22:23], 0, v[7:8]
	v_lshlrev_b32_e32 v6, 3, v6
	v_and_b32_e32 v6, 0xf8, v6
	v_and_or_b32 v6, v7, 7, v6
	s_and_b64 s[22:23], vcc, s[22:23]
	v_cndmask_b32_e64 v6, v6, 0, s[22:23]
	v_or_b32_e32 v10, v6, v13
.LBB2_888:                              ;   in Loop: Header=BB2_126 Depth=2
	s_or_b64 exec, exec, s[92:93]
                                        ; implicit-def: $vgpr13
.LBB2_889:                              ;   in Loop: Header=BB2_126 Depth=2
	s_andn2_saveexec_b64 s[22:23], s[90:91]
; %bb.890:                              ;   in Loop: Header=BB2_126 Depth=2
	v_or_b32_e32 v10, 0x7e, v13
; %bb.891:                              ;   in Loop: Header=BB2_126 Depth=2
	s_or_b64 exec, exec, s[22:23]
                                        ; implicit-def: $vgpr11
.LBB2_892:                              ;   in Loop: Header=BB2_126 Depth=2
	s_andn2_saveexec_b64 s[22:23], s[88:89]
	s_cbranch_execz .LBB2_125
; %bb.893:                              ;   in Loop: Header=BB2_126 Depth=2
	v_or_b32_sdwa v10, v11, s51 dst_sel:DWORD dst_unused:UNUSED_PAD src0_sel:BYTE_3 src1_sel:DWORD
	s_branch .LBB2_125
.LBB2_894:                              ;   in Loop: Header=BB2_126 Depth=2
	v_cmp_eq_u16_sdwa s[92:93], v10, s53 src0_sel:BYTE_0 src1_sel:DWORD
	s_mov_b64 s[22:23], -1
	s_and_saveexec_b64 s[90:91], s[92:93]
; %bb.895:                              ;   in Loop: Header=BB2_126 Depth=2
	s_xor_b64 s[22:23], exec, -1
; %bb.896:                              ;   in Loop: Header=BB2_126 Depth=2
	s_or_b64 exec, exec, s[90:91]
	s_and_b64 s[22:23], s[22:23], exec
	s_or_saveexec_b64 s[88:89], s[88:89]
	v_bfrev_b32_e32 v0, 1
	s_xor_b64 exec, exec, s[88:89]
	s_cbranch_execz .LBB2_494
.LBB2_897:                              ;   in Loop: Header=BB2_126 Depth=2
	v_cmp_ne_u16_sdwa s[90:91], v10, v33 src0_sel:BYTE_0 src1_sel:DWORD
	s_andn2_b64 s[22:23], s[22:23], exec
	s_and_b64 s[90:91], s[90:91], exec
	v_mov_b32_e32 v0, 0
	s_or_b64 s[22:23], s[22:23], s[90:91]
	s_or_b64 exec, exec, s[88:89]
	s_and_saveexec_b64 s[88:89], s[22:23]
	s_cbranch_execnz .LBB2_495
	s_branch .LBB2_496
.LBB2_898:                              ;   in Loop: Header=BB2_126 Depth=2
	v_cmp_eq_u16_e32 vcc, s53, v40
	s_mov_b64 s[22:23], -1
	s_and_saveexec_b64 s[90:91], vcc
; %bb.899:                              ;   in Loop: Header=BB2_126 Depth=2
	s_xor_b64 s[22:23], exec, -1
; %bb.900:                              ;   in Loop: Header=BB2_126 Depth=2
	s_or_b64 exec, exec, s[90:91]
	s_and_b64 s[22:23], s[22:23], exec
	s_or_saveexec_b64 s[88:89], s[88:89]
	v_bfrev_b32_e32 v4, 1
	s_xor_b64 exec, exec, s[88:89]
	s_cbranch_execz .LBB2_520
.LBB2_901:                              ;   in Loop: Header=BB2_126 Depth=2
	v_cmp_ne_u16_e32 vcc, 0, v40
	s_andn2_b64 s[22:23], s[22:23], exec
	s_and_b64 s[90:91], vcc, exec
	v_mov_b32_e32 v4, 0
	s_or_b64 s[22:23], s[22:23], s[90:91]
	s_or_b64 exec, exec, s[88:89]
	s_and_saveexec_b64 s[88:89], s[22:23]
	s_cbranch_execnz .LBB2_521
	s_branch .LBB2_522
.LBB2_902:                              ;   in Loop: Header=BB2_126 Depth=2
	v_cmp_eq_u16_sdwa s[92:93], v30, s53 src0_sel:BYTE_0 src1_sel:DWORD
	s_mov_b64 s[22:23], -1
	s_and_saveexec_b64 s[90:91], s[92:93]
; %bb.903:                              ;   in Loop: Header=BB2_126 Depth=2
	s_xor_b64 s[22:23], exec, -1
; %bb.904:                              ;   in Loop: Header=BB2_126 Depth=2
	s_or_b64 exec, exec, s[90:91]
	s_and_b64 s[22:23], s[22:23], exec
	s_or_saveexec_b64 s[88:89], s[88:89]
	v_bfrev_b32_e32 v5, 1
	s_xor_b64 exec, exec, s[88:89]
	s_cbranch_execz .LBB2_546
.LBB2_905:                              ;   in Loop: Header=BB2_126 Depth=2
	v_cmp_ne_u16_sdwa s[90:91], v30, v33 src0_sel:BYTE_0 src1_sel:DWORD
	s_andn2_b64 s[22:23], s[22:23], exec
	s_and_b64 s[90:91], s[90:91], exec
	v_mov_b32_e32 v5, 0
	s_or_b64 s[22:23], s[22:23], s[90:91]
	s_or_b64 exec, exec, s[88:89]
	s_and_saveexec_b64 s[88:89], s[22:23]
	s_cbranch_execnz .LBB2_547
	s_branch .LBB2_548
.LBB2_906:                              ;   in Loop: Header=BB2_126 Depth=2
	v_cmp_eq_u16_e32 vcc, s53, v40
	s_mov_b64 s[22:23], -1
	s_and_saveexec_b64 s[90:91], vcc
; %bb.907:                              ;   in Loop: Header=BB2_126 Depth=2
	s_xor_b64 s[22:23], exec, -1
; %bb.908:                              ;   in Loop: Header=BB2_126 Depth=2
	s_or_b64 exec, exec, s[90:91]
	s_and_b64 s[22:23], s[22:23], exec
	s_or_saveexec_b64 s[88:89], s[88:89]
	v_bfrev_b32_e32 v4, 1
	s_xor_b64 exec, exec, s[88:89]
	s_cbranch_execz .LBB2_624
.LBB2_909:                              ;   in Loop: Header=BB2_126 Depth=2
	v_cmp_ne_u16_e32 vcc, 0, v40
	s_andn2_b64 s[22:23], s[22:23], exec
	s_and_b64 s[90:91], vcc, exec
	v_mov_b32_e32 v4, 0
	s_or_b64 s[22:23], s[22:23], s[90:91]
	s_or_b64 exec, exec, s[88:89]
	s_and_saveexec_b64 s[88:89], s[22:23]
	s_cbranch_execnz .LBB2_625
	s_branch .LBB2_626
.LBB2_910:                              ;   in Loop: Header=BB2_126 Depth=2
	v_cmp_eq_u16_sdwa s[92:93], v30, s53 src0_sel:BYTE_0 src1_sel:DWORD
	s_mov_b64 s[22:23], -1
	s_and_saveexec_b64 s[90:91], s[92:93]
; %bb.911:                              ;   in Loop: Header=BB2_126 Depth=2
	s_xor_b64 s[22:23], exec, -1
; %bb.912:                              ;   in Loop: Header=BB2_126 Depth=2
	s_or_b64 exec, exec, s[90:91]
	s_and_b64 s[22:23], s[22:23], exec
	s_or_saveexec_b64 s[88:89], s[88:89]
	v_bfrev_b32_e32 v5, 1
	s_xor_b64 exec, exec, s[88:89]
	s_cbranch_execz .LBB2_650
.LBB2_913:                              ;   in Loop: Header=BB2_126 Depth=2
	v_cmp_ne_u16_sdwa s[90:91], v30, v33 src0_sel:BYTE_0 src1_sel:DWORD
	s_andn2_b64 s[22:23], s[22:23], exec
	s_and_b64 s[90:91], s[90:91], exec
	v_mov_b32_e32 v5, 0
	s_or_b64 s[22:23], s[22:23], s[90:91]
	s_or_b64 exec, exec, s[88:89]
	s_and_saveexec_b64 s[88:89], s[22:23]
	s_cbranch_execnz .LBB2_651
	s_branch .LBB2_652
.LBB2_914:                              ;   in Loop: Header=BB2_126 Depth=2
	v_cmp_eq_u16_sdwa s[92:93], v12, s53 src0_sel:BYTE_0 src1_sel:DWORD
	s_mov_b64 s[22:23], -1
	s_and_saveexec_b64 s[90:91], s[92:93]
; %bb.915:                              ;   in Loop: Header=BB2_126 Depth=2
	s_xor_b64 s[22:23], exec, -1
; %bb.916:                              ;   in Loop: Header=BB2_126 Depth=2
	s_or_b64 exec, exec, s[90:91]
	s_and_b64 s[22:23], s[22:23], exec
	s_or_saveexec_b64 s[88:89], s[88:89]
	v_bfrev_b32_e32 v6, 1
	s_xor_b64 exec, exec, s[88:89]
	s_cbranch_execz .LBB2_698
.LBB2_917:                              ;   in Loop: Header=BB2_126 Depth=2
	v_cmp_ne_u16_sdwa s[90:91], v12, v33 src0_sel:BYTE_0 src1_sel:DWORD
	s_andn2_b64 s[22:23], s[22:23], exec
	s_and_b64 s[90:91], s[90:91], exec
	v_mov_b32_e32 v6, 0
	s_or_b64 s[22:23], s[22:23], s[90:91]
	s_or_b64 exec, exec, s[88:89]
	s_and_saveexec_b64 s[88:89], s[22:23]
	s_cbranch_execnz .LBB2_699
	s_branch .LBB2_700
.LBB2_918:                              ;   in Loop: Header=BB2_126 Depth=2
	v_cmp_eq_u16_e32 vcc, s53, v10
	s_mov_b64 s[22:23], -1
	s_and_saveexec_b64 s[90:91], vcc
; %bb.919:                              ;   in Loop: Header=BB2_126 Depth=2
	s_xor_b64 s[22:23], exec, -1
; %bb.920:                              ;   in Loop: Header=BB2_126 Depth=2
	s_or_b64 exec, exec, s[90:91]
	s_and_b64 s[22:23], s[22:23], exec
	s_or_saveexec_b64 s[88:89], s[88:89]
	v_bfrev_b32_e32 v4, 1
	s_xor_b64 exec, exec, s[88:89]
	s_cbranch_execz .LBB2_724
.LBB2_921:                              ;   in Loop: Header=BB2_126 Depth=2
	v_cmp_ne_u16_e32 vcc, 0, v10
	s_andn2_b64 s[22:23], s[22:23], exec
	s_and_b64 s[90:91], vcc, exec
	v_mov_b32_e32 v4, 0
	s_or_b64 s[22:23], s[22:23], s[90:91]
	s_or_b64 exec, exec, s[88:89]
	s_and_saveexec_b64 s[88:89], s[22:23]
	s_cbranch_execnz .LBB2_725
	s_branch .LBB2_726
.LBB2_922:                              ;   in Loop: Header=BB2_126 Depth=2
	v_cmp_eq_u16_sdwa s[92:93], v10, s53 src0_sel:BYTE_0 src1_sel:DWORD
	s_mov_b64 s[22:23], -1
	s_and_saveexec_b64 s[90:91], s[92:93]
; %bb.923:                              ;   in Loop: Header=BB2_126 Depth=2
	s_xor_b64 s[22:23], exec, -1
; %bb.924:                              ;   in Loop: Header=BB2_126 Depth=2
	s_or_b64 exec, exec, s[90:91]
	s_and_b64 s[22:23], s[22:23], exec
	s_or_saveexec_b64 s[88:89], s[88:89]
	v_bfrev_b32_e32 v5, 1
	s_xor_b64 exec, exec, s[88:89]
	s_cbranch_execz .LBB2_750
.LBB2_925:                              ;   in Loop: Header=BB2_126 Depth=2
	v_cmp_ne_u16_sdwa s[90:91], v10, v33 src0_sel:BYTE_0 src1_sel:DWORD
	s_andn2_b64 s[22:23], s[22:23], exec
	s_and_b64 s[90:91], s[90:91], exec
	v_mov_b32_e32 v5, 0
	s_or_b64 s[22:23], s[22:23], s[90:91]
	s_or_b64 exec, exec, s[88:89]
	s_and_saveexec_b64 s[88:89], s[22:23]
	s_cbranch_execnz .LBB2_751
	s_branch .LBB2_752
.LBB2_926:                              ;   in Loop: Header=BB2_126 Depth=2
	v_cmp_eq_u16_e32 vcc, s53, v10
	s_mov_b64 s[22:23], -1
	s_and_saveexec_b64 s[90:91], vcc
; %bb.927:                              ;   in Loop: Header=BB2_126 Depth=2
	s_xor_b64 s[22:23], exec, -1
; %bb.928:                              ;   in Loop: Header=BB2_126 Depth=2
	s_or_b64 exec, exec, s[90:91]
	s_and_b64 s[22:23], s[22:23], exec
	s_or_saveexec_b64 s[88:89], s[88:89]
	v_bfrev_b32_e32 v5, 1
	s_xor_b64 exec, exec, s[88:89]
	s_cbranch_execz .LBB2_828
.LBB2_929:                              ;   in Loop: Header=BB2_126 Depth=2
	v_cmp_ne_u16_e32 vcc, 0, v10
	s_andn2_b64 s[22:23], s[22:23], exec
	s_and_b64 s[90:91], vcc, exec
	v_mov_b32_e32 v5, 0
	s_or_b64 s[22:23], s[22:23], s[90:91]
	s_or_b64 exec, exec, s[88:89]
	s_and_saveexec_b64 s[88:89], s[22:23]
	s_cbranch_execnz .LBB2_829
	s_branch .LBB2_830
.LBB2_930:                              ;   in Loop: Header=BB2_126 Depth=2
	v_cmp_eq_u16_sdwa s[92:93], v10, s53 src0_sel:BYTE_0 src1_sel:DWORD
	s_mov_b64 s[22:23], -1
	s_and_saveexec_b64 s[90:91], s[92:93]
; %bb.931:                              ;   in Loop: Header=BB2_126 Depth=2
	s_xor_b64 s[22:23], exec, -1
; %bb.932:                              ;   in Loop: Header=BB2_126 Depth=2
	s_or_b64 exec, exec, s[90:91]
	s_and_b64 s[22:23], s[22:23], exec
	s_or_saveexec_b64 s[88:89], s[88:89]
	v_bfrev_b32_e32 v6, 1
	s_xor_b64 exec, exec, s[88:89]
	s_cbranch_execz .LBB2_854
.LBB2_933:                              ;   in Loop: Header=BB2_126 Depth=2
	v_cmp_ne_u16_sdwa s[90:91], v10, v33 src0_sel:BYTE_0 src1_sel:DWORD
	s_andn2_b64 s[22:23], s[22:23], exec
	s_and_b64 s[90:91], s[90:91], exec
	v_mov_b32_e32 v6, 0
	s_or_b64 s[22:23], s[22:23], s[90:91]
	s_or_b64 exec, exec, s[88:89]
	s_and_saveexec_b64 s[88:89], s[22:23]
	s_cbranch_execnz .LBB2_855
	s_branch .LBB2_856
.LBB2_934:                              ;   in Loop: Header=BB2_49 Depth=1
	s_or_b64 exec, exec, s[78:79]
	buffer_load_dword v61, off, s[0:3], s33 offset:200 ; 4-byte Folded Reload
	buffer_load_dword v54, off, s[0:3], s33 offset:144 ; 4-byte Folded Reload
	;; [unrolled: 1-line block ×8, first 2 shown]
	v_mov_b32_e32 v55, 1
.LBB2_935:                              ;   in Loop: Header=BB2_49 Depth=1
	s_or_b64 exec, exec, s[76:77]
	v_and_b32_e32 v0, 15, v45
	s_waitcnt vmcnt(0)
	v_cndmask_b32_e64 v4, v4, v0, s[20:21]
	v_mov_b32_e32 v5, 0
	v_cmp_ne_u32_e32 vcc, 0, v4
	s_mov_b64 s[76:77], 0
                                        ; implicit-def: $vgpr14
	s_and_saveexec_b64 s[22:23], vcc
	s_cbranch_execz .LBB2_1749
; %bb.936:                              ;   in Loop: Header=BB2_49 Depth=1
	v_mov_b32_e32 v1, v45
	v_and_b32_e32 v0, 0x3f0, v1
	v_cndmask_b32_e64 v0, 0, v0, s[20:21]
	v_and_or_b32 v5, v1, s55, v0
	buffer_load_dword v1, off, s[0:3], s33 offset:204 ; 4-byte Folded Reload
	v_cmp_lt_i32_e32 vcc, 0, v16
	v_cndmask_b32_e32 v0, 0, v56, vcc
	v_sub_u32_e32 v0, v0, v16
	buffer_store_dword v4, off, s[0:3], s33 offset:136 ; 4-byte Folded Spill
	s_waitcnt vmcnt(1)
	v_lshl_or_b32 v0, v0, 6, v1
	v_ashrrev_i32_e32 v1, 31, v0
	v_lshrrev_b32_e32 v1, 26, v1
	v_add_u32_e32 v1, v0, v1
	v_ashrrev_i32_e32 v4, 6, v1
	v_and_b32_e32 v1, 0xffffffc0, v1
	v_sub_u32_e32 v1, v0, v1
	v_lshlrev_b32_e32 v0, 4, v1
	v_sub_u32_e32 v16, 0, v4
	v_lshl_add_u32 v0, v4, 10, v0
	buffer_load_dword v4, off, s[0:3], s33 offset:136 ; 4-byte Folded Reload
	s_waitcnt vmcnt(0)
	v_sub_u32_e32 v17, v4, v0
	v_cmp_lt_i32_e32 vcc, 15, v17
	s_and_saveexec_b64 s[76:77], vcc
	s_cbranch_execz .LBB2_1748
; %bb.937:                              ;   in Loop: Header=BB2_49 Depth=1
	v_add_u32_e32 v4, v0, v5
	buffer_store_dword v1, off, s[0:3], s33 offset:224 ; 4-byte Folded Spill
	buffer_store_dword v5, off, s[0:3], s33 offset:208 ; 4-byte Folded Spill
	s_trap 2
	ds_read_b64 v[0:1], v0
	v_add_co_u32_e32 v50, vcc, v4, v8
	buffer_store_dword v8, off, s[0:3], s33 offset:128 ; 4-byte Folded Spill
	s_nop 0
	buffer_store_dword v9, off, s[0:3], s33 offset:132 ; 4-byte Folded Spill
	v_ashrrev_i32_e32 v5, 31, v4
	s_waitcnt lgkmcnt(0)
	v_readfirstlane_b32 s20, v0
	s_and_b32 s21, s20, 7
	s_flbit_i32_b32 s21, s21
	s_min_u32 s21, s21, 32
	s_and_b32 s78, s20, 0x7f
	s_bfe_u32 s79, s20, 0x40003
	s_sub_i32 s88, s21, 28
	s_sub_i32 s21, 29, s21
	s_cmp_lt_u32 s78, 8
	s_cselect_b32 s88, s88, 0
	s_cselect_b32 s21, s21, s79
	s_lshl_b32 s79, s20, 24
	s_lshl_b32 s21, s21, 23
	s_and_b32 s79, s79, 0x80000000
	s_add_i32 s21, s21, 0x3c000000
	s_or_b32 s21, s79, s21
	s_cmpk_lg_i32 s78, 0x7f
	s_mov_b64 s[78:79], 0
	v_addc_co_u32_e32 v51, vcc, v5, v9, vcc
	v_add_co_u32_e32 v52, vcc, v0, v4
	v_addc_co_u32_e32 v53, vcc, v1, v5, vcc
	v_add_co_u32_e32 v54, vcc, v4, v6
	buffer_store_dword v6, off, s[0:3], s33 offset:112 ; 4-byte Folded Spill
	s_nop 0
	buffer_store_dword v7, off, s[0:3], s33 offset:116 ; 4-byte Folded Spill
	v_lshlrev_b64 v[0:1], s88, v[0:1]
	v_lshlrev_b32_e32 v0, 20, v0
	v_and_b32_e32 v0, 0x700000, v0
	v_or_b32_e32 v0, s21, v0
	v_addc_co_u32_e32 v55, vcc, v5, v7, vcc
	s_cselect_b64 vcc, -1, 0
	v_cndmask_b32_e32 v0, v2, v0, vcc
	s_and_b32 s30, s20, 0xff
	buffer_store_dword v0, off, s[0:3], s33 offset:84 ; 4-byte Folded Spill
	s_branch .LBB2_939
.LBB2_938:                              ;   in Loop: Header=BB2_939 Depth=2
	s_or_b64 exec, exec, s[20:21]
	v_lshl_or_b32 v6, v38, 8, v29
	v_lshlrev_b32_e32 v7, 16, v48
	v_lshlrev_b32_e32 v8, 24, v30
	v_or3_b32 v7, v6, v7, v8
	v_lshl_or_b32 v0, v14, 8, v0
	v_lshlrev_b32_e32 v6, 16, v46
	v_lshlrev_b32_e32 v8, 24, v39
	v_add_co_u32_e32 v50, vcc, v50, v59
	v_or3_b32 v6, v0, v6, v8
	v_lshl_or_b32 v0, v21, 8, v15
	v_lshlrev_b32_e32 v8, 16, v26
	v_lshlrev_b32_e32 v4, 24, v4
	v_addc_co_u32_e32 v51, vcc, 0, v51, vcc
	v_or3_b32 v8, v0, v8, v4
	v_lshlrev_b32_e32 v0, 24, v10
	v_lshlrev_b32_e32 v4, 16, v20
	v_lshl_or_b32 v1, v5, 8, v1
	v_add_co_u32_e32 v52, vcc, v52, v59
	v_or3_b32 v9, v1, v4, v0
	v_addc_co_u32_e32 v53, vcc, 0, v53, vcc
	global_store_dwordx4 v[54:55], v[6:9], off glc slc
	v_add_co_u32_e32 v54, vcc, v54, v59
	v_addc_co_u32_e32 v55, vcc, 0, v55, vcc
	v_sub_u32_e32 v17, v17, v59
	v_cmp_gt_i32_e32 vcc, 16, v17
	s_or_b64 s[78:79], vcc, s[78:79]
	v_sub_u32_e32 v16, v16, v56
	s_andn2_b64 exec, exec, s[78:79]
	s_cbranch_execz .LBB2_1747
.LBB2_939:                              ;   Parent Loop BB2_49 Depth=1
                                        ; =>  This Inner Loop Header: Depth=2
	s_cmpk_lt_i32 s30, 0x80
	s_cbranch_scc1 .LBB2_943
; %bb.940:                              ;   in Loop: Header=BB2_939 Depth=2
	s_and_b32 s88, 0xffff, s30
	s_mov_b64 s[20:21], -1
	s_cmpk_eq_i32 s88, 0x80
	s_cbranch_scc0 .LBB2_942
; %bb.941:                              ;   in Loop: Header=BB2_939 Depth=2
	s_mov_b64 s[20:21], 0
.LBB2_942:                              ;   in Loop: Header=BB2_939 Depth=2
	s_brev_b32 s90, 1
	s_branch .LBB2_945
.LBB2_943:                              ;   in Loop: Header=BB2_939 Depth=2
	s_mov_b64 s[20:21], 0
	s_brev_b32 s90, 1
	s_cbranch_execz .LBB2_945
; %bb.944:                              ;   in Loop: Header=BB2_939 Depth=2
	s_and_b32 s20, 0xffff, s30
	s_cmp_lg_u32 s20, 0
	s_mov_b32 s90, 0
	s_cselect_b64 s[20:21], -1, 0
.LBB2_945:                              ;   in Loop: Header=BB2_939 Depth=2
	s_andn2_b64 vcc, exec, s[20:21]
	v_mov_b32_e32 v14, s90
	s_cbranch_vccnz .LBB2_947
; %bb.946:                              ;   in Loop: Header=BB2_939 Depth=2
	buffer_load_dword v14, off, s[0:3], s33 offset:84 ; 4-byte Folded Reload
.LBB2_947:                              ;   in Loop: Header=BB2_939 Depth=2
	global_load_dwordx4 v[10:13], v[50:51], off glc slc
	v_mov_b32_e32 v0, 0
	s_waitcnt vmcnt(0)
	v_cmp_ne_u16_sdwa s[88:89], v10, v33 src0_sel:BYTE_0 src1_sel:DWORD
	s_and_saveexec_b64 s[20:21], s[88:89]
	s_cbranch_execz .LBB2_953
; %bb.948:                              ;   in Loop: Header=BB2_939 Depth=2
	v_cmp_ne_u16_sdwa s[90:91], v10, s53 src0_sel:BYTE_0 src1_sel:DWORD
	v_bfrev_b32_e32 v0, 1
	s_and_saveexec_b64 s[88:89], s[90:91]
	s_cbranch_execz .LBB2_952
; %bb.949:                              ;   in Loop: Header=BB2_939 Depth=2
	v_and_b32_e32 v1, 0x7f, v10
	v_cmp_ne_u32_e32 vcc, s51, v1
	v_mov_b32_e32 v0, 0x7f800001
	s_and_saveexec_b64 s[90:91], vcc
	s_cbranch_execz .LBB2_951
; %bb.950:                              ;   in Loop: Header=BB2_939 Depth=2
	v_and_b32_e32 v0, 7, v10
	v_ffbh_u32_e32 v0, v0
	v_min_u32_e32 v0, 32, v0
	v_lshrrev_b32_e32 v4, 3, v1
	v_cmp_gt_u32_e32 vcc, 8, v1
	v_subrev_u32_e32 v1, 28, v0
	v_sub_u32_e32 v0, 29, v0
	v_cndmask_b32_e32 v4, v4, v0, vcc
	v_cndmask_b32_e32 v0, 0, v1, vcc
	v_lshlrev_b64 v[0:1], v0, v[10:11]
	v_lshlrev_b32_e32 v1, 24, v10
	v_lshlrev_b32_e32 v0, 20, v0
	v_and_b32_e32 v0, 0x700000, v0
	v_and_b32_e32 v1, 0x80000000, v1
	v_lshl_add_u32 v4, v4, 23, v3
	v_or3_b32 v0, v1, v4, v0
.LBB2_951:                              ;   in Loop: Header=BB2_939 Depth=2
	s_or_b64 exec, exec, s[90:91]
.LBB2_952:                              ;   in Loop: Header=BB2_939 Depth=2
	s_or_b64 exec, exec, s[88:89]
.LBB2_953:                              ;   in Loop: Header=BB2_939 Depth=2
	s_or_b64 exec, exec, s[20:21]
	v_mul_f32_e32 v4, v14, v0
	v_and_b32_e32 v32, 0x7f800000, v4
	v_cmp_ne_u64_e32 vcc, s[56:57], v[32:33]
                                        ; implicit-def: $vgpr0
	s_and_saveexec_b64 s[20:21], vcc
	s_xor_b64 s[88:89], exec, s[20:21]
	s_cbranch_execz .LBB2_967
; %bb.954:                              ;   in Loop: Header=BB2_939 Depth=2
	v_and_b32_e32 v32, 0x7fffffff, v4
	v_cmp_gt_u64_e32 vcc, s[58:59], v[32:33]
	v_and_b32_sdwa v1, v4, s53 dst_sel:DWORD dst_unused:UNUSED_PAD src0_sel:BYTE_3 src1_sel:DWORD
                                        ; implicit-def: $vgpr0
	s_and_saveexec_b64 s[20:21], vcc
	s_xor_b64 s[90:91], exec, s[20:21]
	s_cbranch_execz .LBB2_964
; %bb.955:                              ;   in Loop: Header=BB2_939 Depth=2
	v_mov_b32_e32 v0, 0
	v_cmp_ne_u32_e32 vcc, 0, v4
	s_and_saveexec_b64 s[92:93], vcc
	s_cbranch_execz .LBB2_963
; %bb.956:                              ;   in Loop: Header=BB2_939 Depth=2
	v_bfe_u32 v0, v4, 23, 8
	v_and_b32_e32 v5, 0x7fffff, v4
	v_cmp_gt_u32_e64 s[20:21], s54, v0
	v_sub_u32_e32 v4, 0x79, v0
	v_cmp_eq_u32_e32 vcc, 0, v0
	v_cndmask_b32_e64 v4, 0, v4, s[20:21]
	v_or_b32_e32 v6, 0x800000, v5
	v_cndmask_b32_e32 v4, v4, v47, vcc
	v_cndmask_b32_e32 v32, v6, v5, vcc
	v_add_u32_e32 v5, 20, v4
	v_lshlrev_b64 v[5:6], v5, -1
	v_add_u32_e32 v7, 19, v4
	v_lshlrev_b64 v[7:8], v7, 1
	v_lshrrev_b64 v[40:41], v4, v[32:33]
	v_bfi_b32 v6, v6, 0, 0
	v_bfi_b32 v5, v5, 0, v32
	v_cmp_eq_u64_e64 s[20:21], v[5:6], v[7:8]
	v_mov_b32_e32 v42, v41
	v_mov_b32_e32 v41, v40
	s_and_saveexec_b64 s[94:95], s[20:21]
; %bb.957:                              ;   in Loop: Header=BB2_939 Depth=2
	v_bfe_u32 v5, v40, 20, 1
	v_add_co_u32_e64 v5, s[20:21], v40, v5
	v_add_co_u32_e64 v41, s[20:21], -1, v5
; %bb.958:                              ;   in Loop: Header=BB2_939 Depth=2
	s_or_b64 exec, exec, s[94:95]
	v_add_u32_e32 v0, 0xffffff81, v0
	v_cndmask_b32_e32 v0, v0, v44, vcc
	v_lshrrev_b32_e32 v5, 23, v40
	v_add3_u32 v5, v4, v0, v5
	v_add_u32_e32 v4, 6, v5
	v_and_b32_e32 v0, 0xfffff, v41
	v_add_u32_e32 v32, v0, v40
	v_cmp_ne_u32_e32 vcc, 0, v4
                                        ; implicit-def: $vgpr40_vgpr41
                                        ; implicit-def: $vgpr0
	s_and_saveexec_b64 s[20:21], vcc
	s_xor_b64 s[20:21], exec, s[20:21]
; %bb.959:                              ;   in Loop: Header=BB2_939 Depth=2
	v_cmp_lt_u64_e32 vcc, s[60:61], v[32:33]
	v_add_u32_e32 v0, 7, v5
	v_cndmask_b32_e32 v0, v4, v0, vcc
	v_cndmask_b32_e64 v4, 0, 1, vcc
	v_lshrrev_b64 v[40:41], v4, v[32:33]
; %bb.960:                              ;   in Loop: Header=BB2_939 Depth=2
	s_andn2_saveexec_b64 s[20:21], s[20:21]
; %bb.961:                              ;   in Loop: Header=BB2_939 Depth=2
	v_mov_b32_e32 v41, v33
	v_bfe_u32 v0, v32, 23, 1
	v_mov_b32_e32 v40, v32
; %bb.962:                              ;   in Loop: Header=BB2_939 Depth=2
	s_or_b64 exec, exec, s[20:21]
	v_lshrrev_b64 v[4:5], 20, v[40:41]
	v_cmp_gt_i32_e32 vcc, 16, v0
	v_cndmask_b32_e32 v5, 0, v5, vcc
	v_cndmask_b32_e32 v4, 7, v4, vcc
	v_cmp_eq_u32_e32 vcc, 0, v0
	v_min_i32_e32 v0, 15, v0
	v_cmp_eq_u64_e64 s[20:21], 0, v[4:5]
	v_lshlrev_b32_e32 v0, 3, v0
	v_and_b32_e32 v0, 0xf8, v0
	v_and_or_b32 v0, v4, 7, v0
	s_and_b64 s[20:21], vcc, s[20:21]
	v_cndmask_b32_e64 v0, v0, 0, s[20:21]
	v_or_b32_e32 v0, v0, v1
.LBB2_963:                              ;   in Loop: Header=BB2_939 Depth=2
	s_or_b64 exec, exec, s[92:93]
                                        ; implicit-def: $vgpr1
.LBB2_964:                              ;   in Loop: Header=BB2_939 Depth=2
	s_andn2_saveexec_b64 s[20:21], s[90:91]
; %bb.965:                              ;   in Loop: Header=BB2_939 Depth=2
	v_or_b32_e32 v0, 0x7e, v1
; %bb.966:                              ;   in Loop: Header=BB2_939 Depth=2
	s_or_b64 exec, exec, s[20:21]
                                        ; implicit-def: $vgpr4
.LBB2_967:                              ;   in Loop: Header=BB2_939 Depth=2
	s_andn2_saveexec_b64 s[20:21], s[88:89]
; %bb.968:                              ;   in Loop: Header=BB2_939 Depth=2
	v_or_b32_sdwa v0, v4, s51 dst_sel:DWORD dst_unused:UNUSED_PAD src0_sel:BYTE_3 src1_sel:DWORD
; %bb.969:                              ;   in Loop: Header=BB2_939 Depth=2
	s_or_b64 exec, exec, s[20:21]
	v_lshrrev_b16_e32 v30, 8, v10
	v_cmp_ne_u16_e32 vcc, 0, v30
	v_mov_b32_e32 v1, 0
	s_and_saveexec_b64 s[20:21], vcc
	s_cbranch_execz .LBB2_975
; %bb.970:                              ;   in Loop: Header=BB2_939 Depth=2
	v_cmp_ne_u16_e32 vcc, s53, v30
	v_bfrev_b32_e32 v1, 1
	s_and_saveexec_b64 s[88:89], vcc
	s_cbranch_execz .LBB2_974
; %bb.971:                              ;   in Loop: Header=BB2_939 Depth=2
	v_and_b32_e32 v4, 0x7f, v30
	v_cmp_ne_u32_e32 vcc, s51, v4
	v_mov_b32_e32 v1, 0x7f800001
	s_and_saveexec_b64 s[90:91], vcc
	s_cbranch_execz .LBB2_973
; %bb.972:                              ;   in Loop: Header=BB2_939 Depth=2
	v_and_b32_e32 v1, 7, v30
	v_lshrrev_b32_e32 v6, 3, v4
	v_cmp_gt_u32_e32 vcc, 8, v4
	v_ffbh_u32_e32 v4, v1
	v_min_u32_e32 v7, 32, v4
	v_subrev_u32_e32 v4, 28, v7
	v_lshlrev_b64 v[4:5], v4, v[30:31]
	v_sub_u32_e32 v5, 29, v7
	v_and_b32_e32 v4, 7, v4
	v_cndmask_b32_e32 v5, v6, v5, vcc
	v_cndmask_b32_e32 v1, v1, v4, vcc
	v_lshlrev_b32_e32 v4, 16, v10
	v_lshlrev_b32_e32 v1, 20, v1
	v_and_b32_e32 v4, 0x80000000, v4
	v_lshl_add_u32 v5, v5, 23, v3
	v_or3_b32 v1, v4, v5, v1
.LBB2_973:                              ;   in Loop: Header=BB2_939 Depth=2
	s_or_b64 exec, exec, s[90:91]
.LBB2_974:                              ;   in Loop: Header=BB2_939 Depth=2
	s_or_b64 exec, exec, s[88:89]
.LBB2_975:                              ;   in Loop: Header=BB2_939 Depth=2
	s_or_b64 exec, exec, s[20:21]
	v_mul_f32_e32 v4, v14, v1
	v_and_b32_e32 v32, 0x7f800000, v4
	v_cmp_ne_u64_e32 vcc, s[56:57], v[32:33]
                                        ; implicit-def: $vgpr39
	s_and_saveexec_b64 s[20:21], vcc
	s_xor_b64 s[88:89], exec, s[20:21]
	s_cbranch_execz .LBB2_989
; %bb.976:                              ;   in Loop: Header=BB2_939 Depth=2
	v_and_b32_e32 v32, 0x7fffffff, v4
	v_cmp_gt_u64_e32 vcc, s[58:59], v[32:33]
	v_and_b32_sdwa v1, v4, s53 dst_sel:DWORD dst_unused:UNUSED_PAD src0_sel:BYTE_3 src1_sel:DWORD
                                        ; implicit-def: $vgpr39
	s_and_saveexec_b64 s[20:21], vcc
	s_xor_b64 s[90:91], exec, s[20:21]
	s_cbranch_execz .LBB2_986
; %bb.977:                              ;   in Loop: Header=BB2_939 Depth=2
	v_mov_b32_e32 v39, 0
	v_cmp_ne_u32_e32 vcc, 0, v4
	s_and_saveexec_b64 s[92:93], vcc
	s_cbranch_execz .LBB2_985
; %bb.978:                              ;   in Loop: Header=BB2_939 Depth=2
	v_and_b32_e32 v6, 0x7fffff, v4
	v_bfe_u32 v4, v4, 23, 8
	v_cmp_gt_u32_e64 s[20:21], s54, v4
	v_sub_u32_e32 v5, 0x79, v4
	v_cmp_eq_u32_e32 vcc, 0, v4
	v_cndmask_b32_e64 v5, 0, v5, s[20:21]
	v_or_b32_e32 v7, 0x800000, v6
	v_cndmask_b32_e32 v5, v5, v47, vcc
	v_cndmask_b32_e32 v32, v7, v6, vcc
	v_add_u32_e32 v6, 20, v5
	v_lshlrev_b64 v[6:7], v6, -1
	v_add_u32_e32 v8, 19, v5
	v_lshlrev_b64 v[8:9], v8, 1
	v_lshrrev_b64 v[40:41], v5, v[32:33]
	v_bfi_b32 v7, v7, 0, 0
	v_bfi_b32 v6, v6, 0, v32
	v_cmp_eq_u64_e64 s[20:21], v[6:7], v[8:9]
	v_mov_b32_e32 v42, v41
	v_mov_b32_e32 v41, v40
	s_and_saveexec_b64 s[94:95], s[20:21]
; %bb.979:                              ;   in Loop: Header=BB2_939 Depth=2
	v_bfe_u32 v6, v40, 20, 1
	v_add_co_u32_e64 v6, s[20:21], v40, v6
	v_add_co_u32_e64 v41, s[20:21], -1, v6
; %bb.980:                              ;   in Loop: Header=BB2_939 Depth=2
	s_or_b64 exec, exec, s[94:95]
	v_add_u32_e32 v4, 0xffffff81, v4
	v_cndmask_b32_e32 v4, v4, v44, vcc
	v_lshrrev_b32_e32 v6, 23, v40
	v_add3_u32 v6, v5, v4, v6
	v_add_u32_e32 v5, 6, v6
	v_and_b32_e32 v4, 0xfffff, v41
	v_add_u32_e32 v32, v4, v40
	v_cmp_ne_u32_e32 vcc, 0, v5
                                        ; implicit-def: $vgpr40_vgpr41
                                        ; implicit-def: $vgpr4
	s_and_saveexec_b64 s[20:21], vcc
	s_xor_b64 s[20:21], exec, s[20:21]
; %bb.981:                              ;   in Loop: Header=BB2_939 Depth=2
	v_cmp_lt_u64_e32 vcc, s[60:61], v[32:33]
	v_add_u32_e32 v4, 7, v6
	v_cndmask_b32_e32 v4, v5, v4, vcc
	v_cndmask_b32_e64 v5, 0, 1, vcc
	v_lshrrev_b64 v[40:41], v5, v[32:33]
; %bb.982:                              ;   in Loop: Header=BB2_939 Depth=2
	s_andn2_saveexec_b64 s[20:21], s[20:21]
; %bb.983:                              ;   in Loop: Header=BB2_939 Depth=2
	v_mov_b32_e32 v41, v33
	v_bfe_u32 v4, v32, 23, 1
	v_mov_b32_e32 v40, v32
; %bb.984:                              ;   in Loop: Header=BB2_939 Depth=2
	s_or_b64 exec, exec, s[20:21]
	v_lshrrev_b64 v[5:6], 20, v[40:41]
	v_cmp_gt_i32_e32 vcc, 16, v4
	v_cndmask_b32_e32 v6, 0, v6, vcc
	v_cndmask_b32_e32 v5, 7, v5, vcc
	v_cmp_eq_u32_e32 vcc, 0, v4
	v_min_i32_e32 v4, 15, v4
	v_cmp_eq_u64_e64 s[20:21], 0, v[5:6]
	v_lshlrev_b32_e32 v4, 3, v4
	v_and_b32_e32 v4, 0xf8, v4
	v_and_or_b32 v4, v5, 7, v4
	s_and_b64 s[20:21], vcc, s[20:21]
	v_cndmask_b32_e64 v4, v4, 0, s[20:21]
	v_or_b32_e32 v39, v4, v1
.LBB2_985:                              ;   in Loop: Header=BB2_939 Depth=2
	s_or_b64 exec, exec, s[92:93]
                                        ; implicit-def: $vgpr1
.LBB2_986:                              ;   in Loop: Header=BB2_939 Depth=2
	s_andn2_saveexec_b64 s[20:21], s[90:91]
; %bb.987:                              ;   in Loop: Header=BB2_939 Depth=2
	v_or_b32_e32 v39, 0x7e, v1
; %bb.988:                              ;   in Loop: Header=BB2_939 Depth=2
	s_or_b64 exec, exec, s[20:21]
                                        ; implicit-def: $vgpr4
.LBB2_989:                              ;   in Loop: Header=BB2_939 Depth=2
	s_andn2_saveexec_b64 s[20:21], s[88:89]
; %bb.990:                              ;   in Loop: Header=BB2_939 Depth=2
	v_or_b32_sdwa v39, v4, s51 dst_sel:DWORD dst_unused:UNUSED_PAD src0_sel:BYTE_3 src1_sel:DWORD
; %bb.991:                              ;   in Loop: Header=BB2_939 Depth=2
	s_or_b64 exec, exec, s[20:21]
	v_lshrrev_b32_e32 v30, 16, v10
	v_cmp_ne_u16_sdwa s[88:89], v30, v33 src0_sel:BYTE_0 src1_sel:DWORD
	v_mov_b32_e32 v1, 0
	s_and_saveexec_b64 s[20:21], s[88:89]
	s_cbranch_execz .LBB2_997
; %bb.992:                              ;   in Loop: Header=BB2_939 Depth=2
	v_cmp_ne_u16_sdwa s[90:91], v30, s53 src0_sel:BYTE_0 src1_sel:DWORD
	v_bfrev_b32_e32 v1, 1
	s_and_saveexec_b64 s[88:89], s[90:91]
	s_cbranch_execz .LBB2_996
; %bb.993:                              ;   in Loop: Header=BB2_939 Depth=2
	v_bfe_u32 v4, v10, 16, 7
	v_cmp_ne_u32_e32 vcc, s51, v4
	v_mov_b32_e32 v1, 0x7f800001
	s_and_saveexec_b64 s[90:91], vcc
	s_cbranch_execz .LBB2_995
; %bb.994:                              ;   in Loop: Header=BB2_939 Depth=2
	v_and_b32_e32 v1, 7, v30
	v_lshrrev_b32_e32 v6, 3, v4
	v_cmp_gt_u32_e32 vcc, 8, v4
	v_ffbh_u32_e32 v4, v1
	v_min_u32_e32 v7, 32, v4
	v_subrev_u32_e32 v4, 28, v7
	v_lshlrev_b64 v[4:5], v4, v[30:31]
	v_sub_u32_e32 v5, 29, v7
	v_and_b32_e32 v4, 7, v4
	v_cndmask_b32_e32 v5, v6, v5, vcc
	v_cndmask_b32_e32 v1, v1, v4, vcc
	v_lshlrev_b32_e32 v4, 24, v30
	v_lshlrev_b32_e32 v1, 20, v1
	v_and_b32_e32 v4, 0x80000000, v4
	v_lshl_add_u32 v5, v5, 23, v3
	v_or3_b32 v1, v4, v5, v1
.LBB2_995:                              ;   in Loop: Header=BB2_939 Depth=2
	s_or_b64 exec, exec, s[90:91]
.LBB2_996:                              ;   in Loop: Header=BB2_939 Depth=2
	s_or_b64 exec, exec, s[88:89]
.LBB2_997:                              ;   in Loop: Header=BB2_939 Depth=2
	s_or_b64 exec, exec, s[20:21]
	v_mul_f32_e32 v4, v14, v1
	v_and_b32_e32 v32, 0x7f800000, v4
	v_cmp_ne_u64_e32 vcc, s[56:57], v[32:33]
                                        ; implicit-def: $vgpr49
	s_and_saveexec_b64 s[20:21], vcc
	s_xor_b64 s[88:89], exec, s[20:21]
	s_cbranch_execz .LBB2_1011
; %bb.998:                              ;   in Loop: Header=BB2_939 Depth=2
	v_and_b32_e32 v32, 0x7fffffff, v4
	v_cmp_gt_u64_e32 vcc, s[58:59], v[32:33]
	v_and_b32_sdwa v1, v4, s53 dst_sel:DWORD dst_unused:UNUSED_PAD src0_sel:BYTE_3 src1_sel:DWORD
                                        ; implicit-def: $vgpr49
	s_and_saveexec_b64 s[20:21], vcc
	s_xor_b64 s[90:91], exec, s[20:21]
	s_cbranch_execz .LBB2_1008
; %bb.999:                              ;   in Loop: Header=BB2_939 Depth=2
	v_mov_b32_e32 v49, 0
	v_cmp_ne_u32_e32 vcc, 0, v4
	s_and_saveexec_b64 s[92:93], vcc
	s_cbranch_execz .LBB2_1007
; %bb.1000:                             ;   in Loop: Header=BB2_939 Depth=2
	v_and_b32_e32 v6, 0x7fffff, v4
	v_bfe_u32 v4, v4, 23, 8
	v_cmp_gt_u32_e64 s[20:21], s54, v4
	v_sub_u32_e32 v5, 0x79, v4
	v_cmp_eq_u32_e32 vcc, 0, v4
	v_cndmask_b32_e64 v5, 0, v5, s[20:21]
	v_or_b32_e32 v7, 0x800000, v6
	v_cndmask_b32_e32 v5, v5, v47, vcc
	v_cndmask_b32_e32 v32, v7, v6, vcc
	v_add_u32_e32 v6, 20, v5
	v_lshlrev_b64 v[6:7], v6, -1
	v_add_u32_e32 v8, 19, v5
	v_lshlrev_b64 v[8:9], v8, 1
	v_lshrrev_b64 v[40:41], v5, v[32:33]
	v_bfi_b32 v7, v7, 0, 0
	v_bfi_b32 v6, v6, 0, v32
	v_cmp_eq_u64_e64 s[20:21], v[6:7], v[8:9]
	v_mov_b32_e32 v42, v41
	v_mov_b32_e32 v41, v40
	s_and_saveexec_b64 s[94:95], s[20:21]
; %bb.1001:                             ;   in Loop: Header=BB2_939 Depth=2
	v_bfe_u32 v6, v40, 20, 1
	v_add_co_u32_e64 v6, s[20:21], v40, v6
	v_add_co_u32_e64 v41, s[20:21], -1, v6
; %bb.1002:                             ;   in Loop: Header=BB2_939 Depth=2
	s_or_b64 exec, exec, s[94:95]
	v_add_u32_e32 v4, 0xffffff81, v4
	v_cndmask_b32_e32 v4, v4, v44, vcc
	v_lshrrev_b32_e32 v6, 23, v40
	v_add3_u32 v6, v5, v4, v6
	v_add_u32_e32 v5, 6, v6
	v_and_b32_e32 v4, 0xfffff, v41
	v_add_u32_e32 v32, v4, v40
	v_cmp_ne_u32_e32 vcc, 0, v5
                                        ; implicit-def: $vgpr40_vgpr41
                                        ; implicit-def: $vgpr4
	s_and_saveexec_b64 s[20:21], vcc
	s_xor_b64 s[20:21], exec, s[20:21]
; %bb.1003:                             ;   in Loop: Header=BB2_939 Depth=2
	v_cmp_lt_u64_e32 vcc, s[60:61], v[32:33]
	v_add_u32_e32 v4, 7, v6
	v_cndmask_b32_e32 v4, v5, v4, vcc
	v_cndmask_b32_e64 v5, 0, 1, vcc
	v_lshrrev_b64 v[40:41], v5, v[32:33]
; %bb.1004:                             ;   in Loop: Header=BB2_939 Depth=2
	s_andn2_saveexec_b64 s[20:21], s[20:21]
; %bb.1005:                             ;   in Loop: Header=BB2_939 Depth=2
	v_mov_b32_e32 v41, v33
	v_bfe_u32 v4, v32, 23, 1
	v_mov_b32_e32 v40, v32
; %bb.1006:                             ;   in Loop: Header=BB2_939 Depth=2
	s_or_b64 exec, exec, s[20:21]
	v_lshrrev_b64 v[5:6], 20, v[40:41]
	v_cmp_gt_i32_e32 vcc, 16, v4
	v_cndmask_b32_e32 v6, 0, v6, vcc
	v_cndmask_b32_e32 v5, 7, v5, vcc
	v_cmp_eq_u32_e32 vcc, 0, v4
	v_min_i32_e32 v4, 15, v4
	v_cmp_eq_u64_e64 s[20:21], 0, v[5:6]
	v_lshlrev_b32_e32 v4, 3, v4
	v_and_b32_e32 v4, 0xf8, v4
	v_and_or_b32 v4, v5, 7, v4
	s_and_b64 s[20:21], vcc, s[20:21]
	v_cndmask_b32_e64 v4, v4, 0, s[20:21]
	v_or_b32_e32 v49, v4, v1
.LBB2_1007:                             ;   in Loop: Header=BB2_939 Depth=2
	s_or_b64 exec, exec, s[92:93]
                                        ; implicit-def: $vgpr1
.LBB2_1008:                             ;   in Loop: Header=BB2_939 Depth=2
	s_andn2_saveexec_b64 s[20:21], s[90:91]
; %bb.1009:                             ;   in Loop: Header=BB2_939 Depth=2
	v_or_b32_e32 v49, 0x7e, v1
; %bb.1010:                             ;   in Loop: Header=BB2_939 Depth=2
	s_or_b64 exec, exec, s[20:21]
                                        ; implicit-def: $vgpr4
.LBB2_1011:                             ;   in Loop: Header=BB2_939 Depth=2
	s_andn2_saveexec_b64 s[20:21], s[88:89]
; %bb.1012:                             ;   in Loop: Header=BB2_939 Depth=2
	v_or_b32_sdwa v49, v4, s51 dst_sel:DWORD dst_unused:UNUSED_PAD src0_sel:BYTE_3 src1_sel:DWORD
; %bb.1013:                             ;   in Loop: Header=BB2_939 Depth=2
	s_or_b64 exec, exec, s[20:21]
	v_cmp_lt_u32_e32 vcc, s63, v10
	v_mov_b32_e32 v1, 0
	s_and_saveexec_b64 s[20:21], vcc
	s_cbranch_execz .LBB2_1019
; %bb.1014:                             ;   in Loop: Header=BB2_939 Depth=2
	v_lshrrev_b32_e32 v30, 24, v10
	v_cmp_ne_u32_e32 vcc, s53, v30
	v_bfrev_b32_e32 v1, 1
	s_and_saveexec_b64 s[88:89], vcc
	s_cbranch_execz .LBB2_1018
; %bb.1015:                             ;   in Loop: Header=BB2_939 Depth=2
	v_bfe_u32 v4, v10, 24, 7
	v_cmp_ne_u32_e32 vcc, s51, v4
	v_mov_b32_e32 v1, 0x7f800001
	s_and_saveexec_b64 s[90:91], vcc
	s_cbranch_execz .LBB2_1017
; %bb.1016:                             ;   in Loop: Header=BB2_939 Depth=2
	v_and_b32_e32 v1, 7, v30
	v_lshrrev_b32_e32 v6, 3, v4
	v_cmp_gt_u32_e32 vcc, 8, v4
	v_ffbh_u32_e32 v4, v1
	v_min_u32_e32 v7, 32, v4
	v_subrev_u32_e32 v4, 28, v7
	v_lshlrev_b64 v[4:5], v4, v[30:31]
	v_sub_u32_e32 v5, 29, v7
	v_and_b32_e32 v4, 7, v4
	v_cndmask_b32_e32 v5, v6, v5, vcc
	v_cndmask_b32_e32 v1, v1, v4, vcc
	v_lshlrev_b32_e32 v4, 24, v30
	v_lshlrev_b32_e32 v1, 20, v1
	v_and_b32_e32 v4, 0x80000000, v4
	v_lshl_add_u32 v5, v5, 23, v3
	v_or3_b32 v1, v4, v5, v1
.LBB2_1017:                             ;   in Loop: Header=BB2_939 Depth=2
	s_or_b64 exec, exec, s[90:91]
.LBB2_1018:                             ;   in Loop: Header=BB2_939 Depth=2
	s_or_b64 exec, exec, s[88:89]
.LBB2_1019:                             ;   in Loop: Header=BB2_939 Depth=2
	s_or_b64 exec, exec, s[20:21]
	v_mul_f32_e32 v4, v14, v1
	v_and_b32_e32 v32, 0x7f800000, v4
	v_cmp_ne_u64_e32 vcc, s[56:57], v[32:33]
                                        ; implicit-def: $vgpr46
	s_and_saveexec_b64 s[20:21], vcc
	s_xor_b64 s[88:89], exec, s[20:21]
	s_cbranch_execz .LBB2_1033
; %bb.1020:                             ;   in Loop: Header=BB2_939 Depth=2
	v_and_b32_e32 v32, 0x7fffffff, v4
	v_cmp_gt_u64_e32 vcc, s[58:59], v[32:33]
	v_and_b32_sdwa v1, v4, s53 dst_sel:DWORD dst_unused:UNUSED_PAD src0_sel:BYTE_3 src1_sel:DWORD
                                        ; implicit-def: $vgpr46
	s_and_saveexec_b64 s[20:21], vcc
	s_xor_b64 s[90:91], exec, s[20:21]
	s_cbranch_execz .LBB2_1030
; %bb.1021:                             ;   in Loop: Header=BB2_939 Depth=2
	v_mov_b32_e32 v46, 0
	v_cmp_ne_u32_e32 vcc, 0, v4
	s_and_saveexec_b64 s[92:93], vcc
	s_cbranch_execz .LBB2_1029
; %bb.1022:                             ;   in Loop: Header=BB2_939 Depth=2
	v_and_b32_e32 v6, 0x7fffff, v4
	v_bfe_u32 v4, v4, 23, 8
	v_cmp_gt_u32_e64 s[20:21], s54, v4
	v_sub_u32_e32 v5, 0x79, v4
	v_cmp_eq_u32_e32 vcc, 0, v4
	v_cndmask_b32_e64 v5, 0, v5, s[20:21]
	v_or_b32_e32 v7, 0x800000, v6
	v_cndmask_b32_e32 v5, v5, v47, vcc
	v_cndmask_b32_e32 v32, v7, v6, vcc
	v_add_u32_e32 v6, 20, v5
	v_lshlrev_b64 v[6:7], v6, -1
	v_add_u32_e32 v8, 19, v5
	v_lshlrev_b64 v[8:9], v8, 1
	v_lshrrev_b64 v[40:41], v5, v[32:33]
	v_bfi_b32 v7, v7, 0, 0
	v_bfi_b32 v6, v6, 0, v32
	v_cmp_eq_u64_e64 s[20:21], v[6:7], v[8:9]
	v_mov_b32_e32 v42, v41
	v_mov_b32_e32 v41, v40
	s_and_saveexec_b64 s[94:95], s[20:21]
; %bb.1023:                             ;   in Loop: Header=BB2_939 Depth=2
	v_bfe_u32 v6, v40, 20, 1
	v_add_co_u32_e64 v6, s[20:21], v40, v6
	v_add_co_u32_e64 v41, s[20:21], -1, v6
; %bb.1024:                             ;   in Loop: Header=BB2_939 Depth=2
	s_or_b64 exec, exec, s[94:95]
	v_add_u32_e32 v4, 0xffffff81, v4
	v_cndmask_b32_e32 v4, v4, v44, vcc
	v_lshrrev_b32_e32 v6, 23, v40
	v_add3_u32 v6, v5, v4, v6
	v_add_u32_e32 v5, 6, v6
	v_and_b32_e32 v4, 0xfffff, v41
	v_add_u32_e32 v32, v4, v40
	v_cmp_ne_u32_e32 vcc, 0, v5
                                        ; implicit-def: $vgpr40_vgpr41
                                        ; implicit-def: $vgpr4
	s_and_saveexec_b64 s[20:21], vcc
	s_xor_b64 s[20:21], exec, s[20:21]
; %bb.1025:                             ;   in Loop: Header=BB2_939 Depth=2
	v_cmp_lt_u64_e32 vcc, s[60:61], v[32:33]
	v_add_u32_e32 v4, 7, v6
	v_cndmask_b32_e32 v4, v5, v4, vcc
	v_cndmask_b32_e64 v5, 0, 1, vcc
	v_lshrrev_b64 v[40:41], v5, v[32:33]
; %bb.1026:                             ;   in Loop: Header=BB2_939 Depth=2
	s_andn2_saveexec_b64 s[20:21], s[20:21]
; %bb.1027:                             ;   in Loop: Header=BB2_939 Depth=2
	v_mov_b32_e32 v41, v33
	v_bfe_u32 v4, v32, 23, 1
	v_mov_b32_e32 v40, v32
; %bb.1028:                             ;   in Loop: Header=BB2_939 Depth=2
	s_or_b64 exec, exec, s[20:21]
	v_lshrrev_b64 v[5:6], 20, v[40:41]
	v_cmp_gt_i32_e32 vcc, 16, v4
	v_cndmask_b32_e32 v6, 0, v6, vcc
	v_cndmask_b32_e32 v5, 7, v5, vcc
	v_cmp_eq_u32_e32 vcc, 0, v4
	v_min_i32_e32 v4, 15, v4
	v_cmp_eq_u64_e64 s[20:21], 0, v[5:6]
	v_lshlrev_b32_e32 v4, 3, v4
	v_and_b32_e32 v4, 0xf8, v4
	v_and_or_b32 v4, v5, 7, v4
	s_and_b64 s[20:21], vcc, s[20:21]
	v_cndmask_b32_e64 v4, v4, 0, s[20:21]
	v_or_b32_e32 v46, v4, v1
.LBB2_1029:                             ;   in Loop: Header=BB2_939 Depth=2
	s_or_b64 exec, exec, s[92:93]
                                        ; implicit-def: $vgpr1
.LBB2_1030:                             ;   in Loop: Header=BB2_939 Depth=2
	s_andn2_saveexec_b64 s[20:21], s[90:91]
; %bb.1031:                             ;   in Loop: Header=BB2_939 Depth=2
	v_or_b32_e32 v46, 0x7e, v1
; %bb.1032:                             ;   in Loop: Header=BB2_939 Depth=2
	s_or_b64 exec, exec, s[20:21]
                                        ; implicit-def: $vgpr4
.LBB2_1033:                             ;   in Loop: Header=BB2_939 Depth=2
	s_andn2_saveexec_b64 s[20:21], s[88:89]
; %bb.1034:                             ;   in Loop: Header=BB2_939 Depth=2
	v_or_b32_sdwa v46, v4, s51 dst_sel:DWORD dst_unused:UNUSED_PAD src0_sel:BYTE_3 src1_sel:DWORD
; %bb.1035:                             ;   in Loop: Header=BB2_939 Depth=2
	s_or_b64 exec, exec, s[20:21]
	v_mov_b32_e32 v32, v11
	v_cmp_ne_u16_sdwa s[88:89], v11, v33 src0_sel:BYTE_0 src1_sel:DWORD
	v_mov_b32_e32 v1, 0
	s_and_saveexec_b64 s[20:21], s[88:89]
	s_cbranch_execz .LBB2_1041
; %bb.1036:                             ;   in Loop: Header=BB2_939 Depth=2
	v_cmp_ne_u16_sdwa s[90:91], v11, s53 src0_sel:BYTE_0 src1_sel:DWORD
	v_bfrev_b32_e32 v1, 1
	s_and_saveexec_b64 s[88:89], s[90:91]
	s_cbranch_execz .LBB2_1040
; %bb.1037:                             ;   in Loop: Header=BB2_939 Depth=2
	v_and_b32_e32 v4, 0x7f, v11
	v_cmp_ne_u32_e32 vcc, s51, v4
	v_mov_b32_e32 v1, 0x7f800001
	s_and_saveexec_b64 s[90:91], vcc
	s_cbranch_execz .LBB2_1039
; %bb.1038:                             ;   in Loop: Header=BB2_939 Depth=2
	v_and_b32_e32 v1, 7, v11
	v_ffbh_u32_e32 v1, v1
	v_min_u32_e32 v1, 32, v1
	v_lshrrev_b32_e32 v5, 3, v4
	v_cmp_gt_u32_e32 vcc, 8, v4
	v_subrev_u32_e32 v4, 28, v1
	v_sub_u32_e32 v1, 29, v1
	v_cndmask_b32_e32 v4, 0, v4, vcc
	v_cndmask_b32_e32 v1, v5, v1, vcc
	v_lshlrev_b64 v[4:5], v4, v[32:33]
	v_lshlrev_b32_e32 v5, 24, v32
	v_lshlrev_b32_e32 v4, 20, v4
	v_and_b32_e32 v4, 0x700000, v4
	v_and_b32_e32 v5, 0x80000000, v5
	v_lshl_add_u32 v1, v1, 23, v3
	v_or3_b32 v1, v5, v1, v4
.LBB2_1039:                             ;   in Loop: Header=BB2_939 Depth=2
	s_or_b64 exec, exec, s[90:91]
.LBB2_1040:                             ;   in Loop: Header=BB2_939 Depth=2
	s_or_b64 exec, exec, s[88:89]
.LBB2_1041:                             ;   in Loop: Header=BB2_939 Depth=2
	s_or_b64 exec, exec, s[20:21]
	v_mul_f32_e32 v4, v14, v1
	v_and_b32_e32 v5, 0x7f800000, v4
	v_mov_b32_e32 v6, v33
	v_cmp_ne_u64_e32 vcc, s[56:57], v[5:6]
                                        ; implicit-def: $vgpr29
	s_and_saveexec_b64 s[20:21], vcc
	s_xor_b64 s[88:89], exec, s[20:21]
	s_cbranch_execz .LBB2_1055
; %bb.1042:                             ;   in Loop: Header=BB2_939 Depth=2
	v_and_b32_e32 v5, 0x7fffffff, v4
	v_mov_b32_e32 v6, v33
	v_cmp_gt_u64_e32 vcc, s[58:59], v[5:6]
	v_and_b32_sdwa v1, v4, s53 dst_sel:DWORD dst_unused:UNUSED_PAD src0_sel:BYTE_3 src1_sel:DWORD
                                        ; implicit-def: $vgpr29
	s_and_saveexec_b64 s[20:21], vcc
	s_xor_b64 s[90:91], exec, s[20:21]
	s_cbranch_execz .LBB2_1052
; %bb.1043:                             ;   in Loop: Header=BB2_939 Depth=2
	v_mov_b32_e32 v29, 0
	v_cmp_ne_u32_e32 vcc, 0, v4
	s_and_saveexec_b64 s[92:93], vcc
	s_cbranch_execz .LBB2_1051
; %bb.1044:                             ;   in Loop: Header=BB2_939 Depth=2
	v_and_b32_e32 v6, 0x7fffff, v4
	v_bfe_u32 v4, v4, 23, 8
	v_cmp_gt_u32_e64 s[20:21], s54, v4
	v_sub_u32_e32 v5, 0x79, v4
	v_cmp_eq_u32_e32 vcc, 0, v4
	v_cndmask_b32_e64 v5, 0, v5, s[20:21]
	v_cndmask_b32_e32 v5, v5, v47, vcc
	v_or_b32_e32 v7, 0x800000, v6
	v_add_u32_e32 v8, 20, v5
	v_cndmask_b32_e32 v6, v7, v6, vcc
	v_mov_b32_e32 v7, v33
	v_lshlrev_b64 v[8:9], v8, -1
	v_add_u32_e32 v15, 19, v5
	v_lshlrev_b64 v[20:21], v15, 1
	v_lshrrev_b64 v[40:41], v5, v[6:7]
	v_bfi_b32 v9, v9, 0, 0
	v_bfi_b32 v8, v8, 0, v6
	v_cmp_eq_u64_e64 s[20:21], v[8:9], v[20:21]
	v_mov_b32_e32 v42, v41
	v_mov_b32_e32 v41, v40
	s_and_saveexec_b64 s[94:95], s[20:21]
; %bb.1045:                             ;   in Loop: Header=BB2_939 Depth=2
	v_bfe_u32 v6, v40, 20, 1
	v_add_co_u32_e64 v6, s[20:21], v40, v6
	v_add_co_u32_e64 v41, s[20:21], -1, v6
; %bb.1046:                             ;   in Loop: Header=BB2_939 Depth=2
	s_or_b64 exec, exec, s[94:95]
	v_add_u32_e32 v4, 0xffffff81, v4
	v_cndmask_b32_e32 v4, v4, v44, vcc
	v_lshrrev_b32_e32 v6, 23, v40
	v_add3_u32 v6, v5, v4, v6
	v_add_u32_e32 v5, 6, v6
	v_and_b32_e32 v4, 0xfffff, v41
	v_add_u32_e32 v40, v4, v40
	v_mov_b32_e32 v41, v33
	v_cmp_ne_u32_e32 vcc, 0, v5
                                        ; implicit-def: $vgpr4
	s_and_saveexec_b64 s[20:21], vcc
	s_xor_b64 s[20:21], exec, s[20:21]
; %bb.1047:                             ;   in Loop: Header=BB2_939 Depth=2
	v_cmp_lt_u64_e32 vcc, s[60:61], v[40:41]
	v_add_u32_e32 v4, 7, v6
	v_cndmask_b32_e32 v4, v5, v4, vcc
	v_cndmask_b32_e64 v5, 0, 1, vcc
	v_lshrrev_b64 v[40:41], v5, v[40:41]
; %bb.1048:                             ;   in Loop: Header=BB2_939 Depth=2
	s_andn2_saveexec_b64 s[20:21], s[20:21]
; %bb.1049:                             ;   in Loop: Header=BB2_939 Depth=2
	v_bfe_u32 v4, v40, 23, 1
; %bb.1050:                             ;   in Loop: Header=BB2_939 Depth=2
	s_or_b64 exec, exec, s[20:21]
	v_lshrrev_b64 v[5:6], 20, v[40:41]
	v_cmp_gt_i32_e32 vcc, 16, v4
	v_cndmask_b32_e32 v6, 0, v6, vcc
	v_cndmask_b32_e32 v5, 7, v5, vcc
	v_cmp_eq_u32_e32 vcc, 0, v4
	v_min_i32_e32 v4, 15, v4
	v_cmp_eq_u64_e64 s[20:21], 0, v[5:6]
	v_lshlrev_b32_e32 v4, 3, v4
	v_and_b32_e32 v4, 0xf8, v4
	v_and_or_b32 v4, v5, 7, v4
	s_and_b64 s[20:21], vcc, s[20:21]
	v_cndmask_b32_e64 v4, v4, 0, s[20:21]
	v_or_b32_e32 v29, v4, v1
.LBB2_1051:                             ;   in Loop: Header=BB2_939 Depth=2
	s_or_b64 exec, exec, s[92:93]
                                        ; implicit-def: $vgpr1
.LBB2_1052:                             ;   in Loop: Header=BB2_939 Depth=2
	s_andn2_saveexec_b64 s[20:21], s[90:91]
; %bb.1053:                             ;   in Loop: Header=BB2_939 Depth=2
	v_or_b32_e32 v29, 0x7e, v1
; %bb.1054:                             ;   in Loop: Header=BB2_939 Depth=2
	s_or_b64 exec, exec, s[20:21]
                                        ; implicit-def: $vgpr4
.LBB2_1055:                             ;   in Loop: Header=BB2_939 Depth=2
	s_andn2_saveexec_b64 s[20:21], s[88:89]
; %bb.1056:                             ;   in Loop: Header=BB2_939 Depth=2
	v_or_b32_sdwa v29, v4, s51 dst_sel:DWORD dst_unused:UNUSED_PAD src0_sel:BYTE_3 src1_sel:DWORD
; %bb.1057:                             ;   in Loop: Header=BB2_939 Depth=2
	s_or_b64 exec, exec, s[20:21]
	v_lshrrev_b16_e32 v30, 8, v32
	v_cmp_ne_u16_e32 vcc, 0, v30
	v_mov_b32_e32 v1, 0
	s_and_saveexec_b64 s[20:21], vcc
	s_cbranch_execz .LBB2_1063
; %bb.1058:                             ;   in Loop: Header=BB2_939 Depth=2
	v_cmp_ne_u16_e32 vcc, s53, v30
	v_bfrev_b32_e32 v1, 1
	s_and_saveexec_b64 s[88:89], vcc
	s_cbranch_execz .LBB2_1062
; %bb.1059:                             ;   in Loop: Header=BB2_939 Depth=2
	v_and_b32_e32 v4, 0x7f, v30
	v_cmp_ne_u32_e32 vcc, s51, v4
	v_mov_b32_e32 v1, 0x7f800001
	s_and_saveexec_b64 s[90:91], vcc
	s_cbranch_execz .LBB2_1061
; %bb.1060:                             ;   in Loop: Header=BB2_939 Depth=2
	v_and_b32_e32 v1, 7, v30
	v_lshrrev_b32_e32 v6, 3, v4
	v_cmp_gt_u32_e32 vcc, 8, v4
	v_ffbh_u32_e32 v4, v1
	v_min_u32_e32 v7, 32, v4
	v_subrev_u32_e32 v4, 28, v7
	v_lshlrev_b64 v[4:5], v4, v[30:31]
	v_sub_u32_e32 v5, 29, v7
	v_and_b32_e32 v4, 7, v4
	v_cndmask_b32_e32 v5, v6, v5, vcc
	v_cndmask_b32_e32 v1, v1, v4, vcc
	v_lshlrev_b32_e32 v4, 16, v32
	v_lshlrev_b32_e32 v1, 20, v1
	v_and_b32_e32 v4, 0x80000000, v4
	v_lshl_add_u32 v5, v5, 23, v3
	v_or3_b32 v1, v4, v5, v1
.LBB2_1061:                             ;   in Loop: Header=BB2_939 Depth=2
	s_or_b64 exec, exec, s[90:91]
.LBB2_1062:                             ;   in Loop: Header=BB2_939 Depth=2
	s_or_b64 exec, exec, s[88:89]
.LBB2_1063:                             ;   in Loop: Header=BB2_939 Depth=2
	s_or_b64 exec, exec, s[20:21]
	v_mul_f32_e32 v4, v14, v1
	v_and_b32_e32 v32, 0x7f800000, v4
	v_cmp_ne_u64_e32 vcc, s[56:57], v[32:33]
                                        ; implicit-def: $vgpr38
	s_and_saveexec_b64 s[20:21], vcc
	s_xor_b64 s[88:89], exec, s[20:21]
	s_cbranch_execz .LBB2_1077
; %bb.1064:                             ;   in Loop: Header=BB2_939 Depth=2
	v_and_b32_e32 v32, 0x7fffffff, v4
	v_cmp_gt_u64_e32 vcc, s[58:59], v[32:33]
	v_and_b32_sdwa v1, v4, s53 dst_sel:DWORD dst_unused:UNUSED_PAD src0_sel:BYTE_3 src1_sel:DWORD
                                        ; implicit-def: $vgpr38
	s_and_saveexec_b64 s[20:21], vcc
	s_xor_b64 s[90:91], exec, s[20:21]
	s_cbranch_execz .LBB2_1074
; %bb.1065:                             ;   in Loop: Header=BB2_939 Depth=2
	v_mov_b32_e32 v38, 0
	v_cmp_ne_u32_e32 vcc, 0, v4
	s_and_saveexec_b64 s[92:93], vcc
	s_cbranch_execz .LBB2_1073
; %bb.1066:                             ;   in Loop: Header=BB2_939 Depth=2
	v_and_b32_e32 v6, 0x7fffff, v4
	v_bfe_u32 v4, v4, 23, 8
	v_cmp_gt_u32_e64 s[20:21], s54, v4
	v_sub_u32_e32 v5, 0x79, v4
	v_cmp_eq_u32_e32 vcc, 0, v4
	v_cndmask_b32_e64 v5, 0, v5, s[20:21]
	v_or_b32_e32 v7, 0x800000, v6
	v_cndmask_b32_e32 v5, v5, v47, vcc
	v_cndmask_b32_e32 v32, v7, v6, vcc
	v_add_u32_e32 v6, 20, v5
	v_lshlrev_b64 v[6:7], v6, -1
	v_add_u32_e32 v8, 19, v5
	v_lshlrev_b64 v[8:9], v8, 1
	v_lshrrev_b64 v[40:41], v5, v[32:33]
	v_bfi_b32 v7, v7, 0, 0
	v_bfi_b32 v6, v6, 0, v32
	v_cmp_eq_u64_e64 s[20:21], v[6:7], v[8:9]
	v_mov_b32_e32 v42, v41
	v_mov_b32_e32 v41, v40
	s_and_saveexec_b64 s[94:95], s[20:21]
; %bb.1067:                             ;   in Loop: Header=BB2_939 Depth=2
	v_bfe_u32 v6, v40, 20, 1
	v_add_co_u32_e64 v6, s[20:21], v40, v6
	v_add_co_u32_e64 v41, s[20:21], -1, v6
; %bb.1068:                             ;   in Loop: Header=BB2_939 Depth=2
	s_or_b64 exec, exec, s[94:95]
	v_add_u32_e32 v4, 0xffffff81, v4
	v_cndmask_b32_e32 v4, v4, v44, vcc
	v_lshrrev_b32_e32 v6, 23, v40
	v_add3_u32 v6, v5, v4, v6
	v_add_u32_e32 v5, 6, v6
	v_and_b32_e32 v4, 0xfffff, v41
	v_add_u32_e32 v32, v4, v40
	v_cmp_ne_u32_e32 vcc, 0, v5
                                        ; implicit-def: $vgpr40_vgpr41
                                        ; implicit-def: $vgpr4
	s_and_saveexec_b64 s[20:21], vcc
	s_xor_b64 s[20:21], exec, s[20:21]
; %bb.1069:                             ;   in Loop: Header=BB2_939 Depth=2
	v_cmp_lt_u64_e32 vcc, s[60:61], v[32:33]
	v_add_u32_e32 v4, 7, v6
	v_cndmask_b32_e32 v4, v5, v4, vcc
	v_cndmask_b32_e64 v5, 0, 1, vcc
	v_lshrrev_b64 v[40:41], v5, v[32:33]
; %bb.1070:                             ;   in Loop: Header=BB2_939 Depth=2
	s_andn2_saveexec_b64 s[20:21], s[20:21]
; %bb.1071:                             ;   in Loop: Header=BB2_939 Depth=2
	v_mov_b32_e32 v41, v33
	v_bfe_u32 v4, v32, 23, 1
	v_mov_b32_e32 v40, v32
; %bb.1072:                             ;   in Loop: Header=BB2_939 Depth=2
	s_or_b64 exec, exec, s[20:21]
	v_lshrrev_b64 v[5:6], 20, v[40:41]
	v_cmp_gt_i32_e32 vcc, 16, v4
	v_cndmask_b32_e32 v6, 0, v6, vcc
	v_cndmask_b32_e32 v5, 7, v5, vcc
	v_cmp_eq_u32_e32 vcc, 0, v4
	v_min_i32_e32 v4, 15, v4
	v_cmp_eq_u64_e64 s[20:21], 0, v[5:6]
	v_lshlrev_b32_e32 v4, 3, v4
	v_and_b32_e32 v4, 0xf8, v4
	v_and_or_b32 v4, v5, 7, v4
	s_and_b64 s[20:21], vcc, s[20:21]
	v_cndmask_b32_e64 v4, v4, 0, s[20:21]
	v_or_b32_e32 v38, v4, v1
.LBB2_1073:                             ;   in Loop: Header=BB2_939 Depth=2
	s_or_b64 exec, exec, s[92:93]
                                        ; implicit-def: $vgpr1
.LBB2_1074:                             ;   in Loop: Header=BB2_939 Depth=2
	s_andn2_saveexec_b64 s[20:21], s[90:91]
; %bb.1075:                             ;   in Loop: Header=BB2_939 Depth=2
	v_or_b32_e32 v38, 0x7e, v1
; %bb.1076:                             ;   in Loop: Header=BB2_939 Depth=2
	s_or_b64 exec, exec, s[20:21]
                                        ; implicit-def: $vgpr4
.LBB2_1077:                             ;   in Loop: Header=BB2_939 Depth=2
	s_andn2_saveexec_b64 s[20:21], s[88:89]
; %bb.1078:                             ;   in Loop: Header=BB2_939 Depth=2
	v_or_b32_sdwa v38, v4, s51 dst_sel:DWORD dst_unused:UNUSED_PAD src0_sel:BYTE_3 src1_sel:DWORD
; %bb.1079:                             ;   in Loop: Header=BB2_939 Depth=2
	s_or_b64 exec, exec, s[20:21]
	v_lshrrev_b32_e32 v30, 16, v11
	v_cmp_ne_u16_sdwa s[88:89], v30, v33 src0_sel:BYTE_0 src1_sel:DWORD
	v_mov_b32_e32 v1, 0
	s_and_saveexec_b64 s[20:21], s[88:89]
	s_cbranch_execz .LBB2_1085
; %bb.1080:                             ;   in Loop: Header=BB2_939 Depth=2
	v_cmp_ne_u16_sdwa s[90:91], v30, s53 src0_sel:BYTE_0 src1_sel:DWORD
	v_bfrev_b32_e32 v1, 1
	s_and_saveexec_b64 s[88:89], s[90:91]
	s_cbranch_execz .LBB2_1084
; %bb.1081:                             ;   in Loop: Header=BB2_939 Depth=2
	v_bfe_u32 v4, v11, 16, 7
	v_cmp_ne_u32_e32 vcc, s51, v4
	v_mov_b32_e32 v1, 0x7f800001
	s_and_saveexec_b64 s[90:91], vcc
	s_cbranch_execz .LBB2_1083
; %bb.1082:                             ;   in Loop: Header=BB2_939 Depth=2
	v_and_b32_e32 v1, 7, v30
	v_lshrrev_b32_e32 v6, 3, v4
	v_cmp_gt_u32_e32 vcc, 8, v4
	v_ffbh_u32_e32 v4, v1
	v_min_u32_e32 v7, 32, v4
	v_subrev_u32_e32 v4, 28, v7
	v_lshlrev_b64 v[4:5], v4, v[30:31]
	v_sub_u32_e32 v5, 29, v7
	v_and_b32_e32 v4, 7, v4
	v_cndmask_b32_e32 v5, v6, v5, vcc
	v_cndmask_b32_e32 v1, v1, v4, vcc
	v_lshlrev_b32_e32 v4, 24, v30
	v_lshlrev_b32_e32 v1, 20, v1
	v_and_b32_e32 v4, 0x80000000, v4
	v_lshl_add_u32 v5, v5, 23, v3
	v_or3_b32 v1, v4, v5, v1
.LBB2_1083:                             ;   in Loop: Header=BB2_939 Depth=2
	s_or_b64 exec, exec, s[90:91]
.LBB2_1084:                             ;   in Loop: Header=BB2_939 Depth=2
	s_or_b64 exec, exec, s[88:89]
.LBB2_1085:                             ;   in Loop: Header=BB2_939 Depth=2
	s_or_b64 exec, exec, s[20:21]
	v_mul_f32_e32 v4, v14, v1
	v_and_b32_e32 v32, 0x7f800000, v4
	v_cmp_ne_u64_e32 vcc, s[56:57], v[32:33]
                                        ; implicit-def: $vgpr43
	s_and_saveexec_b64 s[20:21], vcc
	s_xor_b64 s[88:89], exec, s[20:21]
	s_cbranch_execz .LBB2_1099
; %bb.1086:                             ;   in Loop: Header=BB2_939 Depth=2
	v_and_b32_e32 v32, 0x7fffffff, v4
	v_cmp_gt_u64_e32 vcc, s[58:59], v[32:33]
	v_and_b32_sdwa v1, v4, s53 dst_sel:DWORD dst_unused:UNUSED_PAD src0_sel:BYTE_3 src1_sel:DWORD
                                        ; implicit-def: $vgpr43
	s_and_saveexec_b64 s[20:21], vcc
	s_xor_b64 s[90:91], exec, s[20:21]
	s_cbranch_execz .LBB2_1096
; %bb.1087:                             ;   in Loop: Header=BB2_939 Depth=2
	v_mov_b32_e32 v43, 0
	v_cmp_ne_u32_e32 vcc, 0, v4
	s_and_saveexec_b64 s[92:93], vcc
	s_cbranch_execz .LBB2_1095
; %bb.1088:                             ;   in Loop: Header=BB2_939 Depth=2
	v_and_b32_e32 v6, 0x7fffff, v4
	v_bfe_u32 v4, v4, 23, 8
	v_cmp_gt_u32_e64 s[20:21], s54, v4
	v_sub_u32_e32 v5, 0x79, v4
	v_cmp_eq_u32_e32 vcc, 0, v4
	v_cndmask_b32_e64 v5, 0, v5, s[20:21]
	v_or_b32_e32 v7, 0x800000, v6
	v_cndmask_b32_e32 v5, v5, v47, vcc
	v_cndmask_b32_e32 v32, v7, v6, vcc
	v_add_u32_e32 v6, 20, v5
	v_lshlrev_b64 v[6:7], v6, -1
	v_add_u32_e32 v8, 19, v5
	v_lshlrev_b64 v[8:9], v8, 1
	v_lshrrev_b64 v[40:41], v5, v[32:33]
	v_bfi_b32 v7, v7, 0, 0
	v_bfi_b32 v6, v6, 0, v32
	v_cmp_eq_u64_e64 s[20:21], v[6:7], v[8:9]
	v_mov_b32_e32 v42, v41
	v_mov_b32_e32 v41, v40
	s_and_saveexec_b64 s[94:95], s[20:21]
; %bb.1089:                             ;   in Loop: Header=BB2_939 Depth=2
	v_bfe_u32 v6, v40, 20, 1
	v_add_co_u32_e64 v6, s[20:21], v40, v6
	v_add_co_u32_e64 v41, s[20:21], -1, v6
; %bb.1090:                             ;   in Loop: Header=BB2_939 Depth=2
	s_or_b64 exec, exec, s[94:95]
	v_add_u32_e32 v4, 0xffffff81, v4
	v_cndmask_b32_e32 v4, v4, v44, vcc
	v_lshrrev_b32_e32 v6, 23, v40
	v_add3_u32 v6, v5, v4, v6
	v_add_u32_e32 v5, 6, v6
	v_and_b32_e32 v4, 0xfffff, v41
	v_add_u32_e32 v32, v4, v40
	v_cmp_ne_u32_e32 vcc, 0, v5
                                        ; implicit-def: $vgpr40_vgpr41
                                        ; implicit-def: $vgpr4
	s_and_saveexec_b64 s[20:21], vcc
	s_xor_b64 s[20:21], exec, s[20:21]
; %bb.1091:                             ;   in Loop: Header=BB2_939 Depth=2
	v_cmp_lt_u64_e32 vcc, s[60:61], v[32:33]
	v_add_u32_e32 v4, 7, v6
	v_cndmask_b32_e32 v4, v5, v4, vcc
	v_cndmask_b32_e64 v5, 0, 1, vcc
	v_lshrrev_b64 v[40:41], v5, v[32:33]
; %bb.1092:                             ;   in Loop: Header=BB2_939 Depth=2
	s_andn2_saveexec_b64 s[20:21], s[20:21]
; %bb.1093:                             ;   in Loop: Header=BB2_939 Depth=2
	v_mov_b32_e32 v41, v33
	v_bfe_u32 v4, v32, 23, 1
	v_mov_b32_e32 v40, v32
; %bb.1094:                             ;   in Loop: Header=BB2_939 Depth=2
	s_or_b64 exec, exec, s[20:21]
	v_lshrrev_b64 v[5:6], 20, v[40:41]
	v_cmp_gt_i32_e32 vcc, 16, v4
	v_cndmask_b32_e32 v6, 0, v6, vcc
	v_cndmask_b32_e32 v5, 7, v5, vcc
	v_cmp_eq_u32_e32 vcc, 0, v4
	v_min_i32_e32 v4, 15, v4
	v_cmp_eq_u64_e64 s[20:21], 0, v[5:6]
	v_lshlrev_b32_e32 v4, 3, v4
	v_and_b32_e32 v4, 0xf8, v4
	v_and_or_b32 v4, v5, 7, v4
	s_and_b64 s[20:21], vcc, s[20:21]
	v_cndmask_b32_e64 v4, v4, 0, s[20:21]
	v_or_b32_e32 v43, v4, v1
.LBB2_1095:                             ;   in Loop: Header=BB2_939 Depth=2
	s_or_b64 exec, exec, s[92:93]
                                        ; implicit-def: $vgpr1
.LBB2_1096:                             ;   in Loop: Header=BB2_939 Depth=2
	s_andn2_saveexec_b64 s[20:21], s[90:91]
; %bb.1097:                             ;   in Loop: Header=BB2_939 Depth=2
	v_or_b32_e32 v43, 0x7e, v1
; %bb.1098:                             ;   in Loop: Header=BB2_939 Depth=2
	s_or_b64 exec, exec, s[20:21]
                                        ; implicit-def: $vgpr4
.LBB2_1099:                             ;   in Loop: Header=BB2_939 Depth=2
	s_andn2_saveexec_b64 s[20:21], s[88:89]
; %bb.1100:                             ;   in Loop: Header=BB2_939 Depth=2
	v_or_b32_sdwa v43, v4, s51 dst_sel:DWORD dst_unused:UNUSED_PAD src0_sel:BYTE_3 src1_sel:DWORD
; %bb.1101:                             ;   in Loop: Header=BB2_939 Depth=2
	s_or_b64 exec, exec, s[20:21]
	v_cmp_lt_u64_e32 vcc, s[62:63], v[10:11]
	v_mov_b32_e32 v1, 0
	s_and_saveexec_b64 s[20:21], vcc
	s_cbranch_execz .LBB2_1107
; %bb.1102:                             ;   in Loop: Header=BB2_939 Depth=2
	v_lshrrev_b32_e32 v10, 24, v11
	v_cmp_ne_u32_e32 vcc, s53, v10
	v_bfrev_b32_e32 v1, 1
	s_and_saveexec_b64 s[88:89], vcc
	s_cbranch_execz .LBB2_1106
; %bb.1103:                             ;   in Loop: Header=BB2_939 Depth=2
	v_bfe_u32 v4, v11, 24, 7
	v_cmp_ne_u32_e32 vcc, s51, v4
	v_mov_b32_e32 v1, 0x7f800001
	s_and_saveexec_b64 s[90:91], vcc
	s_cbranch_execz .LBB2_1105
; %bb.1104:                             ;   in Loop: Header=BB2_939 Depth=2
	v_and_b32_e32 v1, 7, v10
	v_lshrrev_b32_e32 v6, 3, v4
	v_cmp_gt_u32_e32 vcc, 8, v4
	v_ffbh_u32_e32 v4, v1
	v_min_u32_e32 v7, 32, v4
	v_subrev_u32_e32 v4, 28, v7
	v_lshlrev_b64 v[4:5], v4, v[10:11]
	v_sub_u32_e32 v5, 29, v7
	v_and_b32_e32 v4, 7, v4
	v_cndmask_b32_e32 v5, v6, v5, vcc
	v_cndmask_b32_e32 v1, v1, v4, vcc
	v_lshlrev_b32_e32 v4, 24, v10
	v_lshlrev_b32_e32 v1, 20, v1
	v_and_b32_e32 v4, 0x80000000, v4
	v_lshl_add_u32 v5, v5, 23, v3
	v_or3_b32 v1, v4, v5, v1
.LBB2_1105:                             ;   in Loop: Header=BB2_939 Depth=2
	s_or_b64 exec, exec, s[90:91]
.LBB2_1106:                             ;   in Loop: Header=BB2_939 Depth=2
	s_or_b64 exec, exec, s[88:89]
.LBB2_1107:                             ;   in Loop: Header=BB2_939 Depth=2
	s_or_b64 exec, exec, s[20:21]
	v_mul_f32_e32 v4, v14, v1
	v_and_b32_e32 v32, 0x7f800000, v4
	v_cmp_ne_u64_e32 vcc, s[56:57], v[32:33]
                                        ; implicit-def: $vgpr48
	s_and_saveexec_b64 s[20:21], vcc
	s_xor_b64 s[88:89], exec, s[20:21]
	s_cbranch_execz .LBB2_1121
; %bb.1108:                             ;   in Loop: Header=BB2_939 Depth=2
	v_and_b32_e32 v32, 0x7fffffff, v4
	v_cmp_gt_u64_e32 vcc, s[58:59], v[32:33]
	v_and_b32_sdwa v1, v4, s53 dst_sel:DWORD dst_unused:UNUSED_PAD src0_sel:BYTE_3 src1_sel:DWORD
                                        ; implicit-def: $vgpr48
	s_and_saveexec_b64 s[20:21], vcc
	s_xor_b64 s[90:91], exec, s[20:21]
	s_cbranch_execz .LBB2_1118
; %bb.1109:                             ;   in Loop: Header=BB2_939 Depth=2
	v_mov_b32_e32 v48, 0
	v_cmp_ne_u32_e32 vcc, 0, v4
	s_and_saveexec_b64 s[92:93], vcc
	s_cbranch_execz .LBB2_1117
; %bb.1110:                             ;   in Loop: Header=BB2_939 Depth=2
	v_and_b32_e32 v6, 0x7fffff, v4
	v_bfe_u32 v4, v4, 23, 8
	v_cmp_gt_u32_e64 s[20:21], s54, v4
	v_sub_u32_e32 v5, 0x79, v4
	v_cmp_eq_u32_e32 vcc, 0, v4
	v_cndmask_b32_e64 v5, 0, v5, s[20:21]
	v_or_b32_e32 v7, 0x800000, v6
	v_cndmask_b32_e32 v5, v5, v47, vcc
	v_cndmask_b32_e32 v32, v7, v6, vcc
	v_add_u32_e32 v6, 20, v5
	v_lshlrev_b64 v[6:7], v6, -1
	v_add_u32_e32 v8, 19, v5
	v_lshlrev_b64 v[8:9], v8, 1
	v_lshrrev_b64 v[10:11], v5, v[32:33]
	v_bfi_b32 v7, v7, 0, 0
	v_bfi_b32 v6, v6, 0, v32
	v_cmp_eq_u64_e64 s[20:21], v[6:7], v[8:9]
	v_mov_b32_e32 v41, v11
	v_mov_b32_e32 v40, v10
	s_and_saveexec_b64 s[94:95], s[20:21]
; %bb.1111:                             ;   in Loop: Header=BB2_939 Depth=2
	v_bfe_u32 v6, v10, 20, 1
	v_add_co_u32_e64 v6, s[20:21], v10, v6
	v_add_co_u32_e64 v40, s[20:21], -1, v6
; %bb.1112:                             ;   in Loop: Header=BB2_939 Depth=2
	s_or_b64 exec, exec, s[94:95]
	v_add_u32_e32 v4, 0xffffff81, v4
	v_cndmask_b32_e32 v4, v4, v44, vcc
	v_lshrrev_b32_e32 v6, 23, v10
	v_add3_u32 v6, v5, v4, v6
	v_add_u32_e32 v5, 6, v6
	v_and_b32_e32 v4, 0xfffff, v40
	v_add_u32_e32 v32, v4, v10
	v_cmp_ne_u32_e32 vcc, 0, v5
                                        ; implicit-def: $vgpr10_vgpr11
                                        ; implicit-def: $vgpr4
	s_and_saveexec_b64 s[20:21], vcc
	s_xor_b64 s[20:21], exec, s[20:21]
; %bb.1113:                             ;   in Loop: Header=BB2_939 Depth=2
	v_cmp_lt_u64_e32 vcc, s[60:61], v[32:33]
	v_add_u32_e32 v4, 7, v6
	v_cndmask_b32_e32 v4, v5, v4, vcc
	v_cndmask_b32_e64 v5, 0, 1, vcc
	v_lshrrev_b64 v[10:11], v5, v[32:33]
; %bb.1114:                             ;   in Loop: Header=BB2_939 Depth=2
	s_andn2_saveexec_b64 s[20:21], s[20:21]
; %bb.1115:                             ;   in Loop: Header=BB2_939 Depth=2
	v_mov_b32_e32 v10, v32
	v_bfe_u32 v4, v32, 23, 1
	v_mov_b32_e32 v11, v33
; %bb.1116:                             ;   in Loop: Header=BB2_939 Depth=2
	s_or_b64 exec, exec, s[20:21]
	v_lshrrev_b64 v[5:6], 20, v[10:11]
	v_cmp_gt_i32_e32 vcc, 16, v4
	v_cndmask_b32_e32 v6, 0, v6, vcc
	v_cndmask_b32_e32 v5, 7, v5, vcc
	v_cmp_eq_u32_e32 vcc, 0, v4
	v_min_i32_e32 v4, 15, v4
	v_cmp_eq_u64_e64 s[20:21], 0, v[5:6]
	v_lshlrev_b32_e32 v4, 3, v4
	v_and_b32_e32 v4, 0xf8, v4
	v_and_or_b32 v4, v5, 7, v4
	s_and_b64 s[20:21], vcc, s[20:21]
	v_cndmask_b32_e64 v4, v4, 0, s[20:21]
	v_or_b32_e32 v48, v4, v1
.LBB2_1117:                             ;   in Loop: Header=BB2_939 Depth=2
	s_or_b64 exec, exec, s[92:93]
                                        ; implicit-def: $vgpr1
.LBB2_1118:                             ;   in Loop: Header=BB2_939 Depth=2
	s_andn2_saveexec_b64 s[20:21], s[90:91]
; %bb.1119:                             ;   in Loop: Header=BB2_939 Depth=2
	v_or_b32_e32 v48, 0x7e, v1
; %bb.1120:                             ;   in Loop: Header=BB2_939 Depth=2
	s_or_b64 exec, exec, s[20:21]
                                        ; implicit-def: $vgpr4
.LBB2_1121:                             ;   in Loop: Header=BB2_939 Depth=2
	s_andn2_saveexec_b64 s[20:21], s[88:89]
; %bb.1122:                             ;   in Loop: Header=BB2_939 Depth=2
	v_or_b32_sdwa v48, v4, s51 dst_sel:DWORD dst_unused:UNUSED_PAD src0_sel:BYTE_3 src1_sel:DWORD
; %bb.1123:                             ;   in Loop: Header=BB2_939 Depth=2
	s_or_b64 exec, exec, s[20:21]
	v_cmp_ne_u16_sdwa s[88:89], v12, v33 src0_sel:BYTE_0 src1_sel:DWORD
	v_mov_b32_e32 v1, 0
	s_and_saveexec_b64 s[20:21], s[88:89]
	s_cbranch_execz .LBB2_1129
; %bb.1124:                             ;   in Loop: Header=BB2_939 Depth=2
	v_cmp_ne_u16_sdwa s[90:91], v12, s53 src0_sel:BYTE_0 src1_sel:DWORD
	v_bfrev_b32_e32 v1, 1
	s_and_saveexec_b64 s[88:89], s[90:91]
	s_cbranch_execz .LBB2_1128
; %bb.1125:                             ;   in Loop: Header=BB2_939 Depth=2
	v_and_b32_e32 v4, 0x7f, v12
	v_cmp_ne_u32_e32 vcc, s51, v4
	v_mov_b32_e32 v1, 0x7f800001
	s_and_saveexec_b64 s[90:91], vcc
	s_cbranch_execz .LBB2_1127
; %bb.1126:                             ;   in Loop: Header=BB2_939 Depth=2
	v_and_b32_e32 v1, 7, v12
	v_ffbh_u32_e32 v1, v1
	v_min_u32_e32 v1, 32, v1
	v_lshrrev_b32_e32 v5, 3, v4
	v_cmp_gt_u32_e32 vcc, 8, v4
	v_subrev_u32_e32 v4, 28, v1
	v_sub_u32_e32 v1, 29, v1
	v_cndmask_b32_e32 v4, 0, v4, vcc
	v_cndmask_b32_e32 v1, v5, v1, vcc
	v_lshlrev_b64 v[4:5], v4, v[12:13]
	v_lshlrev_b32_e32 v5, 24, v12
	v_lshlrev_b32_e32 v4, 20, v4
	v_and_b32_e32 v4, 0x700000, v4
	v_and_b32_e32 v5, 0x80000000, v5
	v_lshl_add_u32 v1, v1, 23, v3
	v_or3_b32 v1, v5, v1, v4
.LBB2_1127:                             ;   in Loop: Header=BB2_939 Depth=2
	s_or_b64 exec, exec, s[90:91]
.LBB2_1128:                             ;   in Loop: Header=BB2_939 Depth=2
	s_or_b64 exec, exec, s[88:89]
.LBB2_1129:                             ;   in Loop: Header=BB2_939 Depth=2
	s_or_b64 exec, exec, s[20:21]
	v_mul_f32_e32 v4, v14, v1
	v_and_b32_e32 v32, 0x7f800000, v4
	v_cmp_ne_u64_e32 vcc, s[56:57], v[32:33]
                                        ; implicit-def: $vgpr15
	s_and_saveexec_b64 s[20:21], vcc
	s_xor_b64 s[88:89], exec, s[20:21]
	s_cbranch_execz .LBB2_1143
; %bb.1130:                             ;   in Loop: Header=BB2_939 Depth=2
	v_and_b32_e32 v32, 0x7fffffff, v4
	v_cmp_gt_u64_e32 vcc, s[58:59], v[32:33]
	v_and_b32_sdwa v1, v4, s53 dst_sel:DWORD dst_unused:UNUSED_PAD src0_sel:BYTE_3 src1_sel:DWORD
                                        ; implicit-def: $vgpr15
	s_and_saveexec_b64 s[20:21], vcc
	s_xor_b64 s[90:91], exec, s[20:21]
	s_cbranch_execz .LBB2_1140
; %bb.1131:                             ;   in Loop: Header=BB2_939 Depth=2
	v_mov_b32_e32 v15, 0
	v_cmp_ne_u32_e32 vcc, 0, v4
	s_and_saveexec_b64 s[92:93], vcc
	s_cbranch_execz .LBB2_1139
; %bb.1132:                             ;   in Loop: Header=BB2_939 Depth=2
	v_and_b32_e32 v6, 0x7fffff, v4
	v_bfe_u32 v4, v4, 23, 8
	v_cmp_gt_u32_e64 s[20:21], s54, v4
	v_sub_u32_e32 v5, 0x79, v4
	v_cmp_eq_u32_e32 vcc, 0, v4
	v_cndmask_b32_e64 v5, 0, v5, s[20:21]
	v_or_b32_e32 v7, 0x800000, v6
	v_cndmask_b32_e32 v5, v5, v47, vcc
	v_cndmask_b32_e32 v32, v7, v6, vcc
	v_add_u32_e32 v6, 20, v5
	v_lshlrev_b64 v[6:7], v6, -1
	v_add_u32_e32 v8, 19, v5
	v_lshlrev_b64 v[8:9], v8, 1
	v_lshrrev_b64 v[10:11], v5, v[32:33]
	v_bfi_b32 v7, v7, 0, 0
	v_bfi_b32 v6, v6, 0, v32
	v_cmp_eq_u64_e64 s[20:21], v[6:7], v[8:9]
	v_mov_b32_e32 v41, v11
	v_mov_b32_e32 v40, v10
	s_and_saveexec_b64 s[94:95], s[20:21]
; %bb.1133:                             ;   in Loop: Header=BB2_939 Depth=2
	v_bfe_u32 v6, v10, 20, 1
	v_add_co_u32_e64 v6, s[20:21], v10, v6
	v_add_co_u32_e64 v40, s[20:21], -1, v6
; %bb.1134:                             ;   in Loop: Header=BB2_939 Depth=2
	s_or_b64 exec, exec, s[94:95]
	v_add_u32_e32 v4, 0xffffff81, v4
	v_cndmask_b32_e32 v4, v4, v44, vcc
	v_lshrrev_b32_e32 v6, 23, v10
	v_add3_u32 v6, v5, v4, v6
	v_add_u32_e32 v5, 6, v6
	v_and_b32_e32 v4, 0xfffff, v40
	v_add_u32_e32 v32, v4, v10
	v_cmp_ne_u32_e32 vcc, 0, v5
                                        ; implicit-def: $vgpr10_vgpr11
                                        ; implicit-def: $vgpr4
	s_and_saveexec_b64 s[20:21], vcc
	s_xor_b64 s[20:21], exec, s[20:21]
; %bb.1135:                             ;   in Loop: Header=BB2_939 Depth=2
	v_cmp_lt_u64_e32 vcc, s[60:61], v[32:33]
	v_add_u32_e32 v4, 7, v6
	v_cndmask_b32_e32 v4, v5, v4, vcc
	v_cndmask_b32_e64 v5, 0, 1, vcc
	v_lshrrev_b64 v[10:11], v5, v[32:33]
; %bb.1136:                             ;   in Loop: Header=BB2_939 Depth=2
	s_andn2_saveexec_b64 s[20:21], s[20:21]
; %bb.1137:                             ;   in Loop: Header=BB2_939 Depth=2
	v_mov_b32_e32 v10, v32
	v_bfe_u32 v4, v32, 23, 1
	v_mov_b32_e32 v11, v33
; %bb.1138:                             ;   in Loop: Header=BB2_939 Depth=2
	s_or_b64 exec, exec, s[20:21]
	v_lshrrev_b64 v[5:6], 20, v[10:11]
	v_cmp_gt_i32_e32 vcc, 16, v4
	v_cndmask_b32_e32 v6, 0, v6, vcc
	v_cndmask_b32_e32 v5, 7, v5, vcc
	v_cmp_eq_u32_e32 vcc, 0, v4
	v_min_i32_e32 v4, 15, v4
	v_cmp_eq_u64_e64 s[20:21], 0, v[5:6]
	v_lshlrev_b32_e32 v4, 3, v4
	v_and_b32_e32 v4, 0xf8, v4
	v_and_or_b32 v4, v5, 7, v4
	s_and_b64 s[20:21], vcc, s[20:21]
	v_cndmask_b32_e64 v4, v4, 0, s[20:21]
	v_or_b32_e32 v15, v4, v1
.LBB2_1139:                             ;   in Loop: Header=BB2_939 Depth=2
	s_or_b64 exec, exec, s[92:93]
                                        ; implicit-def: $vgpr1
.LBB2_1140:                             ;   in Loop: Header=BB2_939 Depth=2
	s_andn2_saveexec_b64 s[20:21], s[90:91]
; %bb.1141:                             ;   in Loop: Header=BB2_939 Depth=2
	v_or_b32_e32 v15, 0x7e, v1
; %bb.1142:                             ;   in Loop: Header=BB2_939 Depth=2
	s_or_b64 exec, exec, s[20:21]
                                        ; implicit-def: $vgpr4
.LBB2_1143:                             ;   in Loop: Header=BB2_939 Depth=2
	s_andn2_saveexec_b64 s[20:21], s[88:89]
; %bb.1144:                             ;   in Loop: Header=BB2_939 Depth=2
	v_or_b32_sdwa v15, v4, s51 dst_sel:DWORD dst_unused:UNUSED_PAD src0_sel:BYTE_3 src1_sel:DWORD
; %bb.1145:                             ;   in Loop: Header=BB2_939 Depth=2
	s_or_b64 exec, exec, s[20:21]
	v_lshrrev_b16_e32 v10, 8, v12
	v_cmp_ne_u16_e32 vcc, 0, v10
	v_mov_b32_e32 v1, 0
	s_and_saveexec_b64 s[20:21], vcc
	s_cbranch_execz .LBB2_1151
; %bb.1146:                             ;   in Loop: Header=BB2_939 Depth=2
	v_cmp_ne_u16_e32 vcc, s53, v10
	v_bfrev_b32_e32 v1, 1
	s_and_saveexec_b64 s[88:89], vcc
	s_cbranch_execz .LBB2_1150
; %bb.1147:                             ;   in Loop: Header=BB2_939 Depth=2
	v_and_b32_e32 v4, 0x7f, v10
	v_cmp_ne_u32_e32 vcc, s51, v4
	v_mov_b32_e32 v1, 0x7f800001
	s_and_saveexec_b64 s[90:91], vcc
	s_cbranch_execz .LBB2_1149
; %bb.1148:                             ;   in Loop: Header=BB2_939 Depth=2
	v_and_b32_e32 v1, 7, v10
	v_lshrrev_b32_e32 v6, 3, v4
	v_cmp_gt_u32_e32 vcc, 8, v4
	v_ffbh_u32_e32 v4, v1
	v_min_u32_e32 v7, 32, v4
	v_subrev_u32_e32 v4, 28, v7
	v_lshlrev_b64 v[4:5], v4, v[10:11]
	v_sub_u32_e32 v5, 29, v7
	v_and_b32_e32 v4, 7, v4
	v_cndmask_b32_e32 v5, v6, v5, vcc
	v_cndmask_b32_e32 v1, v1, v4, vcc
	v_lshlrev_b32_e32 v4, 16, v12
	v_lshlrev_b32_e32 v1, 20, v1
	v_and_b32_e32 v4, 0x80000000, v4
	v_lshl_add_u32 v5, v5, 23, v3
	v_or3_b32 v1, v4, v5, v1
.LBB2_1149:                             ;   in Loop: Header=BB2_939 Depth=2
	s_or_b64 exec, exec, s[90:91]
.LBB2_1150:                             ;   in Loop: Header=BB2_939 Depth=2
	s_or_b64 exec, exec, s[88:89]
.LBB2_1151:                             ;   in Loop: Header=BB2_939 Depth=2
	s_or_b64 exec, exec, s[20:21]
	v_mul_f32_e32 v4, v14, v1
	v_and_b32_e32 v32, 0x7f800000, v4
	v_cmp_ne_u64_e32 vcc, s[56:57], v[32:33]
                                        ; implicit-def: $vgpr57
	s_and_saveexec_b64 s[20:21], vcc
	s_xor_b64 s[88:89], exec, s[20:21]
	s_cbranch_execz .LBB2_1165
; %bb.1152:                             ;   in Loop: Header=BB2_939 Depth=2
	v_and_b32_e32 v32, 0x7fffffff, v4
	v_cmp_gt_u64_e32 vcc, s[58:59], v[32:33]
	v_and_b32_sdwa v1, v4, s53 dst_sel:DWORD dst_unused:UNUSED_PAD src0_sel:BYTE_3 src1_sel:DWORD
                                        ; implicit-def: $vgpr57
	s_and_saveexec_b64 s[20:21], vcc
	s_xor_b64 s[90:91], exec, s[20:21]
	s_cbranch_execz .LBB2_1162
; %bb.1153:                             ;   in Loop: Header=BB2_939 Depth=2
	v_mov_b32_e32 v57, 0
	v_cmp_ne_u32_e32 vcc, 0, v4
	s_and_saveexec_b64 s[92:93], vcc
	s_cbranch_execz .LBB2_1161
; %bb.1154:                             ;   in Loop: Header=BB2_939 Depth=2
	v_and_b32_e32 v6, 0x7fffff, v4
	v_bfe_u32 v4, v4, 23, 8
	v_cmp_gt_u32_e64 s[20:21], s54, v4
	v_sub_u32_e32 v5, 0x79, v4
	v_cmp_eq_u32_e32 vcc, 0, v4
	v_cndmask_b32_e64 v5, 0, v5, s[20:21]
	v_or_b32_e32 v7, 0x800000, v6
	v_cndmask_b32_e32 v5, v5, v47, vcc
	v_cndmask_b32_e32 v32, v7, v6, vcc
	v_add_u32_e32 v6, 20, v5
	v_lshlrev_b64 v[6:7], v6, -1
	v_add_u32_e32 v8, 19, v5
	v_lshlrev_b64 v[8:9], v8, 1
	v_lshrrev_b64 v[10:11], v5, v[32:33]
	v_bfi_b32 v7, v7, 0, 0
	v_bfi_b32 v6, v6, 0, v32
	v_cmp_eq_u64_e64 s[20:21], v[6:7], v[8:9]
	v_mov_b32_e32 v41, v11
	v_mov_b32_e32 v40, v10
	s_and_saveexec_b64 s[94:95], s[20:21]
; %bb.1155:                             ;   in Loop: Header=BB2_939 Depth=2
	v_bfe_u32 v6, v10, 20, 1
	v_add_co_u32_e64 v6, s[20:21], v10, v6
	v_add_co_u32_e64 v40, s[20:21], -1, v6
; %bb.1156:                             ;   in Loop: Header=BB2_939 Depth=2
	s_or_b64 exec, exec, s[94:95]
	v_add_u32_e32 v4, 0xffffff81, v4
	v_cndmask_b32_e32 v4, v4, v44, vcc
	v_lshrrev_b32_e32 v6, 23, v10
	v_add3_u32 v6, v5, v4, v6
	v_add_u32_e32 v5, 6, v6
	v_and_b32_e32 v4, 0xfffff, v40
	v_add_u32_e32 v32, v4, v10
	v_cmp_ne_u32_e32 vcc, 0, v5
                                        ; implicit-def: $vgpr10_vgpr11
                                        ; implicit-def: $vgpr4
	s_and_saveexec_b64 s[20:21], vcc
	s_xor_b64 s[20:21], exec, s[20:21]
; %bb.1157:                             ;   in Loop: Header=BB2_939 Depth=2
	v_cmp_lt_u64_e32 vcc, s[60:61], v[32:33]
	v_add_u32_e32 v4, 7, v6
	v_cndmask_b32_e32 v4, v5, v4, vcc
	v_cndmask_b32_e64 v5, 0, 1, vcc
	v_lshrrev_b64 v[10:11], v5, v[32:33]
; %bb.1158:                             ;   in Loop: Header=BB2_939 Depth=2
	s_andn2_saveexec_b64 s[20:21], s[20:21]
; %bb.1159:                             ;   in Loop: Header=BB2_939 Depth=2
	v_mov_b32_e32 v10, v32
	v_bfe_u32 v4, v32, 23, 1
	v_mov_b32_e32 v11, v33
; %bb.1160:                             ;   in Loop: Header=BB2_939 Depth=2
	s_or_b64 exec, exec, s[20:21]
	v_lshrrev_b64 v[5:6], 20, v[10:11]
	v_cmp_gt_i32_e32 vcc, 16, v4
	v_cndmask_b32_e32 v6, 0, v6, vcc
	v_cndmask_b32_e32 v5, 7, v5, vcc
	v_cmp_eq_u32_e32 vcc, 0, v4
	v_min_i32_e32 v4, 15, v4
	v_cmp_eq_u64_e64 s[20:21], 0, v[5:6]
	v_lshlrev_b32_e32 v4, 3, v4
	v_and_b32_e32 v4, 0xf8, v4
	v_and_or_b32 v4, v5, 7, v4
	s_and_b64 s[20:21], vcc, s[20:21]
	v_cndmask_b32_e64 v4, v4, 0, s[20:21]
	v_or_b32_e32 v57, v4, v1
.LBB2_1161:                             ;   in Loop: Header=BB2_939 Depth=2
	s_or_b64 exec, exec, s[92:93]
                                        ; implicit-def: $vgpr1
.LBB2_1162:                             ;   in Loop: Header=BB2_939 Depth=2
	s_andn2_saveexec_b64 s[20:21], s[90:91]
; %bb.1163:                             ;   in Loop: Header=BB2_939 Depth=2
	v_or_b32_e32 v57, 0x7e, v1
; %bb.1164:                             ;   in Loop: Header=BB2_939 Depth=2
	s_or_b64 exec, exec, s[20:21]
                                        ; implicit-def: $vgpr4
.LBB2_1165:                             ;   in Loop: Header=BB2_939 Depth=2
	s_andn2_saveexec_b64 s[20:21], s[88:89]
; %bb.1166:                             ;   in Loop: Header=BB2_939 Depth=2
	v_or_b32_sdwa v57, v4, s51 dst_sel:DWORD dst_unused:UNUSED_PAD src0_sel:BYTE_3 src1_sel:DWORD
; %bb.1167:                             ;   in Loop: Header=BB2_939 Depth=2
	s_or_b64 exec, exec, s[20:21]
	v_lshrrev_b32_e32 v10, 16, v12
	v_cmp_ne_u16_sdwa s[88:89], v10, v33 src0_sel:BYTE_0 src1_sel:DWORD
	v_mov_b32_e32 v1, 0
	s_and_saveexec_b64 s[20:21], s[88:89]
	s_cbranch_execz .LBB2_1173
; %bb.1168:                             ;   in Loop: Header=BB2_939 Depth=2
	v_cmp_ne_u16_sdwa s[90:91], v10, s53 src0_sel:BYTE_0 src1_sel:DWORD
	v_bfrev_b32_e32 v1, 1
	s_and_saveexec_b64 s[88:89], s[90:91]
	s_cbranch_execz .LBB2_1172
; %bb.1169:                             ;   in Loop: Header=BB2_939 Depth=2
	v_bfe_u32 v4, v12, 16, 7
	v_cmp_ne_u32_e32 vcc, s51, v4
	v_mov_b32_e32 v1, 0x7f800001
	s_and_saveexec_b64 s[90:91], vcc
	s_cbranch_execz .LBB2_1171
; %bb.1170:                             ;   in Loop: Header=BB2_939 Depth=2
	v_and_b32_e32 v1, 7, v10
	v_lshrrev_b32_e32 v6, 3, v4
	v_cmp_gt_u32_e32 vcc, 8, v4
	v_ffbh_u32_e32 v4, v1
	v_min_u32_e32 v7, 32, v4
	v_subrev_u32_e32 v4, 28, v7
	v_lshlrev_b64 v[4:5], v4, v[10:11]
	v_sub_u32_e32 v5, 29, v7
	v_and_b32_e32 v4, 7, v4
	v_cndmask_b32_e32 v5, v6, v5, vcc
	v_cndmask_b32_e32 v1, v1, v4, vcc
	v_lshlrev_b32_e32 v4, 24, v10
	v_lshlrev_b32_e32 v1, 20, v1
	v_and_b32_e32 v4, 0x80000000, v4
	v_lshl_add_u32 v5, v5, 23, v3
	v_or3_b32 v1, v4, v5, v1
.LBB2_1171:                             ;   in Loop: Header=BB2_939 Depth=2
	s_or_b64 exec, exec, s[90:91]
.LBB2_1172:                             ;   in Loop: Header=BB2_939 Depth=2
	s_or_b64 exec, exec, s[88:89]
.LBB2_1173:                             ;   in Loop: Header=BB2_939 Depth=2
	s_or_b64 exec, exec, s[20:21]
	v_mul_f32_e32 v4, v14, v1
	v_and_b32_e32 v32, 0x7f800000, v4
	v_cmp_ne_u64_e32 vcc, s[56:57], v[32:33]
                                        ; implicit-def: $vgpr21
	s_and_saveexec_b64 s[20:21], vcc
	s_xor_b64 s[88:89], exec, s[20:21]
	s_cbranch_execz .LBB2_1187
; %bb.1174:                             ;   in Loop: Header=BB2_939 Depth=2
	v_and_b32_e32 v32, 0x7fffffff, v4
	v_cmp_gt_u64_e32 vcc, s[58:59], v[32:33]
	v_and_b32_sdwa v1, v4, s53 dst_sel:DWORD dst_unused:UNUSED_PAD src0_sel:BYTE_3 src1_sel:DWORD
                                        ; implicit-def: $vgpr21
	s_and_saveexec_b64 s[20:21], vcc
	s_xor_b64 s[90:91], exec, s[20:21]
	s_cbranch_execz .LBB2_1184
; %bb.1175:                             ;   in Loop: Header=BB2_939 Depth=2
	v_mov_b32_e32 v21, 0
	v_cmp_ne_u32_e32 vcc, 0, v4
	s_and_saveexec_b64 s[92:93], vcc
	s_cbranch_execz .LBB2_1183
; %bb.1176:                             ;   in Loop: Header=BB2_939 Depth=2
	v_and_b32_e32 v6, 0x7fffff, v4
	v_bfe_u32 v4, v4, 23, 8
	v_cmp_gt_u32_e64 s[20:21], s54, v4
	v_sub_u32_e32 v5, 0x79, v4
	v_cmp_eq_u32_e32 vcc, 0, v4
	v_cndmask_b32_e64 v5, 0, v5, s[20:21]
	v_or_b32_e32 v7, 0x800000, v6
	v_cndmask_b32_e32 v5, v5, v47, vcc
	v_cndmask_b32_e32 v32, v7, v6, vcc
	v_add_u32_e32 v6, 20, v5
	v_lshlrev_b64 v[6:7], v6, -1
	v_add_u32_e32 v8, 19, v5
	v_lshlrev_b64 v[8:9], v8, 1
	v_lshrrev_b64 v[10:11], v5, v[32:33]
	v_bfi_b32 v7, v7, 0, 0
	v_bfi_b32 v6, v6, 0, v32
	v_cmp_eq_u64_e64 s[20:21], v[6:7], v[8:9]
	v_mov_b32_e32 v41, v11
	v_mov_b32_e32 v40, v10
	s_and_saveexec_b64 s[94:95], s[20:21]
; %bb.1177:                             ;   in Loop: Header=BB2_939 Depth=2
	v_bfe_u32 v6, v10, 20, 1
	v_add_co_u32_e64 v6, s[20:21], v10, v6
	v_add_co_u32_e64 v40, s[20:21], -1, v6
; %bb.1178:                             ;   in Loop: Header=BB2_939 Depth=2
	s_or_b64 exec, exec, s[94:95]
	v_add_u32_e32 v4, 0xffffff81, v4
	v_cndmask_b32_e32 v4, v4, v44, vcc
	v_lshrrev_b32_e32 v6, 23, v10
	v_add3_u32 v6, v5, v4, v6
	v_add_u32_e32 v5, 6, v6
	v_and_b32_e32 v4, 0xfffff, v40
	v_add_u32_e32 v32, v4, v10
	v_cmp_ne_u32_e32 vcc, 0, v5
                                        ; implicit-def: $vgpr10_vgpr11
                                        ; implicit-def: $vgpr4
	s_and_saveexec_b64 s[20:21], vcc
	s_xor_b64 s[20:21], exec, s[20:21]
; %bb.1179:                             ;   in Loop: Header=BB2_939 Depth=2
	v_cmp_lt_u64_e32 vcc, s[60:61], v[32:33]
	v_add_u32_e32 v4, 7, v6
	v_cndmask_b32_e32 v4, v5, v4, vcc
	v_cndmask_b32_e64 v5, 0, 1, vcc
	v_lshrrev_b64 v[10:11], v5, v[32:33]
; %bb.1180:                             ;   in Loop: Header=BB2_939 Depth=2
	s_andn2_saveexec_b64 s[20:21], s[20:21]
; %bb.1181:                             ;   in Loop: Header=BB2_939 Depth=2
	v_mov_b32_e32 v10, v32
	v_bfe_u32 v4, v32, 23, 1
	v_mov_b32_e32 v11, v33
; %bb.1182:                             ;   in Loop: Header=BB2_939 Depth=2
	s_or_b64 exec, exec, s[20:21]
	v_lshrrev_b64 v[5:6], 20, v[10:11]
	v_cmp_gt_i32_e32 vcc, 16, v4
	v_cndmask_b32_e32 v6, 0, v6, vcc
	v_cndmask_b32_e32 v5, 7, v5, vcc
	v_cmp_eq_u32_e32 vcc, 0, v4
	v_min_i32_e32 v4, 15, v4
	v_cmp_eq_u64_e64 s[20:21], 0, v[5:6]
	v_lshlrev_b32_e32 v4, 3, v4
	v_and_b32_e32 v4, 0xf8, v4
	v_and_or_b32 v4, v5, 7, v4
	s_and_b64 s[20:21], vcc, s[20:21]
	v_cndmask_b32_e64 v4, v4, 0, s[20:21]
	v_or_b32_e32 v21, v4, v1
.LBB2_1183:                             ;   in Loop: Header=BB2_939 Depth=2
	s_or_b64 exec, exec, s[92:93]
                                        ; implicit-def: $vgpr1
.LBB2_1184:                             ;   in Loop: Header=BB2_939 Depth=2
	s_andn2_saveexec_b64 s[20:21], s[90:91]
; %bb.1185:                             ;   in Loop: Header=BB2_939 Depth=2
	v_or_b32_e32 v21, 0x7e, v1
; %bb.1186:                             ;   in Loop: Header=BB2_939 Depth=2
	s_or_b64 exec, exec, s[20:21]
                                        ; implicit-def: $vgpr4
.LBB2_1187:                             ;   in Loop: Header=BB2_939 Depth=2
	s_andn2_saveexec_b64 s[20:21], s[88:89]
; %bb.1188:                             ;   in Loop: Header=BB2_939 Depth=2
	v_or_b32_sdwa v21, v4, s51 dst_sel:DWORD dst_unused:UNUSED_PAD src0_sel:BYTE_3 src1_sel:DWORD
; %bb.1189:                             ;   in Loop: Header=BB2_939 Depth=2
	s_or_b64 exec, exec, s[20:21]
	v_cmp_lt_u32_e32 vcc, s63, v12
	v_mov_b32_e32 v1, 0
	s_and_saveexec_b64 s[20:21], vcc
	s_cbranch_execz .LBB2_1195
; %bb.1190:                             ;   in Loop: Header=BB2_939 Depth=2
	v_lshrrev_b32_e32 v10, 24, v12
	v_cmp_ne_u32_e32 vcc, s53, v10
	v_bfrev_b32_e32 v1, 1
	s_and_saveexec_b64 s[88:89], vcc
	s_cbranch_execz .LBB2_1194
; %bb.1191:                             ;   in Loop: Header=BB2_939 Depth=2
	v_bfe_u32 v4, v12, 24, 7
	v_cmp_ne_u32_e32 vcc, s51, v4
	v_mov_b32_e32 v1, 0x7f800001
	s_and_saveexec_b64 s[90:91], vcc
	s_cbranch_execz .LBB2_1193
; %bb.1192:                             ;   in Loop: Header=BB2_939 Depth=2
	v_and_b32_e32 v1, 7, v10
	v_lshrrev_b32_e32 v6, 3, v4
	v_cmp_gt_u32_e32 vcc, 8, v4
	v_ffbh_u32_e32 v4, v1
	v_min_u32_e32 v7, 32, v4
	v_subrev_u32_e32 v4, 28, v7
	v_lshlrev_b64 v[4:5], v4, v[10:11]
	v_sub_u32_e32 v5, 29, v7
	v_and_b32_e32 v4, 7, v4
	v_cndmask_b32_e32 v5, v6, v5, vcc
	v_cndmask_b32_e32 v1, v1, v4, vcc
	v_lshlrev_b32_e32 v4, 24, v10
	v_lshlrev_b32_e32 v1, 20, v1
	v_and_b32_e32 v4, 0x80000000, v4
	v_lshl_add_u32 v5, v5, 23, v3
	v_or3_b32 v1, v4, v5, v1
.LBB2_1193:                             ;   in Loop: Header=BB2_939 Depth=2
	s_or_b64 exec, exec, s[90:91]
.LBB2_1194:                             ;   in Loop: Header=BB2_939 Depth=2
	s_or_b64 exec, exec, s[88:89]
.LBB2_1195:                             ;   in Loop: Header=BB2_939 Depth=2
	s_or_b64 exec, exec, s[20:21]
	v_mul_f32_e32 v4, v14, v1
	v_and_b32_e32 v32, 0x7f800000, v4
	v_cmp_ne_u64_e32 vcc, s[56:57], v[32:33]
                                        ; implicit-def: $vgpr58
	s_and_saveexec_b64 s[20:21], vcc
	s_xor_b64 s[88:89], exec, s[20:21]
	s_cbranch_execz .LBB2_1209
; %bb.1196:                             ;   in Loop: Header=BB2_939 Depth=2
	v_and_b32_e32 v32, 0x7fffffff, v4
	v_cmp_gt_u64_e32 vcc, s[58:59], v[32:33]
	v_and_b32_sdwa v1, v4, s53 dst_sel:DWORD dst_unused:UNUSED_PAD src0_sel:BYTE_3 src1_sel:DWORD
                                        ; implicit-def: $vgpr58
	s_and_saveexec_b64 s[20:21], vcc
	s_xor_b64 s[90:91], exec, s[20:21]
	s_cbranch_execz .LBB2_1206
; %bb.1197:                             ;   in Loop: Header=BB2_939 Depth=2
	v_mov_b32_e32 v58, 0
	v_cmp_ne_u32_e32 vcc, 0, v4
	s_and_saveexec_b64 s[92:93], vcc
	s_cbranch_execz .LBB2_1205
; %bb.1198:                             ;   in Loop: Header=BB2_939 Depth=2
	v_and_b32_e32 v6, 0x7fffff, v4
	v_bfe_u32 v4, v4, 23, 8
	v_cmp_gt_u32_e64 s[20:21], s54, v4
	v_sub_u32_e32 v5, 0x79, v4
	v_cmp_eq_u32_e32 vcc, 0, v4
	v_cndmask_b32_e64 v5, 0, v5, s[20:21]
	v_or_b32_e32 v7, 0x800000, v6
	v_cndmask_b32_e32 v5, v5, v47, vcc
	v_cndmask_b32_e32 v32, v7, v6, vcc
	v_add_u32_e32 v6, 20, v5
	v_lshlrev_b64 v[6:7], v6, -1
	v_add_u32_e32 v8, 19, v5
	v_lshlrev_b64 v[8:9], v8, 1
	v_lshrrev_b64 v[10:11], v5, v[32:33]
	v_bfi_b32 v7, v7, 0, 0
	v_bfi_b32 v6, v6, 0, v32
	v_cmp_eq_u64_e64 s[20:21], v[6:7], v[8:9]
	v_mov_b32_e32 v41, v11
	v_mov_b32_e32 v40, v10
	s_and_saveexec_b64 s[94:95], s[20:21]
; %bb.1199:                             ;   in Loop: Header=BB2_939 Depth=2
	v_bfe_u32 v6, v10, 20, 1
	v_add_co_u32_e64 v6, s[20:21], v10, v6
	v_add_co_u32_e64 v40, s[20:21], -1, v6
; %bb.1200:                             ;   in Loop: Header=BB2_939 Depth=2
	s_or_b64 exec, exec, s[94:95]
	v_add_u32_e32 v4, 0xffffff81, v4
	v_cndmask_b32_e32 v4, v4, v44, vcc
	v_lshrrev_b32_e32 v6, 23, v10
	v_add3_u32 v6, v5, v4, v6
	v_add_u32_e32 v5, 6, v6
	v_and_b32_e32 v4, 0xfffff, v40
	v_add_u32_e32 v32, v4, v10
	v_cmp_ne_u32_e32 vcc, 0, v5
                                        ; implicit-def: $vgpr10_vgpr11
                                        ; implicit-def: $vgpr4
	s_and_saveexec_b64 s[20:21], vcc
	s_xor_b64 s[20:21], exec, s[20:21]
; %bb.1201:                             ;   in Loop: Header=BB2_939 Depth=2
	v_cmp_lt_u64_e32 vcc, s[60:61], v[32:33]
	v_add_u32_e32 v4, 7, v6
	v_cndmask_b32_e32 v4, v5, v4, vcc
	v_cndmask_b32_e64 v5, 0, 1, vcc
	v_lshrrev_b64 v[10:11], v5, v[32:33]
; %bb.1202:                             ;   in Loop: Header=BB2_939 Depth=2
	s_andn2_saveexec_b64 s[20:21], s[20:21]
; %bb.1203:                             ;   in Loop: Header=BB2_939 Depth=2
	v_mov_b32_e32 v10, v32
	v_bfe_u32 v4, v32, 23, 1
	v_mov_b32_e32 v11, v33
; %bb.1204:                             ;   in Loop: Header=BB2_939 Depth=2
	s_or_b64 exec, exec, s[20:21]
	v_lshrrev_b64 v[5:6], 20, v[10:11]
	v_cmp_gt_i32_e32 vcc, 16, v4
	v_cndmask_b32_e32 v6, 0, v6, vcc
	v_cndmask_b32_e32 v5, 7, v5, vcc
	v_cmp_eq_u32_e32 vcc, 0, v4
	v_min_i32_e32 v4, 15, v4
	v_cmp_eq_u64_e64 s[20:21], 0, v[5:6]
	v_lshlrev_b32_e32 v4, 3, v4
	v_and_b32_e32 v4, 0xf8, v4
	v_and_or_b32 v4, v5, 7, v4
	s_and_b64 s[20:21], vcc, s[20:21]
	v_cndmask_b32_e64 v4, v4, 0, s[20:21]
	v_or_b32_e32 v58, v4, v1
.LBB2_1205:                             ;   in Loop: Header=BB2_939 Depth=2
	s_or_b64 exec, exec, s[92:93]
                                        ; implicit-def: $vgpr1
.LBB2_1206:                             ;   in Loop: Header=BB2_939 Depth=2
	s_andn2_saveexec_b64 s[20:21], s[90:91]
; %bb.1207:                             ;   in Loop: Header=BB2_939 Depth=2
	v_or_b32_e32 v58, 0x7e, v1
; %bb.1208:                             ;   in Loop: Header=BB2_939 Depth=2
	s_or_b64 exec, exec, s[20:21]
                                        ; implicit-def: $vgpr4
.LBB2_1209:                             ;   in Loop: Header=BB2_939 Depth=2
	s_andn2_saveexec_b64 s[20:21], s[88:89]
; %bb.1210:                             ;   in Loop: Header=BB2_939 Depth=2
	v_or_b32_sdwa v58, v4, s51 dst_sel:DWORD dst_unused:UNUSED_PAD src0_sel:BYTE_3 src1_sel:DWORD
; %bb.1211:                             ;   in Loop: Header=BB2_939 Depth=2
	s_or_b64 exec, exec, s[20:21]
	v_mov_b32_e32 v32, v13
	v_cmp_ne_u16_sdwa s[88:89], v13, v33 src0_sel:BYTE_0 src1_sel:DWORD
	v_mov_b32_e32 v1, 0
	s_and_saveexec_b64 s[20:21], s[88:89]
	s_cbranch_execz .LBB2_1217
; %bb.1212:                             ;   in Loop: Header=BB2_939 Depth=2
	v_cmp_ne_u16_sdwa s[90:91], v13, s53 src0_sel:BYTE_0 src1_sel:DWORD
	v_bfrev_b32_e32 v1, 1
	s_and_saveexec_b64 s[88:89], s[90:91]
	s_cbranch_execz .LBB2_1216
; %bb.1213:                             ;   in Loop: Header=BB2_939 Depth=2
	v_and_b32_e32 v4, 0x7f, v13
	v_cmp_ne_u32_e32 vcc, s51, v4
	v_mov_b32_e32 v1, 0x7f800001
	s_and_saveexec_b64 s[90:91], vcc
	s_cbranch_execz .LBB2_1215
; %bb.1214:                             ;   in Loop: Header=BB2_939 Depth=2
	v_and_b32_e32 v1, 7, v13
	v_ffbh_u32_e32 v1, v1
	v_min_u32_e32 v1, 32, v1
	v_lshrrev_b32_e32 v5, 3, v4
	v_cmp_gt_u32_e32 vcc, 8, v4
	v_subrev_u32_e32 v4, 28, v1
	v_sub_u32_e32 v1, 29, v1
	v_cndmask_b32_e32 v4, 0, v4, vcc
	v_cndmask_b32_e32 v1, v5, v1, vcc
	v_lshlrev_b64 v[4:5], v4, v[32:33]
	v_lshlrev_b32_e32 v5, 24, v32
	v_lshlrev_b32_e32 v4, 20, v4
	v_and_b32_e32 v4, 0x700000, v4
	v_and_b32_e32 v5, 0x80000000, v5
	v_lshl_add_u32 v1, v1, 23, v3
	v_or3_b32 v1, v5, v1, v4
.LBB2_1215:                             ;   in Loop: Header=BB2_939 Depth=2
	s_or_b64 exec, exec, s[90:91]
.LBB2_1216:                             ;   in Loop: Header=BB2_939 Depth=2
	s_or_b64 exec, exec, s[88:89]
.LBB2_1217:                             ;   in Loop: Header=BB2_939 Depth=2
	s_or_b64 exec, exec, s[20:21]
	v_mul_f32_e32 v5, v14, v1
	v_and_b32_e32 v6, 0x7f800000, v5
	v_mov_b32_e32 v7, v33
	v_cmp_ne_u64_e32 vcc, s[56:57], v[6:7]
                                        ; implicit-def: $vgpr1
	s_and_saveexec_b64 s[20:21], vcc
	s_xor_b64 s[88:89], exec, s[20:21]
	s_cbranch_execz .LBB2_1231
; %bb.1218:                             ;   in Loop: Header=BB2_939 Depth=2
	v_and_b32_e32 v6, 0x7fffffff, v5
	v_mov_b32_e32 v7, v33
	v_cmp_gt_u64_e32 vcc, s[58:59], v[6:7]
	v_and_b32_sdwa v4, v5, s53 dst_sel:DWORD dst_unused:UNUSED_PAD src0_sel:BYTE_3 src1_sel:DWORD
                                        ; implicit-def: $vgpr1
	s_and_saveexec_b64 s[20:21], vcc
	s_xor_b64 s[90:91], exec, s[20:21]
	s_cbranch_execz .LBB2_1228
; %bb.1219:                             ;   in Loop: Header=BB2_939 Depth=2
	v_mov_b32_e32 v1, 0
	v_cmp_ne_u32_e32 vcc, 0, v5
	s_and_saveexec_b64 s[92:93], vcc
	s_cbranch_execz .LBB2_1227
; %bb.1220:                             ;   in Loop: Header=BB2_939 Depth=2
	v_bfe_u32 v1, v5, 23, 8
	v_and_b32_e32 v6, 0x7fffff, v5
	v_cmp_gt_u32_e64 s[20:21], s54, v1
	v_sub_u32_e32 v5, 0x79, v1
	v_cmp_eq_u32_e32 vcc, 0, v1
	v_cndmask_b32_e64 v5, 0, v5, s[20:21]
	v_cndmask_b32_e32 v5, v5, v47, vcc
	v_add_u32_e32 v8, 20, v5
	v_or_b32_e32 v7, 0x800000, v6
	v_lshlrev_b64 v[8:9], v8, -1
	v_add_u32_e32 v10, 19, v5
	v_cndmask_b32_e32 v6, v7, v6, vcc
	v_lshlrev_b64 v[10:11], v10, 1
	v_mov_b32_e32 v7, v33
	v_bfi_b32 v9, v9, 0, 0
	v_bfi_b32 v8, v8, 0, v6
	v_cmp_eq_u64_e64 s[20:21], v[8:9], v[10:11]
	v_lshrrev_b64 v[10:11], v5, v[6:7]
	v_mov_b32_e32 v41, v11
	v_mov_b32_e32 v40, v10
	s_and_saveexec_b64 s[94:95], s[20:21]
; %bb.1221:                             ;   in Loop: Header=BB2_939 Depth=2
	v_bfe_u32 v6, v10, 20, 1
	v_add_co_u32_e64 v6, s[20:21], v10, v6
	v_add_co_u32_e64 v40, s[20:21], -1, v6
; %bb.1222:                             ;   in Loop: Header=BB2_939 Depth=2
	s_or_b64 exec, exec, s[94:95]
	v_add_u32_e32 v1, 0xffffff81, v1
	v_cndmask_b32_e32 v1, v1, v44, vcc
	v_lshrrev_b32_e32 v6, 23, v10
	v_add3_u32 v6, v5, v1, v6
	v_add_u32_e32 v5, 6, v6
	v_and_b32_e32 v1, 0xfffff, v40
	v_add_u32_e32 v10, v1, v10
	v_mov_b32_e32 v11, v33
	v_cmp_ne_u32_e32 vcc, 0, v5
                                        ; implicit-def: $vgpr1
	s_and_saveexec_b64 s[20:21], vcc
	s_xor_b64 s[20:21], exec, s[20:21]
; %bb.1223:                             ;   in Loop: Header=BB2_939 Depth=2
	v_cmp_lt_u64_e32 vcc, s[60:61], v[10:11]
	v_add_u32_e32 v1, 7, v6
	v_cndmask_b32_e32 v1, v5, v1, vcc
	v_cndmask_b32_e64 v5, 0, 1, vcc
	v_lshrrev_b64 v[10:11], v5, v[10:11]
; %bb.1224:                             ;   in Loop: Header=BB2_939 Depth=2
	s_andn2_saveexec_b64 s[20:21], s[20:21]
; %bb.1225:                             ;   in Loop: Header=BB2_939 Depth=2
	v_bfe_u32 v1, v10, 23, 1
; %bb.1226:                             ;   in Loop: Header=BB2_939 Depth=2
	s_or_b64 exec, exec, s[20:21]
	v_lshrrev_b64 v[5:6], 20, v[10:11]
	v_cmp_gt_i32_e32 vcc, 16, v1
	v_cndmask_b32_e32 v6, 0, v6, vcc
	v_cndmask_b32_e32 v5, 7, v5, vcc
	v_cmp_eq_u32_e32 vcc, 0, v1
	v_min_i32_e32 v1, 15, v1
	v_cmp_eq_u64_e64 s[20:21], 0, v[5:6]
	v_lshlrev_b32_e32 v1, 3, v1
	v_and_b32_e32 v1, 0xf8, v1
	v_and_or_b32 v1, v5, 7, v1
	s_and_b64 s[20:21], vcc, s[20:21]
	v_cndmask_b32_e64 v1, v1, 0, s[20:21]
	v_or_b32_e32 v1, v1, v4
.LBB2_1227:                             ;   in Loop: Header=BB2_939 Depth=2
	s_or_b64 exec, exec, s[92:93]
                                        ; implicit-def: $vgpr4
.LBB2_1228:                             ;   in Loop: Header=BB2_939 Depth=2
	s_andn2_saveexec_b64 s[20:21], s[90:91]
; %bb.1229:                             ;   in Loop: Header=BB2_939 Depth=2
	v_or_b32_e32 v1, 0x7e, v4
; %bb.1230:                             ;   in Loop: Header=BB2_939 Depth=2
	s_or_b64 exec, exec, s[20:21]
                                        ; implicit-def: $vgpr5
.LBB2_1231:                             ;   in Loop: Header=BB2_939 Depth=2
	s_andn2_saveexec_b64 s[20:21], s[88:89]
; %bb.1232:                             ;   in Loop: Header=BB2_939 Depth=2
	v_or_b32_sdwa v1, v5, s51 dst_sel:DWORD dst_unused:UNUSED_PAD src0_sel:BYTE_3 src1_sel:DWORD
; %bb.1233:                             ;   in Loop: Header=BB2_939 Depth=2
	s_or_b64 exec, exec, s[20:21]
	v_lshrrev_b16_e32 v10, 8, v32
	v_cmp_ne_u16_e32 vcc, 0, v10
	v_mov_b32_e32 v4, 0
	s_and_saveexec_b64 s[20:21], vcc
	s_cbranch_execz .LBB2_1239
; %bb.1234:                             ;   in Loop: Header=BB2_939 Depth=2
	v_cmp_ne_u16_e32 vcc, s53, v10
	v_bfrev_b32_e32 v4, 1
	s_and_saveexec_b64 s[88:89], vcc
	s_cbranch_execz .LBB2_1238
; %bb.1235:                             ;   in Loop: Header=BB2_939 Depth=2
	v_and_b32_e32 v5, 0x7f, v10
	v_cmp_ne_u32_e32 vcc, s51, v5
	v_mov_b32_e32 v4, 0x7f800001
	s_and_saveexec_b64 s[90:91], vcc
	s_cbranch_execz .LBB2_1237
; %bb.1236:                             ;   in Loop: Header=BB2_939 Depth=2
	v_and_b32_e32 v6, 7, v10
	v_ffbh_u32_e32 v4, v6
	v_min_u32_e32 v8, 32, v4
	v_subrev_u32_e32 v4, 28, v8
	v_lshrrev_b32_e32 v7, 3, v5
	v_cmp_gt_u32_e32 vcc, 8, v5
	v_lshlrev_b64 v[4:5], v4, v[10:11]
	v_sub_u32_e32 v5, 29, v8
	v_and_b32_e32 v4, 7, v4
	v_cndmask_b32_e32 v5, v7, v5, vcc
	v_cndmask_b32_e32 v4, v6, v4, vcc
	v_lshlrev_b32_e32 v6, 16, v32
	v_lshlrev_b32_e32 v4, 20, v4
	v_and_b32_e32 v6, 0x80000000, v6
	v_lshl_add_u32 v5, v5, 23, v3
	v_or3_b32 v4, v6, v5, v4
.LBB2_1237:                             ;   in Loop: Header=BB2_939 Depth=2
	s_or_b64 exec, exec, s[90:91]
.LBB2_1238:                             ;   in Loop: Header=BB2_939 Depth=2
	s_or_b64 exec, exec, s[88:89]
.LBB2_1239:                             ;   in Loop: Header=BB2_939 Depth=2
	s_or_b64 exec, exec, s[20:21]
	v_mul_f32_e32 v5, v14, v4
	v_and_b32_e32 v32, 0x7f800000, v5
	v_cmp_ne_u64_e32 vcc, s[56:57], v[32:33]
                                        ; implicit-def: $vgpr28
	s_and_saveexec_b64 s[20:21], vcc
	s_xor_b64 s[88:89], exec, s[20:21]
	s_cbranch_execz .LBB2_1253
; %bb.1240:                             ;   in Loop: Header=BB2_939 Depth=2
	v_and_b32_e32 v32, 0x7fffffff, v5
	v_cmp_gt_u64_e32 vcc, s[58:59], v[32:33]
	v_and_b32_sdwa v4, v5, s53 dst_sel:DWORD dst_unused:UNUSED_PAD src0_sel:BYTE_3 src1_sel:DWORD
                                        ; implicit-def: $vgpr28
	s_and_saveexec_b64 s[20:21], vcc
	s_xor_b64 s[90:91], exec, s[20:21]
	s_cbranch_execz .LBB2_1250
; %bb.1241:                             ;   in Loop: Header=BB2_939 Depth=2
	v_mov_b32_e32 v28, 0
	v_cmp_ne_u32_e32 vcc, 0, v5
	s_and_saveexec_b64 s[92:93], vcc
	s_cbranch_execz .LBB2_1249
; %bb.1242:                             ;   in Loop: Header=BB2_939 Depth=2
	v_and_b32_e32 v7, 0x7fffff, v5
	v_bfe_u32 v5, v5, 23, 8
	v_cmp_gt_u32_e64 s[20:21], s54, v5
	v_sub_u32_e32 v6, 0x79, v5
	v_cmp_eq_u32_e32 vcc, 0, v5
	v_cndmask_b32_e64 v6, 0, v6, s[20:21]
	v_or_b32_e32 v8, 0x800000, v7
	v_cndmask_b32_e32 v6, v6, v47, vcc
	v_cndmask_b32_e32 v32, v8, v7, vcc
	v_add_u32_e32 v7, 20, v6
	v_lshlrev_b64 v[7:8], v7, -1
	v_add_u32_e32 v9, 19, v6
	v_lshlrev_b64 v[9:10], v9, 1
	v_bfi_b32 v8, v8, 0, 0
	v_bfi_b32 v7, v7, 0, v32
	v_cmp_eq_u64_e64 s[20:21], v[7:8], v[9:10]
	v_lshrrev_b64 v[10:11], v6, v[32:33]
	v_mov_b32_e32 v41, v11
	v_mov_b32_e32 v40, v10
	s_and_saveexec_b64 s[94:95], s[20:21]
; %bb.1243:                             ;   in Loop: Header=BB2_939 Depth=2
	v_bfe_u32 v7, v10, 20, 1
	v_add_co_u32_e64 v7, s[20:21], v10, v7
	v_add_co_u32_e64 v40, s[20:21], -1, v7
; %bb.1244:                             ;   in Loop: Header=BB2_939 Depth=2
	s_or_b64 exec, exec, s[94:95]
	v_add_u32_e32 v5, 0xffffff81, v5
	v_cndmask_b32_e32 v5, v5, v44, vcc
	v_lshrrev_b32_e32 v7, 23, v10
	v_add3_u32 v7, v6, v5, v7
	v_add_u32_e32 v6, 6, v7
	v_and_b32_e32 v5, 0xfffff, v40
	v_add_u32_e32 v32, v5, v10
	v_cmp_ne_u32_e32 vcc, 0, v6
                                        ; implicit-def: $vgpr10_vgpr11
                                        ; implicit-def: $vgpr5
	s_and_saveexec_b64 s[20:21], vcc
	s_xor_b64 s[20:21], exec, s[20:21]
; %bb.1245:                             ;   in Loop: Header=BB2_939 Depth=2
	v_cmp_lt_u64_e32 vcc, s[60:61], v[32:33]
	v_add_u32_e32 v5, 7, v7
	v_cndmask_b32_e32 v5, v6, v5, vcc
	v_cndmask_b32_e64 v6, 0, 1, vcc
	v_lshrrev_b64 v[10:11], v6, v[32:33]
; %bb.1246:                             ;   in Loop: Header=BB2_939 Depth=2
	s_andn2_saveexec_b64 s[20:21], s[20:21]
; %bb.1247:                             ;   in Loop: Header=BB2_939 Depth=2
	v_mov_b32_e32 v10, v32
	v_bfe_u32 v5, v32, 23, 1
	v_mov_b32_e32 v11, v33
; %bb.1248:                             ;   in Loop: Header=BB2_939 Depth=2
	s_or_b64 exec, exec, s[20:21]
	v_lshrrev_b64 v[6:7], 20, v[10:11]
	v_cmp_gt_i32_e32 vcc, 16, v5
	v_cndmask_b32_e32 v7, 0, v7, vcc
	v_cndmask_b32_e32 v6, 7, v6, vcc
	v_cmp_eq_u32_e32 vcc, 0, v5
	v_min_i32_e32 v5, 15, v5
	v_cmp_eq_u64_e64 s[20:21], 0, v[6:7]
	v_lshlrev_b32_e32 v5, 3, v5
	v_and_b32_e32 v5, 0xf8, v5
	v_and_or_b32 v5, v6, 7, v5
	s_and_b64 s[20:21], vcc, s[20:21]
	v_cndmask_b32_e64 v5, v5, 0, s[20:21]
	v_or_b32_e32 v28, v5, v4
.LBB2_1249:                             ;   in Loop: Header=BB2_939 Depth=2
	s_or_b64 exec, exec, s[92:93]
                                        ; implicit-def: $vgpr4
.LBB2_1250:                             ;   in Loop: Header=BB2_939 Depth=2
	s_andn2_saveexec_b64 s[20:21], s[90:91]
; %bb.1251:                             ;   in Loop: Header=BB2_939 Depth=2
	v_or_b32_e32 v28, 0x7e, v4
; %bb.1252:                             ;   in Loop: Header=BB2_939 Depth=2
	s_or_b64 exec, exec, s[20:21]
                                        ; implicit-def: $vgpr5
.LBB2_1253:                             ;   in Loop: Header=BB2_939 Depth=2
	s_andn2_saveexec_b64 s[20:21], s[88:89]
; %bb.1254:                             ;   in Loop: Header=BB2_939 Depth=2
	v_or_b32_sdwa v28, v5, s51 dst_sel:DWORD dst_unused:UNUSED_PAD src0_sel:BYTE_3 src1_sel:DWORD
; %bb.1255:                             ;   in Loop: Header=BB2_939 Depth=2
	s_or_b64 exec, exec, s[20:21]
	v_lshrrev_b32_e32 v10, 16, v13
	v_cmp_ne_u16_sdwa s[88:89], v10, v33 src0_sel:BYTE_0 src1_sel:DWORD
	v_mov_b32_e32 v4, 0
	s_and_saveexec_b64 s[20:21], s[88:89]
	s_cbranch_execz .LBB2_1261
; %bb.1256:                             ;   in Loop: Header=BB2_939 Depth=2
	v_cmp_ne_u16_sdwa s[90:91], v10, s53 src0_sel:BYTE_0 src1_sel:DWORD
	v_bfrev_b32_e32 v4, 1
	s_and_saveexec_b64 s[88:89], s[90:91]
	s_cbranch_execz .LBB2_1260
; %bb.1257:                             ;   in Loop: Header=BB2_939 Depth=2
	v_bfe_u32 v5, v13, 16, 7
	v_cmp_ne_u32_e32 vcc, s51, v5
	v_mov_b32_e32 v4, 0x7f800001
	s_and_saveexec_b64 s[90:91], vcc
	s_cbranch_execz .LBB2_1259
; %bb.1258:                             ;   in Loop: Header=BB2_939 Depth=2
	v_and_b32_e32 v6, 7, v10
	v_ffbh_u32_e32 v4, v6
	v_min_u32_e32 v8, 32, v4
	v_subrev_u32_e32 v4, 28, v8
	v_lshrrev_b32_e32 v7, 3, v5
	v_cmp_gt_u32_e32 vcc, 8, v5
	v_lshlrev_b64 v[4:5], v4, v[10:11]
	v_sub_u32_e32 v5, 29, v8
	v_and_b32_e32 v4, 7, v4
	v_cndmask_b32_e32 v5, v7, v5, vcc
	v_cndmask_b32_e32 v4, v6, v4, vcc
	v_lshlrev_b32_e32 v6, 24, v10
	v_lshlrev_b32_e32 v4, 20, v4
	v_and_b32_e32 v6, 0x80000000, v6
	v_lshl_add_u32 v5, v5, 23, v3
	v_or3_b32 v4, v6, v5, v4
.LBB2_1259:                             ;   in Loop: Header=BB2_939 Depth=2
	s_or_b64 exec, exec, s[90:91]
.LBB2_1260:                             ;   in Loop: Header=BB2_939 Depth=2
	s_or_b64 exec, exec, s[88:89]
.LBB2_1261:                             ;   in Loop: Header=BB2_939 Depth=2
	s_or_b64 exec, exec, s[20:21]
	v_mul_f32_e32 v5, v14, v4
	v_and_b32_e32 v32, 0x7f800000, v5
	v_cmp_ne_u64_e32 vcc, s[56:57], v[32:33]
                                        ; implicit-def: $vgpr62
	s_and_saveexec_b64 s[20:21], vcc
	s_xor_b64 s[88:89], exec, s[20:21]
	s_cbranch_execz .LBB2_1275
; %bb.1262:                             ;   in Loop: Header=BB2_939 Depth=2
	v_and_b32_e32 v32, 0x7fffffff, v5
	v_cmp_gt_u64_e32 vcc, s[58:59], v[32:33]
	v_and_b32_sdwa v4, v5, s53 dst_sel:DWORD dst_unused:UNUSED_PAD src0_sel:BYTE_3 src1_sel:DWORD
                                        ; implicit-def: $vgpr62
	s_and_saveexec_b64 s[20:21], vcc
	s_xor_b64 s[90:91], exec, s[20:21]
	s_cbranch_execz .LBB2_1272
; %bb.1263:                             ;   in Loop: Header=BB2_939 Depth=2
	v_mov_b32_e32 v62, 0
	v_cmp_ne_u32_e32 vcc, 0, v5
	s_and_saveexec_b64 s[92:93], vcc
	s_cbranch_execz .LBB2_1271
; %bb.1264:                             ;   in Loop: Header=BB2_939 Depth=2
	v_and_b32_e32 v7, 0x7fffff, v5
	v_bfe_u32 v5, v5, 23, 8
	v_cmp_gt_u32_e64 s[20:21], s54, v5
	v_sub_u32_e32 v6, 0x79, v5
	v_cmp_eq_u32_e32 vcc, 0, v5
	v_cndmask_b32_e64 v6, 0, v6, s[20:21]
	v_or_b32_e32 v8, 0x800000, v7
	v_cndmask_b32_e32 v6, v6, v47, vcc
	v_cndmask_b32_e32 v32, v8, v7, vcc
	v_add_u32_e32 v7, 20, v6
	v_lshlrev_b64 v[7:8], v7, -1
	v_add_u32_e32 v9, 19, v6
	v_lshlrev_b64 v[9:10], v9, 1
	v_bfi_b32 v8, v8, 0, 0
	v_bfi_b32 v7, v7, 0, v32
	v_cmp_eq_u64_e64 s[20:21], v[7:8], v[9:10]
	v_lshrrev_b64 v[10:11], v6, v[32:33]
	v_mov_b32_e32 v41, v11
	v_mov_b32_e32 v40, v10
	s_and_saveexec_b64 s[94:95], s[20:21]
; %bb.1265:                             ;   in Loop: Header=BB2_939 Depth=2
	v_bfe_u32 v7, v10, 20, 1
	v_add_co_u32_e64 v7, s[20:21], v10, v7
	v_add_co_u32_e64 v40, s[20:21], -1, v7
; %bb.1266:                             ;   in Loop: Header=BB2_939 Depth=2
	s_or_b64 exec, exec, s[94:95]
	v_add_u32_e32 v5, 0xffffff81, v5
	v_cndmask_b32_e32 v5, v5, v44, vcc
	v_lshrrev_b32_e32 v7, 23, v10
	v_add3_u32 v7, v6, v5, v7
	v_add_u32_e32 v6, 6, v7
	v_and_b32_e32 v5, 0xfffff, v40
	v_add_u32_e32 v32, v5, v10
	v_cmp_ne_u32_e32 vcc, 0, v6
                                        ; implicit-def: $vgpr10_vgpr11
                                        ; implicit-def: $vgpr5
	s_and_saveexec_b64 s[20:21], vcc
	s_xor_b64 s[20:21], exec, s[20:21]
; %bb.1267:                             ;   in Loop: Header=BB2_939 Depth=2
	v_cmp_lt_u64_e32 vcc, s[60:61], v[32:33]
	v_add_u32_e32 v5, 7, v7
	v_cndmask_b32_e32 v5, v6, v5, vcc
	v_cndmask_b32_e64 v6, 0, 1, vcc
	v_lshrrev_b64 v[10:11], v6, v[32:33]
; %bb.1268:                             ;   in Loop: Header=BB2_939 Depth=2
	s_andn2_saveexec_b64 s[20:21], s[20:21]
; %bb.1269:                             ;   in Loop: Header=BB2_939 Depth=2
	v_mov_b32_e32 v10, v32
	v_bfe_u32 v5, v32, 23, 1
	v_mov_b32_e32 v11, v33
; %bb.1270:                             ;   in Loop: Header=BB2_939 Depth=2
	s_or_b64 exec, exec, s[20:21]
	v_lshrrev_b64 v[6:7], 20, v[10:11]
	v_cmp_gt_i32_e32 vcc, 16, v5
	v_cndmask_b32_e32 v7, 0, v7, vcc
	v_cndmask_b32_e32 v6, 7, v6, vcc
	v_cmp_eq_u32_e32 vcc, 0, v5
	v_min_i32_e32 v5, 15, v5
	v_cmp_eq_u64_e64 s[20:21], 0, v[6:7]
	v_lshlrev_b32_e32 v5, 3, v5
	v_and_b32_e32 v5, 0xf8, v5
	v_and_or_b32 v5, v6, 7, v5
	s_and_b64 s[20:21], vcc, s[20:21]
	v_cndmask_b32_e64 v5, v5, 0, s[20:21]
	v_or_b32_e32 v62, v5, v4
.LBB2_1271:                             ;   in Loop: Header=BB2_939 Depth=2
	s_or_b64 exec, exec, s[92:93]
                                        ; implicit-def: $vgpr4
.LBB2_1272:                             ;   in Loop: Header=BB2_939 Depth=2
	s_andn2_saveexec_b64 s[20:21], s[90:91]
; %bb.1273:                             ;   in Loop: Header=BB2_939 Depth=2
	v_or_b32_e32 v62, 0x7e, v4
; %bb.1274:                             ;   in Loop: Header=BB2_939 Depth=2
	s_or_b64 exec, exec, s[20:21]
                                        ; implicit-def: $vgpr5
.LBB2_1275:                             ;   in Loop: Header=BB2_939 Depth=2
	s_andn2_saveexec_b64 s[20:21], s[88:89]
; %bb.1276:                             ;   in Loop: Header=BB2_939 Depth=2
	v_or_b32_sdwa v62, v5, s51 dst_sel:DWORD dst_unused:UNUSED_PAD src0_sel:BYTE_3 src1_sel:DWORD
; %bb.1277:                             ;   in Loop: Header=BB2_939 Depth=2
	s_or_b64 exec, exec, s[20:21]
	v_cmp_lt_u64_e32 vcc, s[62:63], v[12:13]
	v_mov_b32_e32 v4, 0
	s_and_saveexec_b64 s[20:21], vcc
	s_cbranch_execz .LBB2_1283
; %bb.1278:                             ;   in Loop: Header=BB2_939 Depth=2
	v_lshrrev_b32_e32 v10, 24, v13
	v_cmp_ne_u32_e32 vcc, s53, v10
	v_bfrev_b32_e32 v4, 1
	s_and_saveexec_b64 s[88:89], vcc
	s_cbranch_execz .LBB2_1282
; %bb.1279:                             ;   in Loop: Header=BB2_939 Depth=2
	v_bfe_u32 v5, v13, 24, 7
	v_cmp_ne_u32_e32 vcc, s51, v5
	v_mov_b32_e32 v4, 0x7f800001
	s_and_saveexec_b64 s[90:91], vcc
	s_cbranch_execz .LBB2_1281
; %bb.1280:                             ;   in Loop: Header=BB2_939 Depth=2
	v_and_b32_e32 v6, 7, v10
	v_ffbh_u32_e32 v4, v6
	v_min_u32_e32 v8, 32, v4
	v_subrev_u32_e32 v4, 28, v8
	v_lshrrev_b32_e32 v7, 3, v5
	v_cmp_gt_u32_e32 vcc, 8, v5
	v_lshlrev_b64 v[4:5], v4, v[10:11]
	v_sub_u32_e32 v5, 29, v8
	v_and_b32_e32 v4, 7, v4
	v_cndmask_b32_e32 v5, v7, v5, vcc
	v_cndmask_b32_e32 v4, v6, v4, vcc
	v_lshlrev_b32_e32 v6, 24, v10
	v_lshlrev_b32_e32 v4, 20, v4
	v_and_b32_e32 v6, 0x80000000, v6
	v_lshl_add_u32 v5, v5, 23, v3
	v_or3_b32 v4, v6, v5, v4
.LBB2_1281:                             ;   in Loop: Header=BB2_939 Depth=2
	s_or_b64 exec, exec, s[90:91]
.LBB2_1282:                             ;   in Loop: Header=BB2_939 Depth=2
	s_or_b64 exec, exec, s[88:89]
.LBB2_1283:                             ;   in Loop: Header=BB2_939 Depth=2
	s_or_b64 exec, exec, s[20:21]
	v_mul_f32_e32 v5, v14, v4
	v_and_b32_e32 v32, 0x7f800000, v5
	v_cmp_ne_u64_e32 vcc, s[56:57], v[32:33]
                                        ; implicit-def: $vgpr20
	s_and_saveexec_b64 s[20:21], vcc
	s_xor_b64 s[88:89], exec, s[20:21]
	s_cbranch_execz .LBB2_1297
; %bb.1284:                             ;   in Loop: Header=BB2_939 Depth=2
	v_and_b32_e32 v32, 0x7fffffff, v5
	v_cmp_gt_u64_e32 vcc, s[58:59], v[32:33]
	v_and_b32_sdwa v4, v5, s53 dst_sel:DWORD dst_unused:UNUSED_PAD src0_sel:BYTE_3 src1_sel:DWORD
                                        ; implicit-def: $vgpr20
	s_and_saveexec_b64 s[20:21], vcc
	s_xor_b64 s[90:91], exec, s[20:21]
	s_cbranch_execz .LBB2_1294
; %bb.1285:                             ;   in Loop: Header=BB2_939 Depth=2
	v_mov_b32_e32 v20, 0
	v_cmp_ne_u32_e32 vcc, 0, v5
	s_and_saveexec_b64 s[92:93], vcc
	s_cbranch_execz .LBB2_1293
; %bb.1286:                             ;   in Loop: Header=BB2_939 Depth=2
	v_and_b32_e32 v7, 0x7fffff, v5
	v_bfe_u32 v5, v5, 23, 8
	v_cmp_gt_u32_e64 s[20:21], s54, v5
	v_sub_u32_e32 v6, 0x79, v5
	v_cmp_eq_u32_e32 vcc, 0, v5
	v_cndmask_b32_e64 v6, 0, v6, s[20:21]
	v_or_b32_e32 v8, 0x800000, v7
	v_cndmask_b32_e32 v6, v6, v47, vcc
	v_cndmask_b32_e32 v32, v8, v7, vcc
	v_add_u32_e32 v7, 20, v6
	v_lshlrev_b64 v[7:8], v7, -1
	v_add_u32_e32 v9, 19, v6
	v_lshlrev_b64 v[9:10], v9, 1
	v_bfi_b32 v8, v8, 0, 0
	v_bfi_b32 v7, v7, 0, v32
	v_cmp_eq_u64_e64 s[20:21], v[7:8], v[9:10]
	v_lshrrev_b64 v[10:11], v6, v[32:33]
	v_mov_b32_e32 v12, v11
	v_mov_b32_e32 v11, v10
	s_and_saveexec_b64 s[94:95], s[20:21]
; %bb.1287:                             ;   in Loop: Header=BB2_939 Depth=2
	v_bfe_u32 v7, v10, 20, 1
	v_add_co_u32_e64 v7, s[20:21], v10, v7
	v_add_co_u32_e64 v11, s[20:21], -1, v7
; %bb.1288:                             ;   in Loop: Header=BB2_939 Depth=2
	s_or_b64 exec, exec, s[94:95]
	v_add_u32_e32 v5, 0xffffff81, v5
	v_cndmask_b32_e32 v5, v5, v44, vcc
	v_lshrrev_b32_e32 v7, 23, v10
	v_add3_u32 v7, v6, v5, v7
	v_add_u32_e32 v6, 6, v7
	v_and_b32_e32 v5, 0xfffff, v11
	v_add_u32_e32 v32, v5, v10
	v_cmp_ne_u32_e32 vcc, 0, v6
                                        ; implicit-def: $vgpr10_vgpr11
                                        ; implicit-def: $vgpr5
	s_and_saveexec_b64 s[20:21], vcc
	s_xor_b64 s[20:21], exec, s[20:21]
; %bb.1289:                             ;   in Loop: Header=BB2_939 Depth=2
	v_cmp_lt_u64_e32 vcc, s[60:61], v[32:33]
	v_add_u32_e32 v5, 7, v7
	v_cndmask_b32_e32 v5, v6, v5, vcc
	v_cndmask_b32_e64 v6, 0, 1, vcc
	v_lshrrev_b64 v[10:11], v6, v[32:33]
; %bb.1290:                             ;   in Loop: Header=BB2_939 Depth=2
	s_andn2_saveexec_b64 s[20:21], s[20:21]
; %bb.1291:                             ;   in Loop: Header=BB2_939 Depth=2
	v_mov_b32_e32 v10, v32
	v_bfe_u32 v5, v32, 23, 1
	v_mov_b32_e32 v11, v33
; %bb.1292:                             ;   in Loop: Header=BB2_939 Depth=2
	s_or_b64 exec, exec, s[20:21]
	v_lshrrev_b64 v[6:7], 20, v[10:11]
	v_cmp_gt_i32_e32 vcc, 16, v5
	v_cndmask_b32_e32 v7, 0, v7, vcc
	v_cndmask_b32_e32 v6, 7, v6, vcc
	v_cmp_eq_u32_e32 vcc, 0, v5
	v_min_i32_e32 v5, 15, v5
	v_cmp_eq_u64_e64 s[20:21], 0, v[6:7]
	v_lshlrev_b32_e32 v5, 3, v5
	v_and_b32_e32 v5, 0xf8, v5
	v_and_or_b32 v5, v6, 7, v5
	s_and_b64 s[20:21], vcc, s[20:21]
	v_cndmask_b32_e64 v5, v5, 0, s[20:21]
	v_or_b32_e32 v20, v5, v4
.LBB2_1293:                             ;   in Loop: Header=BB2_939 Depth=2
	s_or_b64 exec, exec, s[92:93]
                                        ; implicit-def: $vgpr4
.LBB2_1294:                             ;   in Loop: Header=BB2_939 Depth=2
	s_andn2_saveexec_b64 s[20:21], s[90:91]
; %bb.1295:                             ;   in Loop: Header=BB2_939 Depth=2
	v_or_b32_e32 v20, 0x7e, v4
; %bb.1296:                             ;   in Loop: Header=BB2_939 Depth=2
	s_or_b64 exec, exec, s[20:21]
                                        ; implicit-def: $vgpr5
.LBB2_1297:                             ;   in Loop: Header=BB2_939 Depth=2
	s_andn2_saveexec_b64 s[20:21], s[88:89]
; %bb.1298:                             ;   in Loop: Header=BB2_939 Depth=2
	v_or_b32_sdwa v20, v5, s51 dst_sel:DWORD dst_unused:UNUSED_PAD src0_sel:BYTE_3 src1_sel:DWORD
; %bb.1299:                             ;   in Loop: Header=BB2_939 Depth=2
	s_or_b64 exec, exec, s[20:21]
	global_load_dwordx4 v[10:13], v[52:53], off glc slc
	v_lshl_or_b32 v4, v39, 8, v0
	v_lshlrev_b32_e32 v5, 16, v49
	v_lshlrev_b32_e32 v6, 24, v46
	v_or3_b32 v32, v5, v6, v4
	v_cmp_ne_u32_e32 vcc, 0, v0
	v_mov_b32_e32 v5, 0
	s_and_saveexec_b64 s[20:21], vcc
	s_cbranch_execz .LBB2_1305
; %bb.1300:                             ;   in Loop: Header=BB2_939 Depth=2
	v_cmp_ne_u32_e32 vcc, s53, v0
	v_bfrev_b32_e32 v5, 1
	s_and_saveexec_b64 s[88:89], vcc
	s_cbranch_execz .LBB2_1304
; %bb.1301:                             ;   in Loop: Header=BB2_939 Depth=2
	v_and_b32_e32 v6, 0x7f, v0
	v_cmp_ne_u32_e32 vcc, s51, v6
	v_mov_b32_e32 v5, 0x7f800001
	s_and_saveexec_b64 s[90:91], vcc
	s_cbranch_execz .LBB2_1303
; %bb.1302:                             ;   in Loop: Header=BB2_939 Depth=2
	v_and_b32_e32 v0, 7, v0
	v_ffbh_u32_e32 v0, v0
	v_min_u32_e32 v0, 32, v0
	v_lshrrev_b32_e32 v5, 3, v6
	v_cmp_gt_u32_e32 vcc, 8, v6
	v_subrev_u32_e32 v6, 28, v0
	v_sub_u32_e32 v0, 29, v0
	v_cndmask_b32_e32 v0, v5, v0, vcc
	v_cndmask_b32_e32 v5, 0, v6, vcc
	v_lshlrev_b64 v[5:6], v5, v[32:33]
	v_lshlrev_b32_e32 v6, 24, v32
	v_lshlrev_b32_e32 v5, 20, v5
	v_and_b32_e32 v5, 0x700000, v5
	v_and_b32_e32 v6, 0x80000000, v6
	v_lshl_add_u32 v0, v0, 23, v3
	v_or3_b32 v5, v6, v0, v5
.LBB2_1303:                             ;   in Loop: Header=BB2_939 Depth=2
	s_or_b64 exec, exec, s[90:91]
.LBB2_1304:                             ;   in Loop: Header=BB2_939 Depth=2
	s_or_b64 exec, exec, s[88:89]
.LBB2_1305:                             ;   in Loop: Header=BB2_939 Depth=2
	s_or_b64 exec, exec, s[20:21]
	s_waitcnt vmcnt(0)
	v_cmp_gt_i16_sdwa s[88:89], v10, s51 src0_sel:BYTE_0 src1_sel:DWORD
	s_mov_b64 s[20:21], 0
	s_and_saveexec_b64 s[90:91], s[88:89]
	s_xor_b64 s[88:89], exec, s[90:91]
	s_cbranch_execnz .LBB2_1707
; %bb.1306:                             ;   in Loop: Header=BB2_939 Depth=2
	s_or_saveexec_b64 s[88:89], s[88:89]
	v_bfrev_b32_e32 v0, 1
	s_xor_b64 exec, exec, s[88:89]
	s_cbranch_execnz .LBB2_1710
.LBB2_1307:                             ;   in Loop: Header=BB2_939 Depth=2
	s_or_b64 exec, exec, s[88:89]
	s_and_saveexec_b64 s[88:89], s[20:21]
	s_cbranch_execz .LBB2_1309
.LBB2_1308:                             ;   in Loop: Header=BB2_939 Depth=2
	v_and_b32_e32 v0, 7, v10
	v_ffbh_u32_e32 v0, v0
	v_and_b32_e32 v8, 0x7f, v10
	v_min_u32_e32 v0, 32, v0
	v_bfe_u32 v6, v10, 3, 4
	v_subrev_u32_e32 v7, 28, v0
	v_sub_u32_e32 v0, 29, v0
	v_cmp_gt_u32_e32 vcc, 8, v8
	v_cndmask_b32_e32 v0, v6, v0, vcc
	v_cndmask_b32_e32 v6, 0, v7, vcc
	v_lshlrev_b64 v[6:7], v6, v[10:11]
	v_lshlrev_b32_e32 v7, 24, v10
	v_lshlrev_b32_e32 v6, 20, v6
	v_and_b32_e32 v6, 0x700000, v6
	v_and_b32_e32 v7, 0x80000000, v7
	v_lshl_add_u32 v0, v0, 23, v3
	v_or3_b32 v0, v7, v0, v6
	v_cmp_ne_u32_e32 vcc, s51, v8
	v_cndmask_b32_e32 v0, v2, v0, vcc
.LBB2_1309:                             ;   in Loop: Header=BB2_939 Depth=2
	s_or_b64 exec, exec, s[88:89]
	v_add_f32_e32 v14, v5, v0
	v_and_b32_e32 v5, 0x7f800000, v14
	v_mov_b32_e32 v6, v33
	v_cmp_ne_u64_e32 vcc, s[56:57], v[5:6]
                                        ; implicit-def: $vgpr0
	s_and_saveexec_b64 s[20:21], vcc
	s_xor_b64 s[88:89], exec, s[20:21]
	s_cbranch_execz .LBB2_1323
; %bb.1310:                             ;   in Loop: Header=BB2_939 Depth=2
	v_and_b32_e32 v5, 0x7fffffff, v14
	v_mov_b32_e32 v6, v33
	v_cmp_gt_u64_e32 vcc, s[58:59], v[5:6]
	v_and_b32_sdwa v5, v14, s53 dst_sel:DWORD dst_unused:UNUSED_PAD src0_sel:BYTE_3 src1_sel:DWORD
                                        ; implicit-def: $vgpr0
	s_and_saveexec_b64 s[20:21], vcc
	s_xor_b64 s[90:91], exec, s[20:21]
	s_cbranch_execz .LBB2_1320
; %bb.1311:                             ;   in Loop: Header=BB2_939 Depth=2
	v_mov_b32_e32 v0, 0
	v_cmp_ne_u32_e32 vcc, 0, v14
	s_and_saveexec_b64 s[92:93], vcc
	s_cbranch_execz .LBB2_1319
; %bb.1312:                             ;   in Loop: Header=BB2_939 Depth=2
	v_bfe_u32 v0, v14, 23, 8
	v_cmp_gt_u32_e64 s[20:21], s54, v0
	v_sub_u32_e32 v6, 0x79, v0
	v_cmp_eq_u32_e32 vcc, 0, v0
	v_cndmask_b32_e64 v6, 0, v6, s[20:21]
	v_and_b32_e32 v7, 0x7fffff, v14
	v_cndmask_b32_e32 v6, v6, v47, vcc
	v_or_b32_e32 v8, 0x800000, v7
	v_add_u32_e32 v9, 20, v6
	v_cndmask_b32_e32 v7, v8, v7, vcc
	v_mov_b32_e32 v8, v33
	v_lshlrev_b64 v[22:23], v9, -1
	v_add_u32_e32 v9, 19, v6
	v_lshlrev_b64 v[26:27], v9, 1
	v_lshrrev_b64 v[40:41], v6, v[7:8]
	v_bfi_b32 v23, v23, 0, 0
	v_bfi_b32 v22, v22, 0, v7
	v_cmp_eq_u64_e64 s[20:21], v[22:23], v[26:27]
	v_mov_b32_e32 v42, v41
	v_mov_b32_e32 v41, v40
	s_and_saveexec_b64 s[94:95], s[20:21]
; %bb.1313:                             ;   in Loop: Header=BB2_939 Depth=2
	v_bfe_u32 v7, v40, 20, 1
	v_add_co_u32_e64 v7, s[20:21], v40, v7
	v_add_co_u32_e64 v41, s[20:21], -1, v7
; %bb.1314:                             ;   in Loop: Header=BB2_939 Depth=2
	s_or_b64 exec, exec, s[94:95]
	v_add_u32_e32 v0, 0xffffff81, v0
	v_cndmask_b32_e32 v0, v0, v44, vcc
	v_lshrrev_b32_e32 v7, 23, v40
	v_add3_u32 v7, v6, v0, v7
	v_add_u32_e32 v6, 6, v7
	v_and_b32_e32 v0, 0xfffff, v41
	v_add_u32_e32 v40, v0, v40
	v_mov_b32_e32 v41, v33
	v_cmp_ne_u32_e32 vcc, 0, v6
                                        ; implicit-def: $vgpr0
	s_and_saveexec_b64 s[20:21], vcc
	s_xor_b64 s[20:21], exec, s[20:21]
; %bb.1315:                             ;   in Loop: Header=BB2_939 Depth=2
	v_cmp_lt_u64_e32 vcc, s[60:61], v[40:41]
	v_add_u32_e32 v0, 7, v7
	v_cndmask_b32_e32 v0, v6, v0, vcc
	v_cndmask_b32_e64 v6, 0, 1, vcc
	v_lshrrev_b64 v[40:41], v6, v[40:41]
; %bb.1316:                             ;   in Loop: Header=BB2_939 Depth=2
	s_andn2_saveexec_b64 s[20:21], s[20:21]
; %bb.1317:                             ;   in Loop: Header=BB2_939 Depth=2
	v_bfe_u32 v0, v40, 23, 1
; %bb.1318:                             ;   in Loop: Header=BB2_939 Depth=2
	s_or_b64 exec, exec, s[20:21]
	v_lshrrev_b64 v[6:7], 20, v[40:41]
	v_cmp_gt_i32_e32 vcc, 16, v0
	v_cndmask_b32_e32 v7, 0, v7, vcc
	v_cndmask_b32_e32 v6, 7, v6, vcc
	v_cmp_eq_u32_e32 vcc, 0, v0
	v_min_i32_e32 v0, 15, v0
	v_cmp_eq_u64_e64 s[20:21], 0, v[6:7]
	v_lshlrev_b32_e32 v0, 3, v0
	v_and_b32_e32 v0, 0xf8, v0
	v_and_or_b32 v0, v6, 7, v0
	s_and_b64 s[20:21], vcc, s[20:21]
	v_cndmask_b32_e64 v0, v0, 0, s[20:21]
	v_or_b32_e32 v0, v0, v5
.LBB2_1319:                             ;   in Loop: Header=BB2_939 Depth=2
	s_or_b64 exec, exec, s[92:93]
                                        ; implicit-def: $vgpr5
.LBB2_1320:                             ;   in Loop: Header=BB2_939 Depth=2
	s_andn2_saveexec_b64 s[20:21], s[90:91]
; %bb.1321:                             ;   in Loop: Header=BB2_939 Depth=2
	v_or_b32_e32 v0, 0x7e, v5
; %bb.1322:                             ;   in Loop: Header=BB2_939 Depth=2
	s_or_b64 exec, exec, s[20:21]
                                        ; implicit-def: $vgpr14
.LBB2_1323:                             ;   in Loop: Header=BB2_939 Depth=2
	s_andn2_saveexec_b64 s[20:21], s[88:89]
; %bb.1324:                             ;   in Loop: Header=BB2_939 Depth=2
	v_or_b32_sdwa v0, v14, s51 dst_sel:DWORD dst_unused:UNUSED_PAD src0_sel:BYTE_3 src1_sel:DWORD
; %bb.1325:                             ;   in Loop: Header=BB2_939 Depth=2
	s_or_b64 exec, exec, s[20:21]
	v_lshrrev_b16_e32 v30, 8, v4
	v_cmp_ne_u16_e32 vcc, 0, v30
	v_mov_b32_e32 v5, 0
	s_and_saveexec_b64 s[20:21], vcc
	s_cbranch_execz .LBB2_1331
; %bb.1326:                             ;   in Loop: Header=BB2_939 Depth=2
	v_cmp_ne_u16_e32 vcc, s53, v30
	v_bfrev_b32_e32 v5, 1
	s_and_saveexec_b64 s[88:89], vcc
	s_cbranch_execz .LBB2_1330
; %bb.1327:                             ;   in Loop: Header=BB2_939 Depth=2
	v_and_b32_e32 v6, 0x7f, v30
	v_cmp_ne_u32_e32 vcc, s51, v6
	v_mov_b32_e32 v5, 0x7f800001
	s_and_saveexec_b64 s[90:91], vcc
	s_cbranch_execz .LBB2_1329
; %bb.1328:                             ;   in Loop: Header=BB2_939 Depth=2
	v_and_b32_e32 v7, 7, v30
	v_ffbh_u32_e32 v5, v7
	v_min_u32_e32 v9, 32, v5
	v_subrev_u32_e32 v5, 28, v9
	v_lshrrev_b32_e32 v8, 3, v6
	v_cmp_gt_u32_e32 vcc, 8, v6
	v_lshlrev_b64 v[5:6], v5, v[30:31]
	v_sub_u32_e32 v6, 29, v9
	v_and_b32_e32 v5, 7, v5
	v_cndmask_b32_e32 v6, v8, v6, vcc
	v_cndmask_b32_e32 v5, v7, v5, vcc
	v_lshlrev_b32_e32 v4, 16, v4
	v_lshlrev_b32_e32 v5, 20, v5
	v_and_b32_e32 v4, 0x80000000, v4
	v_lshl_add_u32 v6, v6, 23, v3
	v_or3_b32 v5, v4, v6, v5
.LBB2_1329:                             ;   in Loop: Header=BB2_939 Depth=2
	s_or_b64 exec, exec, s[90:91]
.LBB2_1330:                             ;   in Loop: Header=BB2_939 Depth=2
	s_or_b64 exec, exec, s[88:89]
.LBB2_1331:                             ;   in Loop: Header=BB2_939 Depth=2
	s_or_b64 exec, exec, s[20:21]
	v_lshrrev_b16_e32 v40, 8, v10
	v_cmp_lt_i16_e32 vcc, s51, v40
	s_mov_b64 s[20:21], 0
	s_and_saveexec_b64 s[88:89], vcc
	s_xor_b64 s[88:89], exec, s[88:89]
	s_cbranch_execnz .LBB2_1711
; %bb.1332:                             ;   in Loop: Header=BB2_939 Depth=2
	s_or_saveexec_b64 s[88:89], s[88:89]
	v_bfrev_b32_e32 v4, 1
	s_xor_b64 exec, exec, s[88:89]
	s_cbranch_execnz .LBB2_1714
.LBB2_1333:                             ;   in Loop: Header=BB2_939 Depth=2
	s_or_b64 exec, exec, s[88:89]
	s_and_saveexec_b64 s[88:89], s[20:21]
	s_cbranch_execz .LBB2_1335
.LBB2_1334:                             ;   in Loop: Header=BB2_939 Depth=2
	v_and_b32_e32 v4, 7, v40
	v_ffbh_u32_e32 v6, v4
	v_min_u32_e32 v14, 32, v6
	v_mov_b32_e32 v41, v33
	v_subrev_u32_e32 v6, 28, v14
	v_lshlrev_b64 v[6:7], v6, v[40:41]
	v_and_b32_e32 v8, 0x7f, v40
	v_bfe_u32 v9, v40, 3, 4
	v_sub_u32_e32 v7, 29, v14
	v_and_b32_e32 v6, 7, v6
	v_cmp_gt_u32_e32 vcc, 8, v8
	v_cndmask_b32_e32 v7, v9, v7, vcc
	v_cndmask_b32_e32 v4, v4, v6, vcc
	v_lshlrev_b32_e32 v6, 24, v40
	v_lshlrev_b32_e32 v4, 20, v4
	v_and_b32_e32 v6, 0x80000000, v6
	v_lshl_add_u32 v7, v7, 23, v3
	v_or3_b32 v4, v6, v7, v4
	v_cmp_ne_u32_e32 vcc, s51, v8
	v_cndmask_b32_e32 v4, v2, v4, vcc
.LBB2_1335:                             ;   in Loop: Header=BB2_939 Depth=2
	s_or_b64 exec, exec, s[88:89]
	v_add_f32_e32 v5, v5, v4
	v_and_b32_e32 v6, 0x7f800000, v5
	v_mov_b32_e32 v7, v33
	v_cmp_ne_u64_e32 vcc, s[56:57], v[6:7]
                                        ; implicit-def: $vgpr14
	s_and_saveexec_b64 s[20:21], vcc
	s_xor_b64 s[88:89], exec, s[20:21]
	s_cbranch_execz .LBB2_1349
; %bb.1336:                             ;   in Loop: Header=BB2_939 Depth=2
	v_and_b32_e32 v6, 0x7fffffff, v5
	v_mov_b32_e32 v7, v33
	v_cmp_gt_u64_e32 vcc, s[58:59], v[6:7]
	v_and_b32_sdwa v4, v5, s53 dst_sel:DWORD dst_unused:UNUSED_PAD src0_sel:BYTE_3 src1_sel:DWORD
                                        ; implicit-def: $vgpr14
	s_and_saveexec_b64 s[20:21], vcc
	s_xor_b64 s[90:91], exec, s[20:21]
	s_cbranch_execz .LBB2_1346
; %bb.1337:                             ;   in Loop: Header=BB2_939 Depth=2
	v_mov_b32_e32 v14, 0
	v_cmp_ne_u32_e32 vcc, 0, v5
	s_and_saveexec_b64 s[92:93], vcc
	s_cbranch_execz .LBB2_1345
; %bb.1338:                             ;   in Loop: Header=BB2_939 Depth=2
	v_and_b32_e32 v7, 0x7fffff, v5
	v_bfe_u32 v5, v5, 23, 8
	v_cmp_gt_u32_e64 s[20:21], s54, v5
	v_sub_u32_e32 v6, 0x79, v5
	v_cmp_eq_u32_e32 vcc, 0, v5
	v_cndmask_b32_e64 v6, 0, v6, s[20:21]
	v_cndmask_b32_e32 v6, v6, v47, vcc
	v_or_b32_e32 v8, 0x800000, v7
	v_add_u32_e32 v9, 20, v6
	v_cndmask_b32_e32 v7, v8, v7, vcc
	v_mov_b32_e32 v8, v33
	v_lshlrev_b64 v[22:23], v9, -1
	v_add_u32_e32 v9, 19, v6
	v_lshlrev_b64 v[26:27], v9, 1
	v_lshrrev_b64 v[40:41], v6, v[7:8]
	v_bfi_b32 v23, v23, 0, 0
	v_bfi_b32 v22, v22, 0, v7
	v_cmp_eq_u64_e64 s[20:21], v[22:23], v[26:27]
	v_mov_b32_e32 v42, v41
	v_mov_b32_e32 v41, v40
	s_and_saveexec_b64 s[94:95], s[20:21]
; %bb.1339:                             ;   in Loop: Header=BB2_939 Depth=2
	v_bfe_u32 v7, v40, 20, 1
	v_add_co_u32_e64 v7, s[20:21], v40, v7
	v_add_co_u32_e64 v41, s[20:21], -1, v7
; %bb.1340:                             ;   in Loop: Header=BB2_939 Depth=2
	s_or_b64 exec, exec, s[94:95]
	v_add_u32_e32 v5, 0xffffff81, v5
	v_cndmask_b32_e32 v5, v5, v44, vcc
	v_lshrrev_b32_e32 v7, 23, v40
	v_add3_u32 v7, v6, v5, v7
	v_add_u32_e32 v6, 6, v7
	v_and_b32_e32 v5, 0xfffff, v41
	v_add_u32_e32 v40, v5, v40
	v_mov_b32_e32 v41, v33
	v_cmp_ne_u32_e32 vcc, 0, v6
                                        ; implicit-def: $vgpr5
	s_and_saveexec_b64 s[20:21], vcc
	s_xor_b64 s[20:21], exec, s[20:21]
; %bb.1341:                             ;   in Loop: Header=BB2_939 Depth=2
	v_cmp_lt_u64_e32 vcc, s[60:61], v[40:41]
	v_add_u32_e32 v5, 7, v7
	v_cndmask_b32_e32 v5, v6, v5, vcc
	v_cndmask_b32_e64 v6, 0, 1, vcc
	v_lshrrev_b64 v[40:41], v6, v[40:41]
; %bb.1342:                             ;   in Loop: Header=BB2_939 Depth=2
	s_andn2_saveexec_b64 s[20:21], s[20:21]
; %bb.1343:                             ;   in Loop: Header=BB2_939 Depth=2
	v_bfe_u32 v5, v40, 23, 1
; %bb.1344:                             ;   in Loop: Header=BB2_939 Depth=2
	s_or_b64 exec, exec, s[20:21]
	v_lshrrev_b64 v[6:7], 20, v[40:41]
	v_cmp_gt_i32_e32 vcc, 16, v5
	v_cndmask_b32_e32 v7, 0, v7, vcc
	v_cndmask_b32_e32 v6, 7, v6, vcc
	v_cmp_eq_u32_e32 vcc, 0, v5
	v_min_i32_e32 v5, 15, v5
	v_cmp_eq_u64_e64 s[20:21], 0, v[6:7]
	v_lshlrev_b32_e32 v5, 3, v5
	v_and_b32_e32 v5, 0xf8, v5
	v_and_or_b32 v5, v6, 7, v5
	s_and_b64 s[20:21], vcc, s[20:21]
	v_cndmask_b32_e64 v5, v5, 0, s[20:21]
	v_or_b32_e32 v14, v5, v4
.LBB2_1345:                             ;   in Loop: Header=BB2_939 Depth=2
	s_or_b64 exec, exec, s[92:93]
                                        ; implicit-def: $vgpr4
.LBB2_1346:                             ;   in Loop: Header=BB2_939 Depth=2
	s_andn2_saveexec_b64 s[20:21], s[90:91]
; %bb.1347:                             ;   in Loop: Header=BB2_939 Depth=2
	v_or_b32_e32 v14, 0x7e, v4
; %bb.1348:                             ;   in Loop: Header=BB2_939 Depth=2
	s_or_b64 exec, exec, s[20:21]
                                        ; implicit-def: $vgpr5
.LBB2_1349:                             ;   in Loop: Header=BB2_939 Depth=2
	s_andn2_saveexec_b64 s[20:21], s[88:89]
; %bb.1350:                             ;   in Loop: Header=BB2_939 Depth=2
	v_or_b32_sdwa v14, v5, s51 dst_sel:DWORD dst_unused:UNUSED_PAD src0_sel:BYTE_3 src1_sel:DWORD
; %bb.1351:                             ;   in Loop: Header=BB2_939 Depth=2
	s_or_b64 exec, exec, s[20:21]
	v_and_b32_sdwa v5, v32, s52 dst_sel:DWORD dst_unused:UNUSED_PAD src0_sel:WORD_1 src1_sel:DWORD
	v_lshrrev_b32_e32 v30, 16, v32
	v_cmp_ne_u16_e32 vcc, 0, v5
	v_mov_b32_e32 v4, 0
	s_and_saveexec_b64 s[20:21], vcc
	s_cbranch_execz .LBB2_1357
; %bb.1352:                             ;   in Loop: Header=BB2_939 Depth=2
	v_cmp_ne_u16_e32 vcc, s53, v5
	v_bfrev_b32_e32 v4, 1
	s_and_saveexec_b64 s[88:89], vcc
	s_cbranch_execz .LBB2_1356
; %bb.1353:                             ;   in Loop: Header=BB2_939 Depth=2
	v_bfe_u32 v5, v32, 16, 7
	v_cmp_ne_u32_e32 vcc, s51, v5
	v_mov_b32_e32 v4, 0x7f800001
	s_and_saveexec_b64 s[90:91], vcc
	s_cbranch_execz .LBB2_1355
; %bb.1354:                             ;   in Loop: Header=BB2_939 Depth=2
	v_and_b32_e32 v6, 7, v30
	v_ffbh_u32_e32 v4, v6
	v_min_u32_e32 v8, 32, v4
	v_subrev_u32_e32 v4, 28, v8
	v_lshrrev_b32_e32 v7, 3, v5
	v_cmp_gt_u32_e32 vcc, 8, v5
	v_lshlrev_b64 v[4:5], v4, v[30:31]
	v_sub_u32_e32 v5, 29, v8
	v_and_b32_e32 v4, 7, v4
	v_cndmask_b32_e32 v4, v6, v4, vcc
	v_mov_b32_e32 v6, 24
	v_cndmask_b32_e32 v5, v7, v5, vcc
	v_lshlrev_b32_sdwa v6, v6, v32 dst_sel:DWORD dst_unused:UNUSED_PAD src0_sel:DWORD src1_sel:WORD_1
	v_lshlrev_b32_e32 v4, 20, v4
	v_and_b32_e32 v6, 0x80000000, v6
	v_lshl_add_u32 v5, v5, 23, v3
	v_or3_b32 v4, v6, v5, v4
.LBB2_1355:                             ;   in Loop: Header=BB2_939 Depth=2
	s_or_b64 exec, exec, s[90:91]
.LBB2_1356:                             ;   in Loop: Header=BB2_939 Depth=2
	s_or_b64 exec, exec, s[88:89]
.LBB2_1357:                             ;   in Loop: Header=BB2_939 Depth=2
	s_or_b64 exec, exec, s[20:21]
	v_lshrrev_b32_e32 v30, 16, v10
	v_cmp_gt_i16_sdwa s[88:89], v30, s51 src0_sel:BYTE_0 src1_sel:DWORD
	s_mov_b64 s[20:21], 0
	s_and_saveexec_b64 s[90:91], s[88:89]
	s_xor_b64 s[88:89], exec, s[90:91]
	s_cbranch_execnz .LBB2_1715
; %bb.1358:                             ;   in Loop: Header=BB2_939 Depth=2
	s_or_saveexec_b64 s[88:89], s[88:89]
	v_bfrev_b32_e32 v5, 1
	s_xor_b64 exec, exec, s[88:89]
	s_cbranch_execnz .LBB2_1718
.LBB2_1359:                             ;   in Loop: Header=BB2_939 Depth=2
	s_or_b64 exec, exec, s[88:89]
	s_and_saveexec_b64 s[88:89], s[20:21]
	s_cbranch_execz .LBB2_1361
.LBB2_1360:                             ;   in Loop: Header=BB2_939 Depth=2
	v_and_b32_e32 v7, 7, v30
	v_ffbh_u32_e32 v5, v7
	v_min_u32_e32 v22, 32, v5
	v_subrev_u32_e32 v5, 28, v22
	v_lshlrev_b64 v[5:6], v5, v[30:31]
	v_and_b32_e32 v8, 0x7f, v30
	v_bfe_u32 v9, v30, 3, 4
	v_sub_u32_e32 v6, 29, v22
	v_and_b32_e32 v5, 7, v5
	v_cmp_gt_u32_e32 vcc, 8, v8
	v_cndmask_b32_e32 v6, v9, v6, vcc
	v_cndmask_b32_e32 v5, v7, v5, vcc
	v_lshlrev_b32_e32 v7, 24, v30
	v_lshlrev_b32_e32 v5, 20, v5
	v_and_b32_e32 v7, 0x80000000, v7
	v_lshl_add_u32 v6, v6, 23, v3
	v_or3_b32 v5, v7, v6, v5
	v_cmp_ne_u32_e32 vcc, s51, v8
	v_cndmask_b32_e32 v5, v2, v5, vcc
.LBB2_1361:                             ;   in Loop: Header=BB2_939 Depth=2
	s_or_b64 exec, exec, s[88:89]
	v_add_f32_e32 v5, v4, v5
	v_and_b32_e32 v6, 0x7f800000, v5
	v_mov_b32_e32 v7, v33
	v_cmp_ne_u64_e32 vcc, s[56:57], v[6:7]
                                        ; implicit-def: $vgpr46
	s_and_saveexec_b64 s[20:21], vcc
	s_xor_b64 s[88:89], exec, s[20:21]
	s_cbranch_execz .LBB2_1375
; %bb.1362:                             ;   in Loop: Header=BB2_939 Depth=2
	v_and_b32_e32 v6, 0x7fffffff, v5
	v_mov_b32_e32 v7, v33
	v_cmp_gt_u64_e32 vcc, s[58:59], v[6:7]
	v_and_b32_sdwa v4, v5, s53 dst_sel:DWORD dst_unused:UNUSED_PAD src0_sel:BYTE_3 src1_sel:DWORD
                                        ; implicit-def: $vgpr46
	s_and_saveexec_b64 s[20:21], vcc
	s_xor_b64 s[90:91], exec, s[20:21]
	s_cbranch_execz .LBB2_1372
; %bb.1363:                             ;   in Loop: Header=BB2_939 Depth=2
	v_mov_b32_e32 v46, 0
	v_cmp_ne_u32_e32 vcc, 0, v5
	s_and_saveexec_b64 s[92:93], vcc
	s_cbranch_execz .LBB2_1371
; %bb.1364:                             ;   in Loop: Header=BB2_939 Depth=2
	v_and_b32_e32 v7, 0x7fffff, v5
	v_bfe_u32 v5, v5, 23, 8
	v_cmp_gt_u32_e64 s[20:21], s54, v5
	v_sub_u32_e32 v6, 0x79, v5
	v_cmp_eq_u32_e32 vcc, 0, v5
	v_cndmask_b32_e64 v6, 0, v6, s[20:21]
	v_cndmask_b32_e32 v6, v6, v47, vcc
	v_or_b32_e32 v8, 0x800000, v7
	v_add_u32_e32 v9, 20, v6
	v_cndmask_b32_e32 v7, v8, v7, vcc
	v_mov_b32_e32 v8, v33
	v_lshlrev_b64 v[22:23], v9, -1
	v_add_u32_e32 v9, 19, v6
	v_lshlrev_b64 v[26:27], v9, 1
	v_lshrrev_b64 v[40:41], v6, v[7:8]
	v_bfi_b32 v23, v23, 0, 0
	v_bfi_b32 v22, v22, 0, v7
	v_cmp_eq_u64_e64 s[20:21], v[22:23], v[26:27]
	v_mov_b32_e32 v42, v41
	v_mov_b32_e32 v41, v40
	s_and_saveexec_b64 s[94:95], s[20:21]
; %bb.1365:                             ;   in Loop: Header=BB2_939 Depth=2
	v_bfe_u32 v7, v40, 20, 1
	v_add_co_u32_e64 v7, s[20:21], v40, v7
	v_add_co_u32_e64 v41, s[20:21], -1, v7
; %bb.1366:                             ;   in Loop: Header=BB2_939 Depth=2
	s_or_b64 exec, exec, s[94:95]
	v_add_u32_e32 v5, 0xffffff81, v5
	v_cndmask_b32_e32 v5, v5, v44, vcc
	v_lshrrev_b32_e32 v7, 23, v40
	v_add3_u32 v7, v6, v5, v7
	v_add_u32_e32 v6, 6, v7
	v_and_b32_e32 v5, 0xfffff, v41
	v_add_u32_e32 v40, v5, v40
	v_mov_b32_e32 v41, v33
	v_cmp_ne_u32_e32 vcc, 0, v6
                                        ; implicit-def: $vgpr5
	s_and_saveexec_b64 s[20:21], vcc
	s_xor_b64 s[20:21], exec, s[20:21]
; %bb.1367:                             ;   in Loop: Header=BB2_939 Depth=2
	v_cmp_lt_u64_e32 vcc, s[60:61], v[40:41]
	v_add_u32_e32 v5, 7, v7
	v_cndmask_b32_e32 v5, v6, v5, vcc
	v_cndmask_b32_e64 v6, 0, 1, vcc
	v_lshrrev_b64 v[40:41], v6, v[40:41]
; %bb.1368:                             ;   in Loop: Header=BB2_939 Depth=2
	s_andn2_saveexec_b64 s[20:21], s[20:21]
; %bb.1369:                             ;   in Loop: Header=BB2_939 Depth=2
	v_bfe_u32 v5, v40, 23, 1
; %bb.1370:                             ;   in Loop: Header=BB2_939 Depth=2
	s_or_b64 exec, exec, s[20:21]
	v_lshrrev_b64 v[6:7], 20, v[40:41]
	v_cmp_gt_i32_e32 vcc, 16, v5
	v_cndmask_b32_e32 v7, 0, v7, vcc
	v_cndmask_b32_e32 v6, 7, v6, vcc
	v_cmp_eq_u32_e32 vcc, 0, v5
	v_min_i32_e32 v5, 15, v5
	v_cmp_eq_u64_e64 s[20:21], 0, v[6:7]
	v_lshlrev_b32_e32 v5, 3, v5
	v_and_b32_e32 v5, 0xf8, v5
	v_and_or_b32 v5, v6, 7, v5
	s_and_b64 s[20:21], vcc, s[20:21]
	v_cndmask_b32_e64 v5, v5, 0, s[20:21]
	v_or_b32_e32 v46, v5, v4
.LBB2_1371:                             ;   in Loop: Header=BB2_939 Depth=2
	s_or_b64 exec, exec, s[92:93]
                                        ; implicit-def: $vgpr4
.LBB2_1372:                             ;   in Loop: Header=BB2_939 Depth=2
	s_andn2_saveexec_b64 s[20:21], s[90:91]
; %bb.1373:                             ;   in Loop: Header=BB2_939 Depth=2
	v_or_b32_e32 v46, 0x7e, v4
; %bb.1374:                             ;   in Loop: Header=BB2_939 Depth=2
	s_or_b64 exec, exec, s[20:21]
                                        ; implicit-def: $vgpr5
.LBB2_1375:                             ;   in Loop: Header=BB2_939 Depth=2
	s_andn2_saveexec_b64 s[20:21], s[88:89]
; %bb.1376:                             ;   in Loop: Header=BB2_939 Depth=2
	v_or_b32_sdwa v46, v5, s51 dst_sel:DWORD dst_unused:UNUSED_PAD src0_sel:BYTE_3 src1_sel:DWORD
; %bb.1377:                             ;   in Loop: Header=BB2_939 Depth=2
	s_or_b64 exec, exec, s[20:21]
	v_cmp_lt_u32_e32 vcc, s63, v32
	v_mov_b32_e32 v4, 0
	s_and_saveexec_b64 s[20:21], vcc
	s_cbranch_execz .LBB2_1383
; %bb.1378:                             ;   in Loop: Header=BB2_939 Depth=2
	v_lshrrev_b32_e32 v30, 24, v32
	v_cmp_ne_u32_e32 vcc, s53, v30
	v_bfrev_b32_e32 v4, 1
	s_and_saveexec_b64 s[88:89], vcc
	s_cbranch_execz .LBB2_1382
; %bb.1379:                             ;   in Loop: Header=BB2_939 Depth=2
	v_bfe_u32 v5, v32, 24, 7
	v_cmp_ne_u32_e32 vcc, s51, v5
	v_mov_b32_e32 v4, 0x7f800001
	s_and_saveexec_b64 s[90:91], vcc
	s_cbranch_execz .LBB2_1381
; %bb.1380:                             ;   in Loop: Header=BB2_939 Depth=2
	v_and_b32_e32 v6, 7, v30
	v_ffbh_u32_e32 v4, v6
	v_min_u32_e32 v8, 32, v4
	v_subrev_u32_e32 v4, 28, v8
	v_lshrrev_b32_e32 v7, 3, v5
	v_cmp_gt_u32_e32 vcc, 8, v5
	v_lshlrev_b64 v[4:5], v4, v[30:31]
	v_sub_u32_e32 v5, 29, v8
	v_and_b32_e32 v4, 7, v4
	v_cndmask_b32_e32 v5, v7, v5, vcc
	v_cndmask_b32_e32 v4, v6, v4, vcc
	v_lshlrev_b32_e32 v6, 24, v30
	v_lshlrev_b32_e32 v4, 20, v4
	v_and_b32_e32 v6, 0x80000000, v6
	v_lshl_add_u32 v5, v5, 23, v3
	v_or3_b32 v4, v6, v5, v4
.LBB2_1381:                             ;   in Loop: Header=BB2_939 Depth=2
	s_or_b64 exec, exec, s[90:91]
.LBB2_1382:                             ;   in Loop: Header=BB2_939 Depth=2
	s_or_b64 exec, exec, s[88:89]
.LBB2_1383:                             ;   in Loop: Header=BB2_939 Depth=2
	s_or_b64 exec, exec, s[20:21]
	v_bfe_u32 v8, v10, 24, 3
	v_ffbh_u32_e32 v6, v8
	v_min_u32_e32 v23, 32, v6
	v_lshrrev_b32_e32 v5, 24, v10
	v_subrev_u32_e32 v6, 28, v23
	v_lshlrev_b64 v[6:7], v6, v[5:6]
	v_bfe_u32 v9, v10, 24, 7
	v_bfe_u32 v22, v5, 3, 4
	v_sub_u32_e32 v7, 29, v23
	v_and_b32_e32 v6, 7, v6
	v_cmp_gt_u32_e32 vcc, 8, v9
	v_cndmask_b32_e32 v7, v22, v7, vcc
	v_cndmask_b32_e32 v6, v8, v6, vcc
	v_lshlrev_b32_e32 v6, 20, v6
	v_and_b32_e32 v8, 0x80000000, v10
	v_lshl_add_u32 v7, v7, 23, v3
	v_or3_b32 v6, v8, v7, v6
	v_cmp_ne_u32_e32 vcc, s51, v9
	v_cndmask_b32_e32 v6, v2, v6, vcc
	v_cmp_ne_u32_e32 vcc, s53, v5
	v_cndmask_b32_e32 v5, v31, v6, vcc
	v_cmp_lt_u32_e32 vcc, s63, v10
	v_cndmask_b32_e32 v5, 0, v5, vcc
	v_add_f32_e32 v5, v5, v4
	v_and_b32_e32 v32, 0x7f800000, v5
	v_cmp_ne_u64_e32 vcc, s[56:57], v[32:33]
                                        ; implicit-def: $vgpr39
	s_and_saveexec_b64 s[20:21], vcc
	s_xor_b64 s[88:89], exec, s[20:21]
	s_cbranch_execz .LBB2_1397
; %bb.1384:                             ;   in Loop: Header=BB2_939 Depth=2
	v_and_b32_e32 v32, 0x7fffffff, v5
	v_cmp_gt_u64_e32 vcc, s[58:59], v[32:33]
	v_and_b32_sdwa v4, v5, s53 dst_sel:DWORD dst_unused:UNUSED_PAD src0_sel:BYTE_3 src1_sel:DWORD
                                        ; implicit-def: $vgpr39
	s_and_saveexec_b64 s[20:21], vcc
	s_xor_b64 s[90:91], exec, s[20:21]
	s_cbranch_execz .LBB2_1394
; %bb.1385:                             ;   in Loop: Header=BB2_939 Depth=2
	v_mov_b32_e32 v39, 0
	v_cmp_ne_u32_e32 vcc, 0, v5
	s_and_saveexec_b64 s[92:93], vcc
	s_cbranch_execz .LBB2_1393
; %bb.1386:                             ;   in Loop: Header=BB2_939 Depth=2
	v_and_b32_e32 v7, 0x7fffff, v5
	v_bfe_u32 v5, v5, 23, 8
	v_cmp_gt_u32_e64 s[20:21], s54, v5
	v_sub_u32_e32 v6, 0x79, v5
	v_cmp_eq_u32_e32 vcc, 0, v5
	v_cndmask_b32_e64 v6, 0, v6, s[20:21]
	v_or_b32_e32 v8, 0x800000, v7
	v_cndmask_b32_e32 v6, v6, v47, vcc
	v_cndmask_b32_e32 v32, v8, v7, vcc
	v_add_u32_e32 v7, 20, v6
	v_lshlrev_b64 v[7:8], v7, -1
	v_add_u32_e32 v9, 19, v6
	v_lshlrev_b64 v[22:23], v9, 1
	v_lshrrev_b64 v[40:41], v6, v[32:33]
	v_bfi_b32 v8, v8, 0, 0
	v_bfi_b32 v7, v7, 0, v32
	v_cmp_eq_u64_e64 s[20:21], v[7:8], v[22:23]
	v_mov_b32_e32 v42, v41
	v_mov_b32_e32 v41, v40
	s_and_saveexec_b64 s[94:95], s[20:21]
; %bb.1387:                             ;   in Loop: Header=BB2_939 Depth=2
	v_bfe_u32 v7, v40, 20, 1
	v_add_co_u32_e64 v7, s[20:21], v40, v7
	v_add_co_u32_e64 v41, s[20:21], -1, v7
; %bb.1388:                             ;   in Loop: Header=BB2_939 Depth=2
	s_or_b64 exec, exec, s[94:95]
	v_add_u32_e32 v5, 0xffffff81, v5
	v_cndmask_b32_e32 v5, v5, v44, vcc
	v_lshrrev_b32_e32 v7, 23, v40
	v_add3_u32 v7, v6, v5, v7
	v_add_u32_e32 v6, 6, v7
	v_and_b32_e32 v5, 0xfffff, v41
	v_add_u32_e32 v32, v5, v40
	v_cmp_ne_u32_e32 vcc, 0, v6
                                        ; implicit-def: $vgpr40_vgpr41
                                        ; implicit-def: $vgpr5
	s_and_saveexec_b64 s[20:21], vcc
	s_xor_b64 s[20:21], exec, s[20:21]
; %bb.1389:                             ;   in Loop: Header=BB2_939 Depth=2
	v_cmp_lt_u64_e32 vcc, s[60:61], v[32:33]
	v_add_u32_e32 v5, 7, v7
	v_cndmask_b32_e32 v5, v6, v5, vcc
	v_cndmask_b32_e64 v6, 0, 1, vcc
	v_lshrrev_b64 v[40:41], v6, v[32:33]
; %bb.1390:                             ;   in Loop: Header=BB2_939 Depth=2
	s_andn2_saveexec_b64 s[20:21], s[20:21]
; %bb.1391:                             ;   in Loop: Header=BB2_939 Depth=2
	v_mov_b32_e32 v41, v33
	v_bfe_u32 v5, v32, 23, 1
	v_mov_b32_e32 v40, v32
; %bb.1392:                             ;   in Loop: Header=BB2_939 Depth=2
	s_or_b64 exec, exec, s[20:21]
	v_lshrrev_b64 v[6:7], 20, v[40:41]
	v_cmp_gt_i32_e32 vcc, 16, v5
	v_cndmask_b32_e32 v7, 0, v7, vcc
	v_cndmask_b32_e32 v6, 7, v6, vcc
	v_cmp_eq_u32_e32 vcc, 0, v5
	v_min_i32_e32 v5, 15, v5
	v_cmp_eq_u64_e64 s[20:21], 0, v[6:7]
	v_lshlrev_b32_e32 v5, 3, v5
	v_and_b32_e32 v5, 0xf8, v5
	v_and_or_b32 v5, v6, 7, v5
	s_and_b64 s[20:21], vcc, s[20:21]
	v_cndmask_b32_e64 v5, v5, 0, s[20:21]
	v_or_b32_e32 v39, v5, v4
.LBB2_1393:                             ;   in Loop: Header=BB2_939 Depth=2
	s_or_b64 exec, exec, s[92:93]
                                        ; implicit-def: $vgpr4
.LBB2_1394:                             ;   in Loop: Header=BB2_939 Depth=2
	s_andn2_saveexec_b64 s[20:21], s[90:91]
; %bb.1395:                             ;   in Loop: Header=BB2_939 Depth=2
	v_or_b32_e32 v39, 0x7e, v4
; %bb.1396:                             ;   in Loop: Header=BB2_939 Depth=2
	s_or_b64 exec, exec, s[20:21]
                                        ; implicit-def: $vgpr5
.LBB2_1397:                             ;   in Loop: Header=BB2_939 Depth=2
	s_andn2_saveexec_b64 s[20:21], s[88:89]
; %bb.1398:                             ;   in Loop: Header=BB2_939 Depth=2
	v_or_b32_sdwa v39, v5, s51 dst_sel:DWORD dst_unused:UNUSED_PAD src0_sel:BYTE_3 src1_sel:DWORD
; %bb.1399:                             ;   in Loop: Header=BB2_939 Depth=2
	s_or_b64 exec, exec, s[20:21]
	v_lshl_or_b32 v4, v38, 8, v29
	v_lshlrev_b32_e32 v5, 16, v43
	v_lshlrev_b32_e32 v6, 24, v48
	v_or3_b32 v32, v5, v6, v4
	v_cmp_ne_u32_e32 vcc, 0, v29
	v_mov_b32_e32 v5, 0
	s_and_saveexec_b64 s[20:21], vcc
	s_cbranch_execz .LBB2_1405
; %bb.1400:                             ;   in Loop: Header=BB2_939 Depth=2
	v_cmp_ne_u32_e32 vcc, s53, v29
	v_bfrev_b32_e32 v5, 1
	s_and_saveexec_b64 s[88:89], vcc
	s_cbranch_execz .LBB2_1404
; %bb.1401:                             ;   in Loop: Header=BB2_939 Depth=2
	v_and_b32_e32 v6, 0x7f, v29
	v_cmp_ne_u32_e32 vcc, s51, v6
	v_mov_b32_e32 v5, 0x7f800001
	s_and_saveexec_b64 s[90:91], vcc
	s_cbranch_execz .LBB2_1403
; %bb.1402:                             ;   in Loop: Header=BB2_939 Depth=2
	v_and_b32_e32 v5, 7, v29
	v_ffbh_u32_e32 v5, v5
	v_min_u32_e32 v5, 32, v5
	v_lshrrev_b32_e32 v7, 3, v6
	v_cmp_gt_u32_e32 vcc, 8, v6
	v_subrev_u32_e32 v6, 28, v5
	v_sub_u32_e32 v5, 29, v5
	v_cndmask_b32_e32 v7, v7, v5, vcc
	v_cndmask_b32_e32 v5, 0, v6, vcc
	v_lshlrev_b64 v[5:6], v5, v[32:33]
	v_lshlrev_b32_e32 v6, 24, v32
	v_lshlrev_b32_e32 v5, 20, v5
	v_and_b32_e32 v5, 0x700000, v5
	v_and_b32_e32 v6, 0x80000000, v6
	v_lshl_add_u32 v7, v7, 23, v3
	v_or3_b32 v5, v6, v7, v5
.LBB2_1403:                             ;   in Loop: Header=BB2_939 Depth=2
	s_or_b64 exec, exec, s[90:91]
.LBB2_1404:                             ;   in Loop: Header=BB2_939 Depth=2
	s_or_b64 exec, exec, s[88:89]
.LBB2_1405:                             ;   in Loop: Header=BB2_939 Depth=2
	s_or_b64 exec, exec, s[20:21]
	v_cmp_gt_i16_sdwa s[88:89], v11, s51 src0_sel:BYTE_0 src1_sel:DWORD
	s_mov_b64 s[20:21], 0
	s_and_saveexec_b64 s[90:91], s[88:89]
	s_xor_b64 s[88:89], exec, s[90:91]
	s_cbranch_execz .LBB2_1409
; %bb.1406:                             ;   in Loop: Header=BB2_939 Depth=2
	v_cmp_eq_u16_sdwa s[92:93], v11, s53 src0_sel:BYTE_0 src1_sel:DWORD
	s_mov_b64 s[20:21], -1
	s_and_saveexec_b64 s[90:91], s[92:93]
; %bb.1407:                             ;   in Loop: Header=BB2_939 Depth=2
	s_xor_b64 s[20:21], exec, -1
; %bb.1408:                             ;   in Loop: Header=BB2_939 Depth=2
	s_or_b64 exec, exec, s[90:91]
	s_and_b64 s[20:21], s[20:21], exec
.LBB2_1409:                             ;   in Loop: Header=BB2_939 Depth=2
	s_or_saveexec_b64 s[88:89], s[88:89]
	v_bfrev_b32_e32 v6, 1
	s_xor_b64 exec, exec, s[88:89]
; %bb.1410:                             ;   in Loop: Header=BB2_939 Depth=2
	v_cmp_ne_u16_sdwa s[90:91], v11, v33 src0_sel:BYTE_0 src1_sel:DWORD
	s_andn2_b64 s[20:21], s[20:21], exec
	s_and_b64 s[90:91], s[90:91], exec
	v_mov_b32_e32 v6, 0
	s_or_b64 s[20:21], s[20:21], s[90:91]
; %bb.1411:                             ;   in Loop: Header=BB2_939 Depth=2
	s_or_b64 exec, exec, s[88:89]
	v_mov_b32_e32 v40, v11
	v_mov_b32_e32 v41, v33
	s_and_saveexec_b64 s[88:89], s[20:21]
	s_cbranch_execz .LBB2_1413
; %bb.1412:                             ;   in Loop: Header=BB2_939 Depth=2
	v_and_b32_e32 v6, 7, v11
	v_ffbh_u32_e32 v6, v6
	v_and_b32_e32 v8, 0x7f, v11
	v_min_u32_e32 v6, 32, v6
	v_bfe_u32 v7, v11, 3, 4
	v_subrev_u32_e32 v9, 28, v6
	v_sub_u32_e32 v6, 29, v6
	v_cmp_gt_u32_e32 vcc, 8, v8
	v_cndmask_b32_e32 v22, v7, v6, vcc
	v_cndmask_b32_e32 v6, 0, v9, vcc
	v_lshlrev_b64 v[6:7], v6, v[40:41]
	v_lshlrev_b32_e32 v7, 24, v40
	v_lshlrev_b32_e32 v6, 20, v6
	v_and_b32_e32 v6, 0x700000, v6
	v_and_b32_e32 v7, 0x80000000, v7
	v_lshl_add_u32 v9, v22, 23, v3
	v_or3_b32 v6, v7, v9, v6
	v_cmp_ne_u32_e32 vcc, s51, v8
	v_cndmask_b32_e32 v6, v2, v6, vcc
.LBB2_1413:                             ;   in Loop: Header=BB2_939 Depth=2
	s_or_b64 exec, exec, s[88:89]
	v_add_f32_e32 v22, v5, v6
	v_and_b32_e32 v5, 0x7f800000, v22
	v_mov_b32_e32 v6, v33
	v_cmp_ne_u64_e32 vcc, s[56:57], v[5:6]
                                        ; implicit-def: $vgpr29
	s_and_saveexec_b64 s[20:21], vcc
	s_xor_b64 s[88:89], exec, s[20:21]
	s_cbranch_execz .LBB2_1427
; %bb.1414:                             ;   in Loop: Header=BB2_939 Depth=2
	v_and_b32_e32 v5, 0x7fffffff, v22
	v_mov_b32_e32 v6, v33
	v_cmp_gt_u64_e32 vcc, s[58:59], v[5:6]
	v_and_b32_sdwa v5, v22, s53 dst_sel:DWORD dst_unused:UNUSED_PAD src0_sel:BYTE_3 src1_sel:DWORD
                                        ; implicit-def: $vgpr29
	s_and_saveexec_b64 s[20:21], vcc
	s_xor_b64 s[90:91], exec, s[20:21]
	s_cbranch_execz .LBB2_1424
; %bb.1415:                             ;   in Loop: Header=BB2_939 Depth=2
	v_mov_b32_e32 v29, 0
	v_cmp_ne_u32_e32 vcc, 0, v22
	s_and_saveexec_b64 s[92:93], vcc
	s_cbranch_execz .LBB2_1423
; %bb.1416:                             ;   in Loop: Header=BB2_939 Depth=2
	v_and_b32_e32 v7, 0x7fffff, v22
	v_bfe_u32 v22, v22, 23, 8
	v_cmp_gt_u32_e64 s[20:21], s54, v22
	v_sub_u32_e32 v6, 0x79, v22
	v_cmp_eq_u32_e32 vcc, 0, v22
	v_cndmask_b32_e64 v6, 0, v6, s[20:21]
	v_cndmask_b32_e32 v6, v6, v47, vcc
	v_or_b32_e32 v8, 0x800000, v7
	v_add_u32_e32 v9, 20, v6
	v_cndmask_b32_e32 v7, v8, v7, vcc
	v_mov_b32_e32 v8, v33
	v_lshlrev_b64 v[26:27], v9, -1
	v_add_u32_e32 v9, 19, v6
	v_lshlrev_b64 v[29:30], v9, 1
	v_lshrrev_b64 v[41:42], v6, v[7:8]
	v_bfi_b32 v27, v27, 0, 0
	v_bfi_b32 v26, v26, 0, v7
	v_cmp_eq_u64_e64 s[20:21], v[26:27], v[29:30]
	v_mov_b32_e32 v43, v42
	v_mov_b32_e32 v42, v41
	s_and_saveexec_b64 s[94:95], s[20:21]
; %bb.1417:                             ;   in Loop: Header=BB2_939 Depth=2
	v_bfe_u32 v7, v41, 20, 1
	v_add_co_u32_e64 v7, s[20:21], v41, v7
	v_add_co_u32_e64 v42, s[20:21], -1, v7
; %bb.1418:                             ;   in Loop: Header=BB2_939 Depth=2
	s_or_b64 exec, exec, s[94:95]
	v_add_u32_e32 v7, 0xffffff81, v22
	v_cndmask_b32_e32 v7, v7, v44, vcc
	v_lshrrev_b32_e32 v8, 23, v41
	v_add3_u32 v8, v6, v7, v8
	v_add_u32_e32 v7, 6, v8
	v_and_b32_e32 v6, 0xfffff, v42
	v_add_u32_e32 v41, v6, v41
	v_mov_b32_e32 v42, v33
	v_cmp_ne_u32_e32 vcc, 0, v7
                                        ; implicit-def: $vgpr6
	s_and_saveexec_b64 s[20:21], vcc
	s_xor_b64 s[20:21], exec, s[20:21]
; %bb.1419:                             ;   in Loop: Header=BB2_939 Depth=2
	v_cmp_lt_u64_e32 vcc, s[60:61], v[41:42]
	v_add_u32_e32 v6, 7, v8
	v_cndmask_b32_e32 v6, v7, v6, vcc
	v_cndmask_b32_e64 v7, 0, 1, vcc
	v_lshrrev_b64 v[41:42], v7, v[41:42]
; %bb.1420:                             ;   in Loop: Header=BB2_939 Depth=2
	s_andn2_saveexec_b64 s[20:21], s[20:21]
; %bb.1421:                             ;   in Loop: Header=BB2_939 Depth=2
	v_bfe_u32 v6, v41, 23, 1
; %bb.1422:                             ;   in Loop: Header=BB2_939 Depth=2
	s_or_b64 exec, exec, s[20:21]
	v_lshrrev_b64 v[7:8], 20, v[41:42]
	v_cmp_gt_i32_e32 vcc, 16, v6
	v_cndmask_b32_e32 v8, 0, v8, vcc
	v_cndmask_b32_e32 v7, 7, v7, vcc
	v_cmp_eq_u32_e32 vcc, 0, v6
	v_min_i32_e32 v6, 15, v6
	v_cmp_eq_u64_e64 s[20:21], 0, v[7:8]
	v_lshlrev_b32_e32 v6, 3, v6
	v_and_b32_e32 v6, 0xf8, v6
	v_and_or_b32 v6, v7, 7, v6
	s_and_b64 s[20:21], vcc, s[20:21]
	v_cndmask_b32_e64 v6, v6, 0, s[20:21]
	v_or_b32_e32 v29, v6, v5
.LBB2_1423:                             ;   in Loop: Header=BB2_939 Depth=2
	s_or_b64 exec, exec, s[92:93]
                                        ; implicit-def: $vgpr5
.LBB2_1424:                             ;   in Loop: Header=BB2_939 Depth=2
	s_andn2_saveexec_b64 s[20:21], s[90:91]
; %bb.1425:                             ;   in Loop: Header=BB2_939 Depth=2
	v_or_b32_e32 v29, 0x7e, v5
; %bb.1426:                             ;   in Loop: Header=BB2_939 Depth=2
	s_or_b64 exec, exec, s[20:21]
                                        ; implicit-def: $vgpr22
.LBB2_1427:                             ;   in Loop: Header=BB2_939 Depth=2
	s_andn2_saveexec_b64 s[20:21], s[88:89]
; %bb.1428:                             ;   in Loop: Header=BB2_939 Depth=2
	v_or_b32_sdwa v29, v22, s51 dst_sel:DWORD dst_unused:UNUSED_PAD src0_sel:BYTE_3 src1_sel:DWORD
; %bb.1429:                             ;   in Loop: Header=BB2_939 Depth=2
	s_or_b64 exec, exec, s[20:21]
	v_lshrrev_b16_e32 v30, 8, v4
	v_cmp_ne_u16_e32 vcc, 0, v30
	v_mov_b32_e32 v5, 0
	s_and_saveexec_b64 s[20:21], vcc
	s_cbranch_execz .LBB2_1435
; %bb.1430:                             ;   in Loop: Header=BB2_939 Depth=2
	v_cmp_ne_u16_e32 vcc, s53, v30
	v_bfrev_b32_e32 v5, 1
	s_and_saveexec_b64 s[88:89], vcc
	s_cbranch_execz .LBB2_1434
; %bb.1431:                             ;   in Loop: Header=BB2_939 Depth=2
	v_and_b32_e32 v6, 0x7f, v30
	v_cmp_ne_u32_e32 vcc, s51, v6
	v_mov_b32_e32 v5, 0x7f800001
	s_and_saveexec_b64 s[90:91], vcc
	s_cbranch_execz .LBB2_1433
; %bb.1432:                             ;   in Loop: Header=BB2_939 Depth=2
	v_and_b32_e32 v7, 7, v30
	v_ffbh_u32_e32 v5, v7
	v_min_u32_e32 v9, 32, v5
	v_subrev_u32_e32 v5, 28, v9
	v_lshrrev_b32_e32 v8, 3, v6
	v_cmp_gt_u32_e32 vcc, 8, v6
	v_lshlrev_b64 v[5:6], v5, v[30:31]
	v_sub_u32_e32 v6, 29, v9
	v_and_b32_e32 v5, 7, v5
	v_cndmask_b32_e32 v6, v8, v6, vcc
	v_cndmask_b32_e32 v5, v7, v5, vcc
	v_lshlrev_b32_e32 v4, 16, v4
	v_lshlrev_b32_e32 v5, 20, v5
	v_and_b32_e32 v4, 0x80000000, v4
	v_lshl_add_u32 v6, v6, 23, v3
	v_or3_b32 v5, v4, v6, v5
.LBB2_1433:                             ;   in Loop: Header=BB2_939 Depth=2
	s_or_b64 exec, exec, s[90:91]
.LBB2_1434:                             ;   in Loop: Header=BB2_939 Depth=2
	s_or_b64 exec, exec, s[88:89]
.LBB2_1435:                             ;   in Loop: Header=BB2_939 Depth=2
	s_or_b64 exec, exec, s[20:21]
	v_lshrrev_b16_e32 v40, 8, v40
	v_cmp_lt_i16_e32 vcc, s51, v40
	s_mov_b64 s[20:21], 0
	s_and_saveexec_b64 s[88:89], vcc
	s_xor_b64 s[88:89], exec, s[88:89]
	s_cbranch_execnz .LBB2_1719
; %bb.1436:                             ;   in Loop: Header=BB2_939 Depth=2
	s_or_saveexec_b64 s[88:89], s[88:89]
	v_bfrev_b32_e32 v4, 1
	s_xor_b64 exec, exec, s[88:89]
	s_cbranch_execnz .LBB2_1722
.LBB2_1437:                             ;   in Loop: Header=BB2_939 Depth=2
	s_or_b64 exec, exec, s[88:89]
	s_and_saveexec_b64 s[88:89], s[20:21]
	s_cbranch_execz .LBB2_1439
.LBB2_1438:                             ;   in Loop: Header=BB2_939 Depth=2
	v_and_b32_e32 v4, 7, v40
	v_ffbh_u32_e32 v6, v4
	v_min_u32_e32 v22, 32, v6
	v_mov_b32_e32 v41, v33
	v_subrev_u32_e32 v6, 28, v22
	v_lshlrev_b64 v[6:7], v6, v[40:41]
	v_and_b32_e32 v8, 0x7f, v40
	v_bfe_u32 v9, v40, 3, 4
	v_sub_u32_e32 v7, 29, v22
	v_and_b32_e32 v6, 7, v6
	v_cmp_gt_u32_e32 vcc, 8, v8
	v_cndmask_b32_e32 v7, v9, v7, vcc
	v_cndmask_b32_e32 v4, v4, v6, vcc
	v_lshlrev_b32_e32 v6, 24, v40
	v_lshlrev_b32_e32 v4, 20, v4
	v_and_b32_e32 v6, 0x80000000, v6
	v_lshl_add_u32 v7, v7, 23, v3
	v_or3_b32 v4, v6, v7, v4
	v_cmp_ne_u32_e32 vcc, s51, v8
	v_cndmask_b32_e32 v4, v2, v4, vcc
.LBB2_1439:                             ;   in Loop: Header=BB2_939 Depth=2
	s_or_b64 exec, exec, s[88:89]
	v_add_f32_e32 v5, v5, v4
	v_and_b32_e32 v6, 0x7f800000, v5
	v_mov_b32_e32 v7, v33
	v_cmp_ne_u64_e32 vcc, s[56:57], v[6:7]
                                        ; implicit-def: $vgpr38
	s_and_saveexec_b64 s[20:21], vcc
	s_xor_b64 s[88:89], exec, s[20:21]
	s_cbranch_execz .LBB2_1453
; %bb.1440:                             ;   in Loop: Header=BB2_939 Depth=2
	v_and_b32_e32 v6, 0x7fffffff, v5
	v_mov_b32_e32 v7, v33
	v_cmp_gt_u64_e32 vcc, s[58:59], v[6:7]
	v_and_b32_sdwa v4, v5, s53 dst_sel:DWORD dst_unused:UNUSED_PAD src0_sel:BYTE_3 src1_sel:DWORD
                                        ; implicit-def: $vgpr38
	s_and_saveexec_b64 s[20:21], vcc
	s_xor_b64 s[90:91], exec, s[20:21]
	s_cbranch_execz .LBB2_1450
; %bb.1441:                             ;   in Loop: Header=BB2_939 Depth=2
	v_mov_b32_e32 v38, 0
	v_cmp_ne_u32_e32 vcc, 0, v5
	s_and_saveexec_b64 s[92:93], vcc
	s_cbranch_execz .LBB2_1449
; %bb.1442:                             ;   in Loop: Header=BB2_939 Depth=2
	v_and_b32_e32 v7, 0x7fffff, v5
	v_bfe_u32 v5, v5, 23, 8
	v_cmp_gt_u32_e64 s[20:21], s54, v5
	v_sub_u32_e32 v6, 0x79, v5
	v_cmp_eq_u32_e32 vcc, 0, v5
	v_cndmask_b32_e64 v6, 0, v6, s[20:21]
	v_cndmask_b32_e32 v6, v6, v47, vcc
	v_or_b32_e32 v8, 0x800000, v7
	v_add_u32_e32 v9, 20, v6
	v_cndmask_b32_e32 v7, v8, v7, vcc
	v_mov_b32_e32 v8, v33
	v_lshlrev_b64 v[22:23], v9, -1
	v_add_u32_e32 v9, 19, v6
	v_lshlrev_b64 v[26:27], v9, 1
	v_lshrrev_b64 v[40:41], v6, v[7:8]
	v_bfi_b32 v23, v23, 0, 0
	v_bfi_b32 v22, v22, 0, v7
	v_cmp_eq_u64_e64 s[20:21], v[22:23], v[26:27]
	v_mov_b32_e32 v42, v41
	v_mov_b32_e32 v41, v40
	s_and_saveexec_b64 s[94:95], s[20:21]
; %bb.1443:                             ;   in Loop: Header=BB2_939 Depth=2
	v_bfe_u32 v7, v40, 20, 1
	v_add_co_u32_e64 v7, s[20:21], v40, v7
	v_add_co_u32_e64 v41, s[20:21], -1, v7
; %bb.1444:                             ;   in Loop: Header=BB2_939 Depth=2
	s_or_b64 exec, exec, s[94:95]
	v_add_u32_e32 v5, 0xffffff81, v5
	v_cndmask_b32_e32 v5, v5, v44, vcc
	v_lshrrev_b32_e32 v7, 23, v40
	v_add3_u32 v7, v6, v5, v7
	v_add_u32_e32 v6, 6, v7
	v_and_b32_e32 v5, 0xfffff, v41
	v_add_u32_e32 v40, v5, v40
	v_mov_b32_e32 v41, v33
	v_cmp_ne_u32_e32 vcc, 0, v6
                                        ; implicit-def: $vgpr5
	s_and_saveexec_b64 s[20:21], vcc
	s_xor_b64 s[20:21], exec, s[20:21]
; %bb.1445:                             ;   in Loop: Header=BB2_939 Depth=2
	v_cmp_lt_u64_e32 vcc, s[60:61], v[40:41]
	v_add_u32_e32 v5, 7, v7
	v_cndmask_b32_e32 v5, v6, v5, vcc
	v_cndmask_b32_e64 v6, 0, 1, vcc
	v_lshrrev_b64 v[40:41], v6, v[40:41]
; %bb.1446:                             ;   in Loop: Header=BB2_939 Depth=2
	s_andn2_saveexec_b64 s[20:21], s[20:21]
; %bb.1447:                             ;   in Loop: Header=BB2_939 Depth=2
	v_bfe_u32 v5, v40, 23, 1
; %bb.1448:                             ;   in Loop: Header=BB2_939 Depth=2
	s_or_b64 exec, exec, s[20:21]
	v_lshrrev_b64 v[6:7], 20, v[40:41]
	v_cmp_gt_i32_e32 vcc, 16, v5
	v_cndmask_b32_e32 v7, 0, v7, vcc
	v_cndmask_b32_e32 v6, 7, v6, vcc
	v_cmp_eq_u32_e32 vcc, 0, v5
	v_min_i32_e32 v5, 15, v5
	v_cmp_eq_u64_e64 s[20:21], 0, v[6:7]
	v_lshlrev_b32_e32 v5, 3, v5
	v_and_b32_e32 v5, 0xf8, v5
	v_and_or_b32 v5, v6, 7, v5
	s_and_b64 s[20:21], vcc, s[20:21]
	v_cndmask_b32_e64 v5, v5, 0, s[20:21]
	v_or_b32_e32 v38, v5, v4
.LBB2_1449:                             ;   in Loop: Header=BB2_939 Depth=2
	s_or_b64 exec, exec, s[92:93]
                                        ; implicit-def: $vgpr4
.LBB2_1450:                             ;   in Loop: Header=BB2_939 Depth=2
	s_andn2_saveexec_b64 s[20:21], s[90:91]
; %bb.1451:                             ;   in Loop: Header=BB2_939 Depth=2
	v_or_b32_e32 v38, 0x7e, v4
; %bb.1452:                             ;   in Loop: Header=BB2_939 Depth=2
	s_or_b64 exec, exec, s[20:21]
                                        ; implicit-def: $vgpr5
.LBB2_1453:                             ;   in Loop: Header=BB2_939 Depth=2
	s_andn2_saveexec_b64 s[20:21], s[88:89]
; %bb.1454:                             ;   in Loop: Header=BB2_939 Depth=2
	v_or_b32_sdwa v38, v5, s51 dst_sel:DWORD dst_unused:UNUSED_PAD src0_sel:BYTE_3 src1_sel:DWORD
; %bb.1455:                             ;   in Loop: Header=BB2_939 Depth=2
	s_or_b64 exec, exec, s[20:21]
	v_lshrrev_b32_e32 v30, 16, v32
	v_cmp_ne_u16_sdwa s[88:89], v30, v33 src0_sel:BYTE_0 src1_sel:DWORD
	v_mov_b32_e32 v4, 0
	s_and_saveexec_b64 s[20:21], s[88:89]
	s_cbranch_execz .LBB2_1461
; %bb.1456:                             ;   in Loop: Header=BB2_939 Depth=2
	v_cmp_ne_u16_sdwa s[90:91], v30, s53 src0_sel:BYTE_0 src1_sel:DWORD
	v_bfrev_b32_e32 v4, 1
	s_and_saveexec_b64 s[88:89], s[90:91]
	s_cbranch_execz .LBB2_1460
; %bb.1457:                             ;   in Loop: Header=BB2_939 Depth=2
	v_bfe_u32 v5, v32, 16, 7
	v_cmp_ne_u32_e32 vcc, s51, v5
	v_mov_b32_e32 v4, 0x7f800001
	s_and_saveexec_b64 s[90:91], vcc
	s_cbranch_execz .LBB2_1459
; %bb.1458:                             ;   in Loop: Header=BB2_939 Depth=2
	v_and_b32_e32 v6, 7, v30
	v_ffbh_u32_e32 v4, v6
	v_min_u32_e32 v8, 32, v4
	v_subrev_u32_e32 v4, 28, v8
	v_lshrrev_b32_e32 v7, 3, v5
	v_cmp_gt_u32_e32 vcc, 8, v5
	v_lshlrev_b64 v[4:5], v4, v[30:31]
	v_sub_u32_e32 v5, 29, v8
	v_and_b32_e32 v4, 7, v4
	v_cndmask_b32_e32 v5, v7, v5, vcc
	v_cndmask_b32_e32 v4, v6, v4, vcc
	v_lshlrev_b32_e32 v6, 24, v30
	v_lshlrev_b32_e32 v4, 20, v4
	v_and_b32_e32 v6, 0x80000000, v6
	v_lshl_add_u32 v5, v5, 23, v3
	v_or3_b32 v4, v6, v5, v4
.LBB2_1459:                             ;   in Loop: Header=BB2_939 Depth=2
	s_or_b64 exec, exec, s[90:91]
.LBB2_1460:                             ;   in Loop: Header=BB2_939 Depth=2
	s_or_b64 exec, exec, s[88:89]
.LBB2_1461:                             ;   in Loop: Header=BB2_939 Depth=2
	s_or_b64 exec, exec, s[20:21]
	v_lshrrev_b32_e32 v30, 16, v11
	v_cmp_gt_i16_sdwa s[88:89], v30, s51 src0_sel:BYTE_0 src1_sel:DWORD
	s_mov_b64 s[20:21], 0
	s_and_saveexec_b64 s[90:91], s[88:89]
	s_xor_b64 s[88:89], exec, s[90:91]
	s_cbranch_execnz .LBB2_1723
; %bb.1462:                             ;   in Loop: Header=BB2_939 Depth=2
	s_or_saveexec_b64 s[88:89], s[88:89]
	v_bfrev_b32_e32 v5, 1
	s_xor_b64 exec, exec, s[88:89]
	s_cbranch_execnz .LBB2_1726
.LBB2_1463:                             ;   in Loop: Header=BB2_939 Depth=2
	s_or_b64 exec, exec, s[88:89]
	s_and_saveexec_b64 s[88:89], s[20:21]
	s_cbranch_execz .LBB2_1465
.LBB2_1464:                             ;   in Loop: Header=BB2_939 Depth=2
	v_and_b32_e32 v7, 7, v30
	v_ffbh_u32_e32 v5, v7
	v_min_u32_e32 v22, 32, v5
	v_subrev_u32_e32 v5, 28, v22
	v_lshlrev_b64 v[5:6], v5, v[30:31]
	v_and_b32_e32 v8, 0x7f, v30
	v_bfe_u32 v9, v30, 3, 4
	v_sub_u32_e32 v6, 29, v22
	v_and_b32_e32 v5, 7, v5
	v_cmp_gt_u32_e32 vcc, 8, v8
	v_cndmask_b32_e32 v6, v9, v6, vcc
	v_cndmask_b32_e32 v5, v7, v5, vcc
	v_lshlrev_b32_e32 v7, 24, v30
	v_lshlrev_b32_e32 v5, 20, v5
	v_and_b32_e32 v7, 0x80000000, v7
	v_lshl_add_u32 v6, v6, 23, v3
	v_or3_b32 v5, v7, v6, v5
	v_cmp_ne_u32_e32 vcc, s51, v8
	v_cndmask_b32_e32 v5, v2, v5, vcc
.LBB2_1465:                             ;   in Loop: Header=BB2_939 Depth=2
	s_or_b64 exec, exec, s[88:89]
	v_add_f32_e32 v5, v4, v5
	v_and_b32_e32 v6, 0x7f800000, v5
	v_mov_b32_e32 v7, v33
	v_cmp_ne_u64_e32 vcc, s[56:57], v[6:7]
                                        ; implicit-def: $vgpr48
	s_and_saveexec_b64 s[20:21], vcc
	s_xor_b64 s[88:89], exec, s[20:21]
	s_cbranch_execz .LBB2_1479
; %bb.1466:                             ;   in Loop: Header=BB2_939 Depth=2
	v_and_b32_e32 v6, 0x7fffffff, v5
	v_mov_b32_e32 v7, v33
	v_cmp_gt_u64_e32 vcc, s[58:59], v[6:7]
	v_and_b32_sdwa v4, v5, s53 dst_sel:DWORD dst_unused:UNUSED_PAD src0_sel:BYTE_3 src1_sel:DWORD
                                        ; implicit-def: $vgpr48
	s_and_saveexec_b64 s[20:21], vcc
	s_xor_b64 s[90:91], exec, s[20:21]
	s_cbranch_execz .LBB2_1476
; %bb.1467:                             ;   in Loop: Header=BB2_939 Depth=2
	v_mov_b32_e32 v48, 0
	v_cmp_ne_u32_e32 vcc, 0, v5
	s_and_saveexec_b64 s[92:93], vcc
	s_cbranch_execz .LBB2_1475
; %bb.1468:                             ;   in Loop: Header=BB2_939 Depth=2
	v_and_b32_e32 v7, 0x7fffff, v5
	v_bfe_u32 v5, v5, 23, 8
	v_cmp_gt_u32_e64 s[20:21], s54, v5
	v_sub_u32_e32 v6, 0x79, v5
	v_cmp_eq_u32_e32 vcc, 0, v5
	v_cndmask_b32_e64 v6, 0, v6, s[20:21]
	v_cndmask_b32_e32 v6, v6, v47, vcc
	v_or_b32_e32 v8, 0x800000, v7
	v_add_u32_e32 v9, 20, v6
	v_cndmask_b32_e32 v7, v8, v7, vcc
	v_mov_b32_e32 v8, v33
	v_lshlrev_b64 v[22:23], v9, -1
	v_add_u32_e32 v9, 19, v6
	v_lshlrev_b64 v[26:27], v9, 1
	v_lshrrev_b64 v[40:41], v6, v[7:8]
	v_bfi_b32 v23, v23, 0, 0
	v_bfi_b32 v22, v22, 0, v7
	v_cmp_eq_u64_e64 s[20:21], v[22:23], v[26:27]
	v_mov_b32_e32 v42, v41
	v_mov_b32_e32 v41, v40
	s_and_saveexec_b64 s[94:95], s[20:21]
; %bb.1469:                             ;   in Loop: Header=BB2_939 Depth=2
	v_bfe_u32 v7, v40, 20, 1
	v_add_co_u32_e64 v7, s[20:21], v40, v7
	v_add_co_u32_e64 v41, s[20:21], -1, v7
; %bb.1470:                             ;   in Loop: Header=BB2_939 Depth=2
	s_or_b64 exec, exec, s[94:95]
	v_add_u32_e32 v5, 0xffffff81, v5
	v_cndmask_b32_e32 v5, v5, v44, vcc
	v_lshrrev_b32_e32 v7, 23, v40
	v_add3_u32 v7, v6, v5, v7
	v_add_u32_e32 v6, 6, v7
	v_and_b32_e32 v5, 0xfffff, v41
	v_add_u32_e32 v40, v5, v40
	v_mov_b32_e32 v41, v33
	v_cmp_ne_u32_e32 vcc, 0, v6
                                        ; implicit-def: $vgpr5
	s_and_saveexec_b64 s[20:21], vcc
	s_xor_b64 s[20:21], exec, s[20:21]
; %bb.1471:                             ;   in Loop: Header=BB2_939 Depth=2
	v_cmp_lt_u64_e32 vcc, s[60:61], v[40:41]
	v_add_u32_e32 v5, 7, v7
	v_cndmask_b32_e32 v5, v6, v5, vcc
	v_cndmask_b32_e64 v6, 0, 1, vcc
	v_lshrrev_b64 v[40:41], v6, v[40:41]
; %bb.1472:                             ;   in Loop: Header=BB2_939 Depth=2
	s_andn2_saveexec_b64 s[20:21], s[20:21]
; %bb.1473:                             ;   in Loop: Header=BB2_939 Depth=2
	v_bfe_u32 v5, v40, 23, 1
; %bb.1474:                             ;   in Loop: Header=BB2_939 Depth=2
	s_or_b64 exec, exec, s[20:21]
	v_lshrrev_b64 v[6:7], 20, v[40:41]
	v_cmp_gt_i32_e32 vcc, 16, v5
	v_cndmask_b32_e32 v7, 0, v7, vcc
	v_cndmask_b32_e32 v6, 7, v6, vcc
	v_cmp_eq_u32_e32 vcc, 0, v5
	v_min_i32_e32 v5, 15, v5
	v_cmp_eq_u64_e64 s[20:21], 0, v[6:7]
	v_lshlrev_b32_e32 v5, 3, v5
	v_and_b32_e32 v5, 0xf8, v5
	v_and_or_b32 v5, v6, 7, v5
	s_and_b64 s[20:21], vcc, s[20:21]
	v_cndmask_b32_e64 v5, v5, 0, s[20:21]
	v_or_b32_e32 v48, v5, v4
.LBB2_1475:                             ;   in Loop: Header=BB2_939 Depth=2
	s_or_b64 exec, exec, s[92:93]
                                        ; implicit-def: $vgpr4
.LBB2_1476:                             ;   in Loop: Header=BB2_939 Depth=2
	s_andn2_saveexec_b64 s[20:21], s[90:91]
; %bb.1477:                             ;   in Loop: Header=BB2_939 Depth=2
	v_or_b32_e32 v48, 0x7e, v4
; %bb.1478:                             ;   in Loop: Header=BB2_939 Depth=2
	s_or_b64 exec, exec, s[20:21]
                                        ; implicit-def: $vgpr5
.LBB2_1479:                             ;   in Loop: Header=BB2_939 Depth=2
	s_andn2_saveexec_b64 s[20:21], s[88:89]
; %bb.1480:                             ;   in Loop: Header=BB2_939 Depth=2
	v_or_b32_sdwa v48, v5, s51 dst_sel:DWORD dst_unused:UNUSED_PAD src0_sel:BYTE_3 src1_sel:DWORD
; %bb.1481:                             ;   in Loop: Header=BB2_939 Depth=2
	s_or_b64 exec, exec, s[20:21]
	v_cmp_lt_u32_e32 vcc, s63, v32
	v_mov_b32_e32 v4, 0
	s_and_saveexec_b64 s[20:21], vcc
	s_cbranch_execz .LBB2_1487
; %bb.1482:                             ;   in Loop: Header=BB2_939 Depth=2
	v_lshrrev_b32_e32 v30, 24, v32
	v_cmp_ne_u32_sdwa s[90:91], v32, s53 src0_sel:BYTE_3 src1_sel:DWORD
	v_bfrev_b32_e32 v4, 1
	s_and_saveexec_b64 s[88:89], s[90:91]
	s_cbranch_execz .LBB2_1486
; %bb.1483:                             ;   in Loop: Header=BB2_939 Depth=2
	v_bfe_u32 v5, v32, 24, 7
	v_cmp_ne_u32_e32 vcc, s51, v5
	v_mov_b32_e32 v4, 0x7f800001
	s_and_saveexec_b64 s[90:91], vcc
	s_cbranch_execz .LBB2_1485
; %bb.1484:                             ;   in Loop: Header=BB2_939 Depth=2
	v_and_b32_e32 v6, 7, v30
	v_ffbh_u32_e32 v4, v6
	v_min_u32_e32 v8, 32, v4
	v_subrev_u32_e32 v4, 28, v8
	v_lshrrev_b32_e32 v7, 3, v5
	v_cmp_gt_u32_e32 vcc, 8, v5
	v_lshlrev_b64 v[4:5], v4, v[30:31]
	v_sub_u32_e32 v5, 29, v8
	v_and_b32_e32 v4, 7, v4
	v_cndmask_b32_e32 v4, v6, v4, vcc
	v_mov_b32_e32 v6, 24
	v_cndmask_b32_e32 v5, v7, v5, vcc
	v_lshlrev_b32_sdwa v6, v6, v32 dst_sel:DWORD dst_unused:UNUSED_PAD src0_sel:DWORD src1_sel:BYTE_3
	v_lshlrev_b32_e32 v4, 20, v4
	v_and_b32_e32 v6, 0x80000000, v6
	v_lshl_add_u32 v5, v5, 23, v3
	v_or3_b32 v4, v6, v5, v4
.LBB2_1485:                             ;   in Loop: Header=BB2_939 Depth=2
	s_or_b64 exec, exec, s[90:91]
.LBB2_1486:                             ;   in Loop: Header=BB2_939 Depth=2
	s_or_b64 exec, exec, s[88:89]
.LBB2_1487:                             ;   in Loop: Header=BB2_939 Depth=2
	s_or_b64 exec, exec, s[20:21]
	v_bfe_u32 v8, v11, 24, 3
	v_ffbh_u32_e32 v6, v8
	v_min_u32_e32 v23, 32, v6
	v_lshrrev_b32_e32 v5, 24, v11
	v_subrev_u32_e32 v6, 28, v23
	v_lshlrev_b64 v[6:7], v6, v[5:6]
	v_bfe_u32 v9, v11, 24, 7
	v_bfe_u32 v22, v5, 3, 4
	v_sub_u32_e32 v7, 29, v23
	v_and_b32_e32 v6, 7, v6
	v_cmp_gt_u32_e32 vcc, 8, v9
	v_cndmask_b32_e32 v7, v22, v7, vcc
	v_cndmask_b32_e32 v6, v8, v6, vcc
	v_lshlrev_b32_e32 v6, 20, v6
	v_and_b32_e32 v8, 0x80000000, v11
	v_lshl_add_u32 v7, v7, 23, v3
	v_or3_b32 v6, v8, v7, v6
	v_cmp_ne_u32_e32 vcc, s51, v9
	v_cndmask_b32_e32 v6, v2, v6, vcc
	v_cmp_ne_u32_e32 vcc, s53, v5
	v_cndmask_b32_e32 v5, v31, v6, vcc
	v_cmp_lt_u64_e32 vcc, s[62:63], v[10:11]
                                        ; implicit-def: $vgpr30
	v_cndmask_b32_e32 v5, 0, v5, vcc
	v_add_f32_e32 v5, v5, v4
	v_and_b32_e32 v32, 0x7f800000, v5
	v_cmp_ne_u64_e32 vcc, s[56:57], v[32:33]
	s_and_saveexec_b64 s[20:21], vcc
	s_xor_b64 s[88:89], exec, s[20:21]
	s_cbranch_execz .LBB2_1501
; %bb.1488:                             ;   in Loop: Header=BB2_939 Depth=2
	v_and_b32_e32 v32, 0x7fffffff, v5
	v_cmp_gt_u64_e32 vcc, s[58:59], v[32:33]
	v_and_b32_sdwa v4, v5, s53 dst_sel:DWORD dst_unused:UNUSED_PAD src0_sel:BYTE_3 src1_sel:DWORD
                                        ; implicit-def: $vgpr30
	s_and_saveexec_b64 s[20:21], vcc
	s_xor_b64 s[90:91], exec, s[20:21]
	s_cbranch_execz .LBB2_1498
; %bb.1489:                             ;   in Loop: Header=BB2_939 Depth=2
	v_mov_b32_e32 v30, 0
	v_cmp_ne_u32_e32 vcc, 0, v5
	s_and_saveexec_b64 s[92:93], vcc
	s_cbranch_execz .LBB2_1497
; %bb.1490:                             ;   in Loop: Header=BB2_939 Depth=2
	v_and_b32_e32 v7, 0x7fffff, v5
	v_bfe_u32 v5, v5, 23, 8
	v_cmp_gt_u32_e64 s[20:21], s54, v5
	v_sub_u32_e32 v6, 0x79, v5
	v_cmp_eq_u32_e32 vcc, 0, v5
	v_cndmask_b32_e64 v6, 0, v6, s[20:21]
	v_or_b32_e32 v8, 0x800000, v7
	v_cndmask_b32_e32 v6, v6, v47, vcc
	v_cndmask_b32_e32 v32, v8, v7, vcc
	v_add_u32_e32 v7, 20, v6
	v_lshlrev_b64 v[7:8], v7, -1
	v_add_u32_e32 v9, 19, v6
	v_lshlrev_b64 v[9:10], v9, 1
	v_bfi_b32 v8, v8, 0, 0
	v_bfi_b32 v7, v7, 0, v32
	v_cmp_eq_u64_e64 s[20:21], v[7:8], v[9:10]
	v_lshrrev_b64 v[10:11], v6, v[32:33]
	v_mov_b32_e32 v41, v11
	v_mov_b32_e32 v40, v10
	s_and_saveexec_b64 s[94:95], s[20:21]
; %bb.1491:                             ;   in Loop: Header=BB2_939 Depth=2
	v_bfe_u32 v7, v10, 20, 1
	v_add_co_u32_e64 v7, s[20:21], v10, v7
	v_add_co_u32_e64 v40, s[20:21], -1, v7
; %bb.1492:                             ;   in Loop: Header=BB2_939 Depth=2
	s_or_b64 exec, exec, s[94:95]
	v_add_u32_e32 v5, 0xffffff81, v5
	v_cndmask_b32_e32 v5, v5, v44, vcc
	v_lshrrev_b32_e32 v7, 23, v10
	v_add3_u32 v7, v6, v5, v7
	v_add_u32_e32 v6, 6, v7
	v_and_b32_e32 v5, 0xfffff, v40
	v_add_u32_e32 v32, v5, v10
	v_cmp_ne_u32_e32 vcc, 0, v6
                                        ; implicit-def: $vgpr10_vgpr11
                                        ; implicit-def: $vgpr5
	s_and_saveexec_b64 s[20:21], vcc
	s_xor_b64 s[20:21], exec, s[20:21]
; %bb.1493:                             ;   in Loop: Header=BB2_939 Depth=2
	v_cmp_lt_u64_e32 vcc, s[60:61], v[32:33]
	v_add_u32_e32 v5, 7, v7
	v_cndmask_b32_e32 v5, v6, v5, vcc
	v_cndmask_b32_e64 v6, 0, 1, vcc
	v_lshrrev_b64 v[10:11], v6, v[32:33]
; %bb.1494:                             ;   in Loop: Header=BB2_939 Depth=2
	s_andn2_saveexec_b64 s[20:21], s[20:21]
; %bb.1495:                             ;   in Loop: Header=BB2_939 Depth=2
	v_mov_b32_e32 v10, v32
	v_bfe_u32 v5, v32, 23, 1
	v_mov_b32_e32 v11, v33
; %bb.1496:                             ;   in Loop: Header=BB2_939 Depth=2
	s_or_b64 exec, exec, s[20:21]
	v_lshrrev_b64 v[6:7], 20, v[10:11]
	v_cmp_gt_i32_e32 vcc, 16, v5
	v_cndmask_b32_e32 v7, 0, v7, vcc
	v_cndmask_b32_e32 v6, 7, v6, vcc
	v_cmp_eq_u32_e32 vcc, 0, v5
	v_min_i32_e32 v5, 15, v5
	v_cmp_eq_u64_e64 s[20:21], 0, v[6:7]
	v_lshlrev_b32_e32 v5, 3, v5
	v_and_b32_e32 v5, 0xf8, v5
	v_and_or_b32 v5, v6, 7, v5
	s_and_b64 s[20:21], vcc, s[20:21]
	v_cndmask_b32_e64 v5, v5, 0, s[20:21]
	v_or_b32_e32 v30, v5, v4
.LBB2_1497:                             ;   in Loop: Header=BB2_939 Depth=2
	s_or_b64 exec, exec, s[92:93]
                                        ; implicit-def: $vgpr4
.LBB2_1498:                             ;   in Loop: Header=BB2_939 Depth=2
	s_andn2_saveexec_b64 s[20:21], s[90:91]
; %bb.1499:                             ;   in Loop: Header=BB2_939 Depth=2
	v_or_b32_e32 v30, 0x7e, v4
; %bb.1500:                             ;   in Loop: Header=BB2_939 Depth=2
	s_or_b64 exec, exec, s[20:21]
                                        ; implicit-def: $vgpr5
.LBB2_1501:                             ;   in Loop: Header=BB2_939 Depth=2
	s_andn2_saveexec_b64 s[20:21], s[88:89]
; %bb.1502:                             ;   in Loop: Header=BB2_939 Depth=2
	v_or_b32_sdwa v30, v5, s51 dst_sel:DWORD dst_unused:UNUSED_PAD src0_sel:BYTE_3 src1_sel:DWORD
; %bb.1503:                             ;   in Loop: Header=BB2_939 Depth=2
	s_or_b64 exec, exec, s[20:21]
	v_lshl_or_b32 v4, v57, 8, v15
	v_lshlrev_b32_e32 v5, 16, v21
	v_lshlrev_b32_e32 v6, 24, v58
	v_or3_b32 v32, v5, v6, v4
	v_cmp_ne_u32_e32 vcc, 0, v15
	v_mov_b32_e32 v5, 0
	s_and_saveexec_b64 s[20:21], vcc
	s_cbranch_execz .LBB2_1509
; %bb.1504:                             ;   in Loop: Header=BB2_939 Depth=2
	v_cmp_ne_u32_e32 vcc, s53, v15
	v_bfrev_b32_e32 v5, 1
	s_and_saveexec_b64 s[88:89], vcc
	s_cbranch_execz .LBB2_1508
; %bb.1505:                             ;   in Loop: Header=BB2_939 Depth=2
	v_and_b32_e32 v6, 0x7f, v15
	v_cmp_ne_u32_e32 vcc, s51, v6
	v_mov_b32_e32 v5, 0x7f800001
	s_and_saveexec_b64 s[90:91], vcc
	s_cbranch_execz .LBB2_1507
; %bb.1506:                             ;   in Loop: Header=BB2_939 Depth=2
	v_and_b32_e32 v5, 7, v15
	v_ffbh_u32_e32 v5, v5
	v_min_u32_e32 v5, 32, v5
	v_lshrrev_b32_e32 v7, 3, v6
	v_cmp_gt_u32_e32 vcc, 8, v6
	v_subrev_u32_e32 v6, 28, v5
	v_sub_u32_e32 v5, 29, v5
	v_cndmask_b32_e32 v7, v7, v5, vcc
	v_cndmask_b32_e32 v5, 0, v6, vcc
	v_lshlrev_b64 v[5:6], v5, v[32:33]
	v_lshlrev_b32_e32 v6, 24, v32
	v_lshlrev_b32_e32 v5, 20, v5
	v_and_b32_e32 v5, 0x700000, v5
	v_and_b32_e32 v6, 0x80000000, v6
	v_lshl_add_u32 v7, v7, 23, v3
	v_or3_b32 v5, v6, v7, v5
.LBB2_1507:                             ;   in Loop: Header=BB2_939 Depth=2
	s_or_b64 exec, exec, s[90:91]
.LBB2_1508:                             ;   in Loop: Header=BB2_939 Depth=2
	s_or_b64 exec, exec, s[88:89]
.LBB2_1509:                             ;   in Loop: Header=BB2_939 Depth=2
	s_or_b64 exec, exec, s[20:21]
	v_cmp_gt_i16_sdwa s[88:89], v12, s51 src0_sel:BYTE_0 src1_sel:DWORD
	s_mov_b64 s[20:21], 0
	s_and_saveexec_b64 s[90:91], s[88:89]
	s_xor_b64 s[88:89], exec, s[90:91]
	s_cbranch_execnz .LBB2_1727
; %bb.1510:                             ;   in Loop: Header=BB2_939 Depth=2
	s_or_saveexec_b64 s[88:89], s[88:89]
	v_bfrev_b32_e32 v6, 1
	s_xor_b64 exec, exec, s[88:89]
	s_cbranch_execnz .LBB2_1730
.LBB2_1511:                             ;   in Loop: Header=BB2_939 Depth=2
	s_or_b64 exec, exec, s[88:89]
	s_and_saveexec_b64 s[88:89], s[20:21]
	s_cbranch_execz .LBB2_1513
.LBB2_1512:                             ;   in Loop: Header=BB2_939 Depth=2
	v_and_b32_e32 v6, 7, v12
	v_ffbh_u32_e32 v6, v6
	v_and_b32_e32 v8, 0x7f, v12
	v_min_u32_e32 v6, 32, v6
	v_bfe_u32 v7, v12, 3, 4
	v_subrev_u32_e32 v9, 28, v6
	v_sub_u32_e32 v6, 29, v6
	v_cmp_gt_u32_e32 vcc, 8, v8
	v_cndmask_b32_e32 v10, v7, v6, vcc
	v_cndmask_b32_e32 v6, 0, v9, vcc
	v_lshlrev_b64 v[6:7], v6, v[12:13]
	v_lshlrev_b32_e32 v7, 24, v12
	v_lshlrev_b32_e32 v6, 20, v6
	v_and_b32_e32 v6, 0x700000, v6
	v_and_b32_e32 v7, 0x80000000, v7
	v_lshl_add_u32 v9, v10, 23, v3
	v_or3_b32 v6, v7, v9, v6
	v_cmp_ne_u32_e32 vcc, s51, v8
	v_cndmask_b32_e32 v6, v2, v6, vcc
.LBB2_1513:                             ;   in Loop: Header=BB2_939 Depth=2
	s_or_b64 exec, exec, s[88:89]
	v_add_f32_e32 v10, v5, v6
	v_and_b32_e32 v5, 0x7f800000, v10
	v_mov_b32_e32 v6, v33
	v_cmp_ne_u64_e32 vcc, s[56:57], v[5:6]
                                        ; implicit-def: $vgpr15
	s_and_saveexec_b64 s[20:21], vcc
	s_xor_b64 s[88:89], exec, s[20:21]
	s_cbranch_execz .LBB2_1527
; %bb.1514:                             ;   in Loop: Header=BB2_939 Depth=2
	v_and_b32_e32 v5, 0x7fffffff, v10
	v_mov_b32_e32 v6, v33
	v_cmp_gt_u64_e32 vcc, s[58:59], v[5:6]
	v_and_b32_sdwa v5, v10, s53 dst_sel:DWORD dst_unused:UNUSED_PAD src0_sel:BYTE_3 src1_sel:DWORD
                                        ; implicit-def: $vgpr15
	s_and_saveexec_b64 s[20:21], vcc
	s_xor_b64 s[90:91], exec, s[20:21]
	s_cbranch_execz .LBB2_1524
; %bb.1515:                             ;   in Loop: Header=BB2_939 Depth=2
	v_mov_b32_e32 v15, 0
	v_cmp_ne_u32_e32 vcc, 0, v10
	s_and_saveexec_b64 s[92:93], vcc
	s_cbranch_execz .LBB2_1523
; %bb.1516:                             ;   in Loop: Header=BB2_939 Depth=2
	v_bfe_u32 v15, v10, 23, 8
	v_cmp_gt_u32_e64 s[20:21], s54, v15
	v_sub_u32_e32 v6, 0x79, v15
	v_cmp_eq_u32_e32 vcc, 0, v15
	v_cndmask_b32_e64 v6, 0, v6, s[20:21]
	v_cndmask_b32_e32 v6, v6, v47, vcc
	v_and_b32_e32 v7, 0x7fffff, v10
	v_add_u32_e32 v9, 20, v6
	v_or_b32_e32 v8, 0x800000, v7
	v_lshlrev_b64 v[9:10], v9, -1
	v_add_u32_e32 v11, 19, v6
	v_cndmask_b32_e32 v7, v8, v7, vcc
	v_lshlrev_b64 v[21:22], v11, 1
	v_mov_b32_e32 v8, v33
	v_bfi_b32 v10, v10, 0, 0
	v_bfi_b32 v9, v9, 0, v7
	v_cmp_eq_u64_e64 s[20:21], v[9:10], v[21:22]
	v_lshrrev_b64 v[10:11], v6, v[7:8]
	v_mov_b32_e32 v41, v11
	v_mov_b32_e32 v40, v10
	s_and_saveexec_b64 s[94:95], s[20:21]
; %bb.1517:                             ;   in Loop: Header=BB2_939 Depth=2
	v_bfe_u32 v7, v10, 20, 1
	v_add_co_u32_e64 v7, s[20:21], v10, v7
	v_add_co_u32_e64 v40, s[20:21], -1, v7
; %bb.1518:                             ;   in Loop: Header=BB2_939 Depth=2
	s_or_b64 exec, exec, s[94:95]
	v_add_u32_e32 v7, 0xffffff81, v15
	v_cndmask_b32_e32 v7, v7, v44, vcc
	v_lshrrev_b32_e32 v8, 23, v10
	v_add3_u32 v8, v6, v7, v8
	v_add_u32_e32 v7, 6, v8
	v_and_b32_e32 v6, 0xfffff, v40
	v_add_u32_e32 v10, v6, v10
	v_mov_b32_e32 v11, v33
	v_cmp_ne_u32_e32 vcc, 0, v7
                                        ; implicit-def: $vgpr6
	s_and_saveexec_b64 s[20:21], vcc
	s_xor_b64 s[20:21], exec, s[20:21]
; %bb.1519:                             ;   in Loop: Header=BB2_939 Depth=2
	v_cmp_lt_u64_e32 vcc, s[60:61], v[10:11]
	v_add_u32_e32 v6, 7, v8
	v_cndmask_b32_e32 v6, v7, v6, vcc
	v_cndmask_b32_e64 v7, 0, 1, vcc
	v_lshrrev_b64 v[10:11], v7, v[10:11]
; %bb.1520:                             ;   in Loop: Header=BB2_939 Depth=2
	s_andn2_saveexec_b64 s[20:21], s[20:21]
; %bb.1521:                             ;   in Loop: Header=BB2_939 Depth=2
	v_bfe_u32 v6, v10, 23, 1
; %bb.1522:                             ;   in Loop: Header=BB2_939 Depth=2
	s_or_b64 exec, exec, s[20:21]
	v_lshrrev_b64 v[7:8], 20, v[10:11]
	v_cmp_gt_i32_e32 vcc, 16, v6
	v_cndmask_b32_e32 v8, 0, v8, vcc
	v_cndmask_b32_e32 v7, 7, v7, vcc
	v_cmp_eq_u32_e32 vcc, 0, v6
	v_min_i32_e32 v6, 15, v6
	v_cmp_eq_u64_e64 s[20:21], 0, v[7:8]
	v_lshlrev_b32_e32 v6, 3, v6
	v_and_b32_e32 v6, 0xf8, v6
	v_and_or_b32 v6, v7, 7, v6
	s_and_b64 s[20:21], vcc, s[20:21]
	v_cndmask_b32_e64 v6, v6, 0, s[20:21]
	v_or_b32_e32 v15, v6, v5
.LBB2_1523:                             ;   in Loop: Header=BB2_939 Depth=2
	s_or_b64 exec, exec, s[92:93]
                                        ; implicit-def: $vgpr5
.LBB2_1524:                             ;   in Loop: Header=BB2_939 Depth=2
	s_andn2_saveexec_b64 s[20:21], s[90:91]
; %bb.1525:                             ;   in Loop: Header=BB2_939 Depth=2
	v_or_b32_e32 v15, 0x7e, v5
; %bb.1526:                             ;   in Loop: Header=BB2_939 Depth=2
	s_or_b64 exec, exec, s[20:21]
                                        ; implicit-def: $vgpr10
.LBB2_1527:                             ;   in Loop: Header=BB2_939 Depth=2
	s_andn2_saveexec_b64 s[20:21], s[88:89]
; %bb.1528:                             ;   in Loop: Header=BB2_939 Depth=2
	v_or_b32_sdwa v15, v10, s51 dst_sel:DWORD dst_unused:UNUSED_PAD src0_sel:BYTE_3 src1_sel:DWORD
; %bb.1529:                             ;   in Loop: Header=BB2_939 Depth=2
	s_or_b64 exec, exec, s[20:21]
	v_lshrrev_b16_e32 v10, 8, v4
	v_cmp_ne_u16_e32 vcc, 0, v10
	v_mov_b32_e32 v5, 0
	s_and_saveexec_b64 s[20:21], vcc
	s_cbranch_execz .LBB2_1535
; %bb.1530:                             ;   in Loop: Header=BB2_939 Depth=2
	v_cmp_ne_u16_e32 vcc, s53, v10
	v_bfrev_b32_e32 v5, 1
	s_and_saveexec_b64 s[88:89], vcc
	s_cbranch_execz .LBB2_1534
; %bb.1531:                             ;   in Loop: Header=BB2_939 Depth=2
	v_and_b32_e32 v6, 0x7f, v10
	v_cmp_ne_u32_e32 vcc, s51, v6
	v_mov_b32_e32 v5, 0x7f800001
	s_and_saveexec_b64 s[90:91], vcc
	s_cbranch_execz .LBB2_1533
; %bb.1532:                             ;   in Loop: Header=BB2_939 Depth=2
	v_and_b32_e32 v7, 7, v10
	v_ffbh_u32_e32 v5, v7
	v_min_u32_e32 v9, 32, v5
	v_subrev_u32_e32 v5, 28, v9
	v_lshrrev_b32_e32 v8, 3, v6
	v_cmp_gt_u32_e32 vcc, 8, v6
	v_lshlrev_b64 v[5:6], v5, v[10:11]
	v_sub_u32_e32 v6, 29, v9
	v_and_b32_e32 v5, 7, v5
	v_cndmask_b32_e32 v6, v8, v6, vcc
	v_cndmask_b32_e32 v5, v7, v5, vcc
	v_lshlrev_b32_e32 v4, 16, v4
	v_lshlrev_b32_e32 v5, 20, v5
	v_and_b32_e32 v4, 0x80000000, v4
	v_lshl_add_u32 v6, v6, 23, v3
	v_or3_b32 v5, v4, v6, v5
.LBB2_1533:                             ;   in Loop: Header=BB2_939 Depth=2
	s_or_b64 exec, exec, s[90:91]
.LBB2_1534:                             ;   in Loop: Header=BB2_939 Depth=2
	s_or_b64 exec, exec, s[88:89]
.LBB2_1535:                             ;   in Loop: Header=BB2_939 Depth=2
	s_or_b64 exec, exec, s[20:21]
	v_lshrrev_b16_e32 v10, 8, v12
	v_cmp_lt_i16_e32 vcc, s51, v10
	s_mov_b64 s[20:21], 0
	s_and_saveexec_b64 s[88:89], vcc
	s_xor_b64 s[88:89], exec, s[88:89]
	s_cbranch_execnz .LBB2_1731
; %bb.1536:                             ;   in Loop: Header=BB2_939 Depth=2
	s_or_saveexec_b64 s[88:89], s[88:89]
	v_bfrev_b32_e32 v4, 1
	s_xor_b64 exec, exec, s[88:89]
	s_cbranch_execnz .LBB2_1734
.LBB2_1537:                             ;   in Loop: Header=BB2_939 Depth=2
	s_or_b64 exec, exec, s[88:89]
	s_and_saveexec_b64 s[88:89], s[20:21]
	s_cbranch_execz .LBB2_1539
.LBB2_1538:                             ;   in Loop: Header=BB2_939 Depth=2
	v_and_b32_e32 v4, 7, v10
	v_ffbh_u32_e32 v6, v4
	v_min_u32_e32 v21, 32, v6
	v_mov_b32_e32 v11, v33
	v_subrev_u32_e32 v6, 28, v21
	v_lshlrev_b64 v[6:7], v6, v[10:11]
	v_and_b32_e32 v8, 0x7f, v10
	v_bfe_u32 v9, v10, 3, 4
	v_sub_u32_e32 v7, 29, v21
	v_and_b32_e32 v6, 7, v6
	v_cmp_gt_u32_e32 vcc, 8, v8
	v_cndmask_b32_e32 v7, v9, v7, vcc
	v_cndmask_b32_e32 v4, v4, v6, vcc
	v_lshlrev_b32_e32 v6, 24, v10
	v_lshlrev_b32_e32 v4, 20, v4
	v_and_b32_e32 v6, 0x80000000, v6
	v_lshl_add_u32 v7, v7, 23, v3
	v_or3_b32 v4, v6, v7, v4
	v_cmp_ne_u32_e32 vcc, s51, v8
	v_cndmask_b32_e32 v4, v2, v4, vcc
.LBB2_1539:                             ;   in Loop: Header=BB2_939 Depth=2
	s_or_b64 exec, exec, s[88:89]
	v_add_f32_e32 v5, v5, v4
	v_and_b32_e32 v6, 0x7f800000, v5
	v_mov_b32_e32 v7, v33
	v_cmp_ne_u64_e32 vcc, s[56:57], v[6:7]
                                        ; implicit-def: $vgpr21
	s_and_saveexec_b64 s[20:21], vcc
	s_xor_b64 s[88:89], exec, s[20:21]
	s_cbranch_execz .LBB2_1553
; %bb.1540:                             ;   in Loop: Header=BB2_939 Depth=2
	v_and_b32_e32 v6, 0x7fffffff, v5
	v_mov_b32_e32 v7, v33
	v_cmp_gt_u64_e32 vcc, s[58:59], v[6:7]
	v_and_b32_sdwa v4, v5, s53 dst_sel:DWORD dst_unused:UNUSED_PAD src0_sel:BYTE_3 src1_sel:DWORD
                                        ; implicit-def: $vgpr21
	s_and_saveexec_b64 s[20:21], vcc
	s_xor_b64 s[90:91], exec, s[20:21]
	s_cbranch_execz .LBB2_1550
; %bb.1541:                             ;   in Loop: Header=BB2_939 Depth=2
	v_mov_b32_e32 v21, 0
	v_cmp_ne_u32_e32 vcc, 0, v5
	s_and_saveexec_b64 s[92:93], vcc
	s_cbranch_execz .LBB2_1549
; %bb.1542:                             ;   in Loop: Header=BB2_939 Depth=2
	v_and_b32_e32 v7, 0x7fffff, v5
	v_bfe_u32 v5, v5, 23, 8
	v_cmp_gt_u32_e64 s[20:21], s54, v5
	v_sub_u32_e32 v6, 0x79, v5
	v_cmp_eq_u32_e32 vcc, 0, v5
	v_cndmask_b32_e64 v6, 0, v6, s[20:21]
	v_cndmask_b32_e32 v6, v6, v47, vcc
	v_add_u32_e32 v9, 20, v6
	v_or_b32_e32 v8, 0x800000, v7
	v_lshlrev_b64 v[9:10], v9, -1
	v_add_u32_e32 v11, 19, v6
	v_cndmask_b32_e32 v7, v8, v7, vcc
	v_lshlrev_b64 v[21:22], v11, 1
	v_mov_b32_e32 v8, v33
	v_bfi_b32 v10, v10, 0, 0
	v_bfi_b32 v9, v9, 0, v7
	v_cmp_eq_u64_e64 s[20:21], v[9:10], v[21:22]
	v_lshrrev_b64 v[10:11], v6, v[7:8]
	v_mov_b32_e32 v41, v11
	v_mov_b32_e32 v40, v10
	s_and_saveexec_b64 s[94:95], s[20:21]
; %bb.1543:                             ;   in Loop: Header=BB2_939 Depth=2
	v_bfe_u32 v7, v10, 20, 1
	v_add_co_u32_e64 v7, s[20:21], v10, v7
	v_add_co_u32_e64 v40, s[20:21], -1, v7
; %bb.1544:                             ;   in Loop: Header=BB2_939 Depth=2
	s_or_b64 exec, exec, s[94:95]
	v_add_u32_e32 v5, 0xffffff81, v5
	v_cndmask_b32_e32 v5, v5, v44, vcc
	v_lshrrev_b32_e32 v7, 23, v10
	v_add3_u32 v7, v6, v5, v7
	v_add_u32_e32 v6, 6, v7
	v_and_b32_e32 v5, 0xfffff, v40
	v_add_u32_e32 v10, v5, v10
	v_mov_b32_e32 v11, v33
	v_cmp_ne_u32_e32 vcc, 0, v6
                                        ; implicit-def: $vgpr5
	s_and_saveexec_b64 s[20:21], vcc
	s_xor_b64 s[20:21], exec, s[20:21]
; %bb.1545:                             ;   in Loop: Header=BB2_939 Depth=2
	v_cmp_lt_u64_e32 vcc, s[60:61], v[10:11]
	v_add_u32_e32 v5, 7, v7
	v_cndmask_b32_e32 v5, v6, v5, vcc
	v_cndmask_b32_e64 v6, 0, 1, vcc
	v_lshrrev_b64 v[10:11], v6, v[10:11]
; %bb.1546:                             ;   in Loop: Header=BB2_939 Depth=2
	s_andn2_saveexec_b64 s[20:21], s[20:21]
; %bb.1547:                             ;   in Loop: Header=BB2_939 Depth=2
	v_bfe_u32 v5, v10, 23, 1
; %bb.1548:                             ;   in Loop: Header=BB2_939 Depth=2
	s_or_b64 exec, exec, s[20:21]
	v_lshrrev_b64 v[6:7], 20, v[10:11]
	v_cmp_gt_i32_e32 vcc, 16, v5
	v_cndmask_b32_e32 v7, 0, v7, vcc
	v_cndmask_b32_e32 v6, 7, v6, vcc
	v_cmp_eq_u32_e32 vcc, 0, v5
	v_min_i32_e32 v5, 15, v5
	v_cmp_eq_u64_e64 s[20:21], 0, v[6:7]
	v_lshlrev_b32_e32 v5, 3, v5
	v_and_b32_e32 v5, 0xf8, v5
	v_and_or_b32 v5, v6, 7, v5
	s_and_b64 s[20:21], vcc, s[20:21]
	v_cndmask_b32_e64 v5, v5, 0, s[20:21]
	v_or_b32_e32 v21, v5, v4
.LBB2_1549:                             ;   in Loop: Header=BB2_939 Depth=2
	s_or_b64 exec, exec, s[92:93]
                                        ; implicit-def: $vgpr4
.LBB2_1550:                             ;   in Loop: Header=BB2_939 Depth=2
	s_andn2_saveexec_b64 s[20:21], s[90:91]
; %bb.1551:                             ;   in Loop: Header=BB2_939 Depth=2
	v_or_b32_e32 v21, 0x7e, v4
; %bb.1552:                             ;   in Loop: Header=BB2_939 Depth=2
	s_or_b64 exec, exec, s[20:21]
                                        ; implicit-def: $vgpr5
.LBB2_1553:                             ;   in Loop: Header=BB2_939 Depth=2
	s_andn2_saveexec_b64 s[20:21], s[88:89]
; %bb.1554:                             ;   in Loop: Header=BB2_939 Depth=2
	v_or_b32_sdwa v21, v5, s51 dst_sel:DWORD dst_unused:UNUSED_PAD src0_sel:BYTE_3 src1_sel:DWORD
; %bb.1555:                             ;   in Loop: Header=BB2_939 Depth=2
	s_or_b64 exec, exec, s[20:21]
	v_lshrrev_b32_e32 v10, 16, v32
	v_cmp_ne_u16_sdwa s[88:89], v10, v33 src0_sel:BYTE_0 src1_sel:DWORD
	v_mov_b32_e32 v4, 0
	s_and_saveexec_b64 s[20:21], s[88:89]
	s_cbranch_execz .LBB2_1561
; %bb.1556:                             ;   in Loop: Header=BB2_939 Depth=2
	v_cmp_ne_u16_sdwa s[90:91], v10, s53 src0_sel:BYTE_0 src1_sel:DWORD
	v_bfrev_b32_e32 v4, 1
	s_and_saveexec_b64 s[88:89], s[90:91]
	s_cbranch_execz .LBB2_1560
; %bb.1557:                             ;   in Loop: Header=BB2_939 Depth=2
	v_bfe_u32 v5, v32, 16, 7
	v_cmp_ne_u32_e32 vcc, s51, v5
	v_mov_b32_e32 v4, 0x7f800001
	s_and_saveexec_b64 s[90:91], vcc
	s_cbranch_execz .LBB2_1559
; %bb.1558:                             ;   in Loop: Header=BB2_939 Depth=2
	v_and_b32_e32 v6, 7, v10
	v_ffbh_u32_e32 v4, v6
	v_min_u32_e32 v8, 32, v4
	v_subrev_u32_e32 v4, 28, v8
	v_lshrrev_b32_e32 v7, 3, v5
	v_cmp_gt_u32_e32 vcc, 8, v5
	v_lshlrev_b64 v[4:5], v4, v[10:11]
	v_sub_u32_e32 v5, 29, v8
	v_and_b32_e32 v4, 7, v4
	v_cndmask_b32_e32 v5, v7, v5, vcc
	v_cndmask_b32_e32 v4, v6, v4, vcc
	v_lshlrev_b32_e32 v6, 24, v10
	v_lshlrev_b32_e32 v4, 20, v4
	v_and_b32_e32 v6, 0x80000000, v6
	v_lshl_add_u32 v5, v5, 23, v3
	v_or3_b32 v4, v6, v5, v4
.LBB2_1559:                             ;   in Loop: Header=BB2_939 Depth=2
	s_or_b64 exec, exec, s[90:91]
.LBB2_1560:                             ;   in Loop: Header=BB2_939 Depth=2
	s_or_b64 exec, exec, s[88:89]
.LBB2_1561:                             ;   in Loop: Header=BB2_939 Depth=2
	s_or_b64 exec, exec, s[20:21]
	v_lshrrev_b32_e32 v10, 16, v12
	v_cmp_gt_i16_sdwa s[88:89], v10, s51 src0_sel:BYTE_0 src1_sel:DWORD
	s_mov_b64 s[20:21], 0
	s_and_saveexec_b64 s[90:91], s[88:89]
	s_xor_b64 s[88:89], exec, s[90:91]
	s_cbranch_execnz .LBB2_1735
; %bb.1562:                             ;   in Loop: Header=BB2_939 Depth=2
	s_or_saveexec_b64 s[88:89], s[88:89]
	v_bfrev_b32_e32 v5, 1
	s_xor_b64 exec, exec, s[88:89]
	s_cbranch_execnz .LBB2_1738
.LBB2_1563:                             ;   in Loop: Header=BB2_939 Depth=2
	s_or_b64 exec, exec, s[88:89]
	s_and_saveexec_b64 s[88:89], s[20:21]
	s_cbranch_execz .LBB2_1565
.LBB2_1564:                             ;   in Loop: Header=BB2_939 Depth=2
	v_and_b32_e32 v7, 7, v10
	v_ffbh_u32_e32 v5, v7
	v_min_u32_e32 v11, 32, v5
	v_subrev_u32_e32 v5, 28, v11
	v_lshlrev_b64 v[5:6], v5, v[10:11]
	v_and_b32_e32 v8, 0x7f, v10
	v_bfe_u32 v9, v10, 3, 4
	v_sub_u32_e32 v6, 29, v11
	v_and_b32_e32 v5, 7, v5
	v_cmp_gt_u32_e32 vcc, 8, v8
	v_cndmask_b32_e32 v6, v9, v6, vcc
	v_cndmask_b32_e32 v5, v7, v5, vcc
	v_lshlrev_b32_e32 v7, 24, v10
	v_lshlrev_b32_e32 v5, 20, v5
	v_and_b32_e32 v7, 0x80000000, v7
	v_lshl_add_u32 v6, v6, 23, v3
	v_or3_b32 v5, v7, v6, v5
	v_cmp_ne_u32_e32 vcc, s51, v8
	v_cndmask_b32_e32 v5, v2, v5, vcc
.LBB2_1565:                             ;   in Loop: Header=BB2_939 Depth=2
	s_or_b64 exec, exec, s[88:89]
	v_add_f32_e32 v5, v4, v5
	v_and_b32_e32 v6, 0x7f800000, v5
	v_mov_b32_e32 v7, v33
	v_cmp_ne_u64_e32 vcc, s[56:57], v[6:7]
                                        ; implicit-def: $vgpr26
	s_and_saveexec_b64 s[20:21], vcc
	s_xor_b64 s[88:89], exec, s[20:21]
	s_cbranch_execz .LBB2_1579
; %bb.1566:                             ;   in Loop: Header=BB2_939 Depth=2
	v_and_b32_e32 v6, 0x7fffffff, v5
	v_mov_b32_e32 v7, v33
	v_cmp_gt_u64_e32 vcc, s[58:59], v[6:7]
	v_and_b32_sdwa v4, v5, s53 dst_sel:DWORD dst_unused:UNUSED_PAD src0_sel:BYTE_3 src1_sel:DWORD
                                        ; implicit-def: $vgpr26
	s_and_saveexec_b64 s[20:21], vcc
	s_xor_b64 s[90:91], exec, s[20:21]
	s_cbranch_execz .LBB2_1576
; %bb.1567:                             ;   in Loop: Header=BB2_939 Depth=2
	v_mov_b32_e32 v26, 0
	v_cmp_ne_u32_e32 vcc, 0, v5
	s_and_saveexec_b64 s[92:93], vcc
	s_cbranch_execz .LBB2_1575
; %bb.1568:                             ;   in Loop: Header=BB2_939 Depth=2
	v_and_b32_e32 v7, 0x7fffff, v5
	v_bfe_u32 v5, v5, 23, 8
	v_cmp_gt_u32_e64 s[20:21], s54, v5
	v_sub_u32_e32 v6, 0x79, v5
	v_cmp_eq_u32_e32 vcc, 0, v5
	v_cndmask_b32_e64 v6, 0, v6, s[20:21]
	v_cndmask_b32_e32 v6, v6, v47, vcc
	v_add_u32_e32 v9, 20, v6
	v_or_b32_e32 v8, 0x800000, v7
	v_lshlrev_b64 v[9:10], v9, -1
	v_add_u32_e32 v11, 19, v6
	v_cndmask_b32_e32 v7, v8, v7, vcc
	v_lshlrev_b64 v[22:23], v11, 1
	v_mov_b32_e32 v8, v33
	v_bfi_b32 v10, v10, 0, 0
	v_bfi_b32 v9, v9, 0, v7
	v_cmp_eq_u64_e64 s[20:21], v[9:10], v[22:23]
	v_lshrrev_b64 v[10:11], v6, v[7:8]
	v_mov_b32_e32 v41, v11
	v_mov_b32_e32 v40, v10
	s_and_saveexec_b64 s[94:95], s[20:21]
; %bb.1569:                             ;   in Loop: Header=BB2_939 Depth=2
	v_bfe_u32 v7, v10, 20, 1
	v_add_co_u32_e64 v7, s[20:21], v10, v7
	v_add_co_u32_e64 v40, s[20:21], -1, v7
; %bb.1570:                             ;   in Loop: Header=BB2_939 Depth=2
	s_or_b64 exec, exec, s[94:95]
	v_add_u32_e32 v5, 0xffffff81, v5
	v_cndmask_b32_e32 v5, v5, v44, vcc
	v_lshrrev_b32_e32 v7, 23, v10
	v_add3_u32 v7, v6, v5, v7
	v_add_u32_e32 v6, 6, v7
	v_and_b32_e32 v5, 0xfffff, v40
	v_add_u32_e32 v10, v5, v10
	v_mov_b32_e32 v11, v33
	v_cmp_ne_u32_e32 vcc, 0, v6
                                        ; implicit-def: $vgpr5
	s_and_saveexec_b64 s[20:21], vcc
	s_xor_b64 s[20:21], exec, s[20:21]
; %bb.1571:                             ;   in Loop: Header=BB2_939 Depth=2
	v_cmp_lt_u64_e32 vcc, s[60:61], v[10:11]
	v_add_u32_e32 v5, 7, v7
	v_cndmask_b32_e32 v5, v6, v5, vcc
	v_cndmask_b32_e64 v6, 0, 1, vcc
	v_lshrrev_b64 v[10:11], v6, v[10:11]
; %bb.1572:                             ;   in Loop: Header=BB2_939 Depth=2
	s_andn2_saveexec_b64 s[20:21], s[20:21]
; %bb.1573:                             ;   in Loop: Header=BB2_939 Depth=2
	v_bfe_u32 v5, v10, 23, 1
; %bb.1574:                             ;   in Loop: Header=BB2_939 Depth=2
	s_or_b64 exec, exec, s[20:21]
	v_lshrrev_b64 v[6:7], 20, v[10:11]
	v_cmp_gt_i32_e32 vcc, 16, v5
	v_cndmask_b32_e32 v7, 0, v7, vcc
	v_cndmask_b32_e32 v6, 7, v6, vcc
	v_cmp_eq_u32_e32 vcc, 0, v5
	v_min_i32_e32 v5, 15, v5
	v_cmp_eq_u64_e64 s[20:21], 0, v[6:7]
	v_lshlrev_b32_e32 v5, 3, v5
	v_and_b32_e32 v5, 0xf8, v5
	v_and_or_b32 v5, v6, 7, v5
	s_and_b64 s[20:21], vcc, s[20:21]
	v_cndmask_b32_e64 v5, v5, 0, s[20:21]
	v_or_b32_e32 v26, v5, v4
.LBB2_1575:                             ;   in Loop: Header=BB2_939 Depth=2
	s_or_b64 exec, exec, s[92:93]
                                        ; implicit-def: $vgpr4
.LBB2_1576:                             ;   in Loop: Header=BB2_939 Depth=2
	s_andn2_saveexec_b64 s[20:21], s[90:91]
; %bb.1577:                             ;   in Loop: Header=BB2_939 Depth=2
	v_or_b32_e32 v26, 0x7e, v4
; %bb.1578:                             ;   in Loop: Header=BB2_939 Depth=2
	s_or_b64 exec, exec, s[20:21]
                                        ; implicit-def: $vgpr5
.LBB2_1579:                             ;   in Loop: Header=BB2_939 Depth=2
	s_andn2_saveexec_b64 s[20:21], s[88:89]
; %bb.1580:                             ;   in Loop: Header=BB2_939 Depth=2
	v_or_b32_sdwa v26, v5, s51 dst_sel:DWORD dst_unused:UNUSED_PAD src0_sel:BYTE_3 src1_sel:DWORD
; %bb.1581:                             ;   in Loop: Header=BB2_939 Depth=2
	s_or_b64 exec, exec, s[20:21]
	v_cmp_lt_u32_e32 vcc, s63, v32
	v_mov_b32_e32 v4, 0
	s_and_saveexec_b64 s[20:21], vcc
	s_cbranch_execz .LBB2_1587
; %bb.1582:                             ;   in Loop: Header=BB2_939 Depth=2
	v_lshrrev_b32_e32 v10, 24, v32
	v_cmp_ne_u32_sdwa s[90:91], v32, s53 src0_sel:BYTE_3 src1_sel:DWORD
	v_bfrev_b32_e32 v4, 1
	s_and_saveexec_b64 s[88:89], s[90:91]
	s_cbranch_execz .LBB2_1586
; %bb.1583:                             ;   in Loop: Header=BB2_939 Depth=2
	v_bfe_u32 v5, v32, 24, 7
	v_cmp_ne_u32_e32 vcc, s51, v5
	v_mov_b32_e32 v4, 0x7f800001
	s_and_saveexec_b64 s[90:91], vcc
	s_cbranch_execz .LBB2_1585
; %bb.1584:                             ;   in Loop: Header=BB2_939 Depth=2
	v_and_b32_e32 v6, 7, v10
	v_ffbh_u32_e32 v4, v6
	v_min_u32_e32 v8, 32, v4
	v_subrev_u32_e32 v4, 28, v8
	v_lshrrev_b32_e32 v7, 3, v5
	v_cmp_gt_u32_e32 vcc, 8, v5
	v_lshlrev_b64 v[4:5], v4, v[10:11]
	v_sub_u32_e32 v5, 29, v8
	v_and_b32_e32 v4, 7, v4
	v_cndmask_b32_e32 v4, v6, v4, vcc
	v_mov_b32_e32 v6, 24
	v_cndmask_b32_e32 v5, v7, v5, vcc
	v_lshlrev_b32_sdwa v6, v6, v32 dst_sel:DWORD dst_unused:UNUSED_PAD src0_sel:DWORD src1_sel:BYTE_3
	v_lshlrev_b32_e32 v4, 20, v4
	v_and_b32_e32 v6, 0x80000000, v6
	v_lshl_add_u32 v5, v5, 23, v3
	v_or3_b32 v4, v6, v5, v4
.LBB2_1585:                             ;   in Loop: Header=BB2_939 Depth=2
	s_or_b64 exec, exec, s[90:91]
.LBB2_1586:                             ;   in Loop: Header=BB2_939 Depth=2
	s_or_b64 exec, exec, s[88:89]
.LBB2_1587:                             ;   in Loop: Header=BB2_939 Depth=2
	s_or_b64 exec, exec, s[20:21]
	v_bfe_u32 v8, v12, 24, 3
	v_ffbh_u32_e32 v6, v8
	v_min_u32_e32 v11, 32, v6
	v_lshrrev_b32_e32 v5, 24, v12
	v_subrev_u32_e32 v6, 28, v11
	v_lshlrev_b64 v[6:7], v6, v[5:6]
	v_bfe_u32 v9, v12, 24, 7
	v_bfe_u32 v10, v5, 3, 4
	v_sub_u32_e32 v7, 29, v11
	v_and_b32_e32 v6, 7, v6
	v_cmp_gt_u32_e32 vcc, 8, v9
	v_cndmask_b32_e32 v7, v10, v7, vcc
	v_cndmask_b32_e32 v6, v8, v6, vcc
	v_lshlrev_b32_e32 v6, 20, v6
	v_and_b32_e32 v8, 0x80000000, v12
	v_lshl_add_u32 v7, v7, 23, v3
	v_or3_b32 v6, v8, v7, v6
	v_cmp_ne_u32_e32 vcc, s51, v9
	v_cndmask_b32_e32 v6, v2, v6, vcc
	v_cmp_ne_u32_e32 vcc, s53, v5
	v_cndmask_b32_e32 v5, v31, v6, vcc
	v_cmp_lt_u32_e32 vcc, s63, v12
	v_cndmask_b32_e32 v5, 0, v5, vcc
	v_add_f32_e32 v10, v5, v4
	v_and_b32_e32 v32, 0x7f800000, v10
	v_cmp_ne_u64_e32 vcc, s[56:57], v[32:33]
                                        ; implicit-def: $vgpr4
	s_and_saveexec_b64 s[20:21], vcc
	s_xor_b64 s[88:89], exec, s[20:21]
	s_cbranch_execz .LBB2_1601
; %bb.1588:                             ;   in Loop: Header=BB2_939 Depth=2
	v_and_b32_e32 v32, 0x7fffffff, v10
	v_cmp_gt_u64_e32 vcc, s[58:59], v[32:33]
	v_and_b32_sdwa v5, v10, s53 dst_sel:DWORD dst_unused:UNUSED_PAD src0_sel:BYTE_3 src1_sel:DWORD
                                        ; implicit-def: $vgpr4
	s_and_saveexec_b64 s[20:21], vcc
	s_xor_b64 s[90:91], exec, s[20:21]
	s_cbranch_execz .LBB2_1598
; %bb.1589:                             ;   in Loop: Header=BB2_939 Depth=2
	v_mov_b32_e32 v4, 0
	v_cmp_ne_u32_e32 vcc, 0, v10
	s_and_saveexec_b64 s[92:93], vcc
	s_cbranch_execz .LBB2_1597
; %bb.1590:                             ;   in Loop: Header=BB2_939 Depth=2
	v_bfe_u32 v4, v10, 23, 8
	v_cmp_gt_u32_e64 s[20:21], s54, v4
	v_sub_u32_e32 v6, 0x79, v4
	v_and_b32_e32 v7, 0x7fffff, v10
	v_cmp_eq_u32_e32 vcc, 0, v4
	v_cndmask_b32_e64 v6, 0, v6, s[20:21]
	v_or_b32_e32 v8, 0x800000, v7
	v_cndmask_b32_e32 v6, v6, v47, vcc
	v_cndmask_b32_e32 v32, v8, v7, vcc
	v_add_u32_e32 v7, 20, v6
	v_lshlrev_b64 v[7:8], v7, -1
	v_add_u32_e32 v9, 19, v6
	v_lshlrev_b64 v[9:10], v9, 1
	v_bfi_b32 v8, v8, 0, 0
	v_bfi_b32 v7, v7, 0, v32
	v_cmp_eq_u64_e64 s[20:21], v[7:8], v[9:10]
	v_lshrrev_b64 v[10:11], v6, v[32:33]
	v_mov_b32_e32 v41, v11
	v_mov_b32_e32 v40, v10
	s_and_saveexec_b64 s[94:95], s[20:21]
; %bb.1591:                             ;   in Loop: Header=BB2_939 Depth=2
	v_bfe_u32 v7, v10, 20, 1
	v_add_co_u32_e64 v7, s[20:21], v10, v7
	v_add_co_u32_e64 v40, s[20:21], -1, v7
; %bb.1592:                             ;   in Loop: Header=BB2_939 Depth=2
	s_or_b64 exec, exec, s[94:95]
	v_add_u32_e32 v4, 0xffffff81, v4
	v_cndmask_b32_e32 v4, v4, v44, vcc
	v_lshrrev_b32_e32 v7, 23, v10
	v_add3_u32 v7, v6, v4, v7
	v_add_u32_e32 v6, 6, v7
	v_and_b32_e32 v4, 0xfffff, v40
	v_add_u32_e32 v32, v4, v10
	v_cmp_ne_u32_e32 vcc, 0, v6
                                        ; implicit-def: $vgpr10_vgpr11
                                        ; implicit-def: $vgpr4
	s_and_saveexec_b64 s[20:21], vcc
	s_xor_b64 s[20:21], exec, s[20:21]
; %bb.1593:                             ;   in Loop: Header=BB2_939 Depth=2
	v_cmp_lt_u64_e32 vcc, s[60:61], v[32:33]
	v_add_u32_e32 v4, 7, v7
	v_cndmask_b32_e32 v4, v6, v4, vcc
	v_cndmask_b32_e64 v6, 0, 1, vcc
	v_lshrrev_b64 v[10:11], v6, v[32:33]
; %bb.1594:                             ;   in Loop: Header=BB2_939 Depth=2
	s_andn2_saveexec_b64 s[20:21], s[20:21]
; %bb.1595:                             ;   in Loop: Header=BB2_939 Depth=2
	v_mov_b32_e32 v10, v32
	v_bfe_u32 v4, v32, 23, 1
	v_mov_b32_e32 v11, v33
; %bb.1596:                             ;   in Loop: Header=BB2_939 Depth=2
	s_or_b64 exec, exec, s[20:21]
	v_lshrrev_b64 v[6:7], 20, v[10:11]
	v_cmp_gt_i32_e32 vcc, 16, v4
	v_cndmask_b32_e32 v7, 0, v7, vcc
	v_cndmask_b32_e32 v6, 7, v6, vcc
	v_cmp_eq_u32_e32 vcc, 0, v4
	v_min_i32_e32 v4, 15, v4
	v_cmp_eq_u64_e64 s[20:21], 0, v[6:7]
	v_lshlrev_b32_e32 v4, 3, v4
	v_and_b32_e32 v4, 0xf8, v4
	v_and_or_b32 v4, v6, 7, v4
	s_and_b64 s[20:21], vcc, s[20:21]
	v_cndmask_b32_e64 v4, v4, 0, s[20:21]
	v_or_b32_e32 v4, v4, v5
.LBB2_1597:                             ;   in Loop: Header=BB2_939 Depth=2
	s_or_b64 exec, exec, s[92:93]
                                        ; implicit-def: $vgpr5
.LBB2_1598:                             ;   in Loop: Header=BB2_939 Depth=2
	s_andn2_saveexec_b64 s[20:21], s[90:91]
; %bb.1599:                             ;   in Loop: Header=BB2_939 Depth=2
	v_or_b32_e32 v4, 0x7e, v5
; %bb.1600:                             ;   in Loop: Header=BB2_939 Depth=2
	s_or_b64 exec, exec, s[20:21]
                                        ; implicit-def: $vgpr10
.LBB2_1601:                             ;   in Loop: Header=BB2_939 Depth=2
	s_andn2_saveexec_b64 s[20:21], s[88:89]
; %bb.1602:                             ;   in Loop: Header=BB2_939 Depth=2
	v_or_b32_sdwa v4, v10, s51 dst_sel:DWORD dst_unused:UNUSED_PAD src0_sel:BYTE_3 src1_sel:DWORD
; %bb.1603:                             ;   in Loop: Header=BB2_939 Depth=2
	s_or_b64 exec, exec, s[20:21]
	v_lshlrev_b32_e32 v6, 24, v20
	v_lshlrev_b32_e32 v7, 16, v62
	v_lshl_or_b32 v5, v28, 8, v1
	v_or3_b32 v32, v7, v6, v5
	v_cmp_ne_u32_e32 vcc, 0, v1
	v_mov_b32_e32 v20, 0
	s_and_saveexec_b64 s[20:21], vcc
	s_cbranch_execz .LBB2_1609
; %bb.1604:                             ;   in Loop: Header=BB2_939 Depth=2
	v_cmp_ne_u32_e32 vcc, s53, v1
	v_bfrev_b32_e32 v20, 1
	s_and_saveexec_b64 s[88:89], vcc
	s_cbranch_execz .LBB2_1608
; %bb.1605:                             ;   in Loop: Header=BB2_939 Depth=2
	v_and_b32_e32 v6, 0x7f, v1
	v_cmp_ne_u32_e32 vcc, s51, v6
	v_mov_b32_e32 v20, 0x7f800001
	s_and_saveexec_b64 s[90:91], vcc
	s_cbranch_execz .LBB2_1607
; %bb.1606:                             ;   in Loop: Header=BB2_939 Depth=2
	v_and_b32_e32 v1, 7, v1
	v_ffbh_u32_e32 v1, v1
	v_min_u32_e32 v1, 32, v1
	v_lshrrev_b32_e32 v7, 3, v6
	v_cmp_gt_u32_e32 vcc, 8, v6
	v_subrev_u32_e32 v6, 28, v1
	v_sub_u32_e32 v1, 29, v1
	v_cndmask_b32_e32 v6, 0, v6, vcc
	v_cndmask_b32_e32 v1, v7, v1, vcc
	v_lshlrev_b64 v[6:7], v6, v[32:33]
	v_lshlrev_b32_e32 v7, 24, v32
	v_lshlrev_b32_e32 v6, 20, v6
	v_and_b32_e32 v6, 0x700000, v6
	v_and_b32_e32 v7, 0x80000000, v7
	v_lshl_add_u32 v1, v1, 23, v3
	v_or3_b32 v20, v7, v1, v6
.LBB2_1607:                             ;   in Loop: Header=BB2_939 Depth=2
	s_or_b64 exec, exec, s[90:91]
.LBB2_1608:                             ;   in Loop: Header=BB2_939 Depth=2
	s_or_b64 exec, exec, s[88:89]
.LBB2_1609:                             ;   in Loop: Header=BB2_939 Depth=2
	s_or_b64 exec, exec, s[20:21]
	v_cmp_gt_i16_sdwa s[88:89], v13, s51 src0_sel:BYTE_0 src1_sel:DWORD
	s_mov_b64 s[20:21], 0
	s_and_saveexec_b64 s[90:91], s[88:89]
	s_xor_b64 s[88:89], exec, s[90:91]
	s_cbranch_execz .LBB2_1613
; %bb.1610:                             ;   in Loop: Header=BB2_939 Depth=2
	v_cmp_eq_u16_sdwa s[92:93], v13, s53 src0_sel:BYTE_0 src1_sel:DWORD
	s_mov_b64 s[20:21], -1
	s_and_saveexec_b64 s[90:91], s[92:93]
; %bb.1611:                             ;   in Loop: Header=BB2_939 Depth=2
	s_xor_b64 s[20:21], exec, -1
; %bb.1612:                             ;   in Loop: Header=BB2_939 Depth=2
	s_or_b64 exec, exec, s[90:91]
	s_and_b64 s[20:21], s[20:21], exec
.LBB2_1613:                             ;   in Loop: Header=BB2_939 Depth=2
	s_or_saveexec_b64 s[88:89], s[88:89]
	v_bfrev_b32_e32 v1, 1
	s_xor_b64 exec, exec, s[88:89]
; %bb.1614:                             ;   in Loop: Header=BB2_939 Depth=2
	v_cmp_ne_u16_sdwa s[90:91], v13, v33 src0_sel:BYTE_0 src1_sel:DWORD
	s_andn2_b64 s[20:21], s[20:21], exec
	s_and_b64 s[90:91], s[90:91], exec
	v_mov_b32_e32 v1, 0
	s_or_b64 s[20:21], s[20:21], s[90:91]
; %bb.1615:                             ;   in Loop: Header=BB2_939 Depth=2
	s_or_b64 exec, exec, s[88:89]
	v_mov_b32_e32 v10, v13
	v_mov_b32_e32 v11, v33
	s_and_saveexec_b64 s[88:89], s[20:21]
	s_cbranch_execz .LBB2_1617
; %bb.1616:                             ;   in Loop: Header=BB2_939 Depth=2
	v_and_b32_e32 v1, 7, v13
	v_ffbh_u32_e32 v1, v1
	v_and_b32_e32 v8, 0x7f, v13
	v_min_u32_e32 v1, 32, v1
	v_bfe_u32 v6, v13, 3, 4
	v_subrev_u32_e32 v7, 28, v1
	v_sub_u32_e32 v1, 29, v1
	v_cmp_gt_u32_e32 vcc, 8, v8
	v_cndmask_b32_e32 v1, v6, v1, vcc
	v_cndmask_b32_e32 v6, 0, v7, vcc
	v_lshlrev_b64 v[6:7], v6, v[10:11]
	v_lshlrev_b32_e32 v7, 24, v10
	v_lshlrev_b32_e32 v6, 20, v6
	v_and_b32_e32 v6, 0x700000, v6
	v_and_b32_e32 v7, 0x80000000, v7
	v_lshl_add_u32 v1, v1, 23, v3
	v_or3_b32 v1, v7, v1, v6
	v_cmp_ne_u32_e32 vcc, s51, v8
	v_cndmask_b32_e32 v1, v2, v1, vcc
.LBB2_1617:                             ;   in Loop: Header=BB2_939 Depth=2
	s_or_b64 exec, exec, s[88:89]
	v_add_f32_e32 v20, v20, v1
	v_and_b32_e32 v6, 0x7f800000, v20
	v_mov_b32_e32 v7, v33
	v_cmp_ne_u64_e32 vcc, s[56:57], v[6:7]
                                        ; implicit-def: $vgpr1
	s_and_saveexec_b64 s[20:21], vcc
	s_xor_b64 s[88:89], exec, s[20:21]
	s_cbranch_execz .LBB2_1631
; %bb.1618:                             ;   in Loop: Header=BB2_939 Depth=2
	v_and_b32_e32 v6, 0x7fffffff, v20
	v_mov_b32_e32 v7, v33
	v_cmp_gt_u64_e32 vcc, s[58:59], v[6:7]
	v_and_b32_sdwa v11, v20, s53 dst_sel:DWORD dst_unused:UNUSED_PAD src0_sel:BYTE_3 src1_sel:DWORD
                                        ; implicit-def: $vgpr1
	s_and_saveexec_b64 s[20:21], vcc
	s_xor_b64 s[90:91], exec, s[20:21]
	s_cbranch_execz .LBB2_1628
; %bb.1619:                             ;   in Loop: Header=BB2_939 Depth=2
	v_mov_b32_e32 v1, 0
	v_cmp_ne_u32_e32 vcc, 0, v20
	s_and_saveexec_b64 s[92:93], vcc
	s_cbranch_execz .LBB2_1627
; %bb.1620:                             ;   in Loop: Header=BB2_939 Depth=2
	v_bfe_u32 v1, v20, 23, 8
	v_cmp_gt_u32_e64 s[20:21], s54, v1
	v_sub_u32_e32 v6, 0x79, v1
	v_cmp_eq_u32_e32 vcc, 0, v1
	v_cndmask_b32_e64 v6, 0, v6, s[20:21]
	v_and_b32_e32 v7, 0x7fffff, v20
	v_cndmask_b32_e32 v6, v6, v47, vcc
	v_or_b32_e32 v8, 0x800000, v7
	v_add_u32_e32 v9, 20, v6
	v_cndmask_b32_e32 v7, v8, v7, vcc
	v_mov_b32_e32 v8, v33
	v_lshlrev_b64 v[22:23], v9, -1
	v_add_u32_e32 v9, 19, v6
	v_lshlrev_b64 v[27:28], v9, 1
	v_lshrrev_b64 v[40:41], v6, v[7:8]
	v_bfi_b32 v23, v23, 0, 0
	v_bfi_b32 v22, v22, 0, v7
	v_cmp_eq_u64_e64 s[20:21], v[22:23], v[27:28]
	v_mov_b32_e32 v42, v41
	v_mov_b32_e32 v41, v40
	s_and_saveexec_b64 s[94:95], s[20:21]
; %bb.1621:                             ;   in Loop: Header=BB2_939 Depth=2
	v_bfe_u32 v7, v40, 20, 1
	v_add_co_u32_e64 v7, s[20:21], v40, v7
	v_add_co_u32_e64 v41, s[20:21], -1, v7
; %bb.1622:                             ;   in Loop: Header=BB2_939 Depth=2
	s_or_b64 exec, exec, s[94:95]
	v_add_u32_e32 v1, 0xffffff81, v1
	v_cndmask_b32_e32 v1, v1, v44, vcc
	v_lshrrev_b32_e32 v7, 23, v40
	v_add3_u32 v7, v6, v1, v7
	v_add_u32_e32 v6, 6, v7
	v_and_b32_e32 v1, 0xfffff, v41
	v_add_u32_e32 v40, v1, v40
	v_mov_b32_e32 v41, v33
	v_cmp_ne_u32_e32 vcc, 0, v6
                                        ; implicit-def: $vgpr1
	s_and_saveexec_b64 s[20:21], vcc
	s_xor_b64 s[20:21], exec, s[20:21]
; %bb.1623:                             ;   in Loop: Header=BB2_939 Depth=2
	v_cmp_lt_u64_e32 vcc, s[60:61], v[40:41]
	v_add_u32_e32 v1, 7, v7
	v_cndmask_b32_e32 v1, v6, v1, vcc
	v_cndmask_b32_e64 v6, 0, 1, vcc
	v_lshrrev_b64 v[40:41], v6, v[40:41]
; %bb.1624:                             ;   in Loop: Header=BB2_939 Depth=2
	s_andn2_saveexec_b64 s[20:21], s[20:21]
; %bb.1625:                             ;   in Loop: Header=BB2_939 Depth=2
	v_bfe_u32 v1, v40, 23, 1
; %bb.1626:                             ;   in Loop: Header=BB2_939 Depth=2
	s_or_b64 exec, exec, s[20:21]
	v_lshrrev_b64 v[6:7], 20, v[40:41]
	v_cmp_gt_i32_e32 vcc, 16, v1
	v_cndmask_b32_e32 v7, 0, v7, vcc
	v_cndmask_b32_e32 v6, 7, v6, vcc
	v_cmp_eq_u32_e32 vcc, 0, v1
	v_min_i32_e32 v1, 15, v1
	v_cmp_eq_u64_e64 s[20:21], 0, v[6:7]
	v_lshlrev_b32_e32 v1, 3, v1
	v_and_b32_e32 v1, 0xf8, v1
	v_and_or_b32 v1, v6, 7, v1
	s_and_b64 s[20:21], vcc, s[20:21]
	v_cndmask_b32_e64 v1, v1, 0, s[20:21]
	v_or_b32_e32 v1, v1, v11
.LBB2_1627:                             ;   in Loop: Header=BB2_939 Depth=2
	s_or_b64 exec, exec, s[92:93]
                                        ; implicit-def: $vgpr11
.LBB2_1628:                             ;   in Loop: Header=BB2_939 Depth=2
	s_andn2_saveexec_b64 s[20:21], s[90:91]
; %bb.1629:                             ;   in Loop: Header=BB2_939 Depth=2
	v_or_b32_e32 v1, 0x7e, v11
; %bb.1630:                             ;   in Loop: Header=BB2_939 Depth=2
	s_or_b64 exec, exec, s[20:21]
                                        ; implicit-def: $vgpr20
.LBB2_1631:                             ;   in Loop: Header=BB2_939 Depth=2
	s_andn2_saveexec_b64 s[20:21], s[88:89]
; %bb.1632:                             ;   in Loop: Header=BB2_939 Depth=2
	v_or_b32_sdwa v1, v20, s51 dst_sel:DWORD dst_unused:UNUSED_PAD src0_sel:BYTE_3 src1_sel:DWORD
; %bb.1633:                             ;   in Loop: Header=BB2_939 Depth=2
	s_or_b64 exec, exec, s[20:21]
	v_lshrrev_b16_e32 v11, 8, v5
	v_cmp_ne_u16_e32 vcc, 0, v11
	v_mov_b32_e32 v20, 0
	s_and_saveexec_b64 s[20:21], vcc
	s_cbranch_execz .LBB2_1639
; %bb.1634:                             ;   in Loop: Header=BB2_939 Depth=2
	v_cmp_ne_u16_e32 vcc, s53, v11
	v_bfrev_b32_e32 v20, 1
	s_and_saveexec_b64 s[88:89], vcc
	s_cbranch_execz .LBB2_1638
; %bb.1635:                             ;   in Loop: Header=BB2_939 Depth=2
	v_and_b32_e32 v6, 0x7f, v11
	v_cmp_ne_u32_e32 vcc, s51, v6
	v_mov_b32_e32 v20, 0x7f800001
	s_and_saveexec_b64 s[90:91], vcc
	s_cbranch_execz .LBB2_1637
; %bb.1636:                             ;   in Loop: Header=BB2_939 Depth=2
	v_and_b32_e32 v8, 7, v11
	v_lshrrev_b32_e32 v9, 3, v6
	v_cmp_gt_u32_e32 vcc, 8, v6
	v_ffbh_u32_e32 v6, v8
	v_min_u32_e32 v20, 32, v6
	v_subrev_u32_e32 v6, 28, v20
	v_lshlrev_b64 v[6:7], v6, v[11:12]
	v_sub_u32_e32 v7, 29, v20
	v_and_b32_e32 v6, 7, v6
	v_cndmask_b32_e32 v7, v9, v7, vcc
	v_cndmask_b32_e32 v6, v8, v6, vcc
	v_lshlrev_b32_e32 v5, 16, v5
	v_lshlrev_b32_e32 v6, 20, v6
	v_and_b32_e32 v5, 0x80000000, v5
	v_lshl_add_u32 v7, v7, 23, v3
	v_or3_b32 v20, v5, v7, v6
.LBB2_1637:                             ;   in Loop: Header=BB2_939 Depth=2
	s_or_b64 exec, exec, s[90:91]
.LBB2_1638:                             ;   in Loop: Header=BB2_939 Depth=2
	s_or_b64 exec, exec, s[88:89]
.LBB2_1639:                             ;   in Loop: Header=BB2_939 Depth=2
	s_or_b64 exec, exec, s[20:21]
	v_lshrrev_b16_e32 v10, 8, v10
	v_cmp_lt_i16_e32 vcc, s51, v10
	s_mov_b64 s[20:21], 0
	s_and_saveexec_b64 s[88:89], vcc
	s_xor_b64 s[88:89], exec, s[88:89]
	s_cbranch_execnz .LBB2_1739
; %bb.1640:                             ;   in Loop: Header=BB2_939 Depth=2
	s_or_saveexec_b64 s[88:89], s[88:89]
	v_bfrev_b32_e32 v5, 1
	s_xor_b64 exec, exec, s[88:89]
	s_cbranch_execnz .LBB2_1742
.LBB2_1641:                             ;   in Loop: Header=BB2_939 Depth=2
	s_or_b64 exec, exec, s[88:89]
	s_and_saveexec_b64 s[88:89], s[20:21]
	s_cbranch_execz .LBB2_1643
.LBB2_1642:                             ;   in Loop: Header=BB2_939 Depth=2
	v_and_b32_e32 v7, 7, v10
	v_ffbh_u32_e32 v5, v7
	v_min_u32_e32 v22, 32, v5
	v_mov_b32_e32 v11, v33
	v_subrev_u32_e32 v5, 28, v22
	v_lshlrev_b64 v[5:6], v5, v[10:11]
	v_and_b32_e32 v8, 0x7f, v10
	v_bfe_u32 v9, v10, 3, 4
	v_sub_u32_e32 v6, 29, v22
	v_and_b32_e32 v5, 7, v5
	v_cmp_gt_u32_e32 vcc, 8, v8
	v_cndmask_b32_e32 v6, v9, v6, vcc
	v_cndmask_b32_e32 v5, v7, v5, vcc
	v_lshlrev_b32_e32 v7, 24, v10
	v_lshlrev_b32_e32 v5, 20, v5
	v_and_b32_e32 v7, 0x80000000, v7
	v_lshl_add_u32 v6, v6, 23, v3
	v_or3_b32 v5, v7, v6, v5
	v_cmp_ne_u32_e32 vcc, s51, v8
	v_cndmask_b32_e32 v5, v2, v5, vcc
.LBB2_1643:                             ;   in Loop: Header=BB2_939 Depth=2
	s_or_b64 exec, exec, s[88:89]
	v_add_f32_e32 v10, v20, v5
	v_and_b32_e32 v5, 0x7f800000, v10
	v_mov_b32_e32 v6, v33
	v_cmp_ne_u64_e32 vcc, s[56:57], v[5:6]
                                        ; implicit-def: $vgpr5
	s_and_saveexec_b64 s[20:21], vcc
	s_xor_b64 s[88:89], exec, s[20:21]
	s_cbranch_execz .LBB2_1657
; %bb.1644:                             ;   in Loop: Header=BB2_939 Depth=2
	v_and_b32_e32 v5, 0x7fffffff, v10
	v_mov_b32_e32 v6, v33
	v_cmp_gt_u64_e32 vcc, s[58:59], v[5:6]
	v_and_b32_sdwa v20, v10, s53 dst_sel:DWORD dst_unused:UNUSED_PAD src0_sel:BYTE_3 src1_sel:DWORD
                                        ; implicit-def: $vgpr5
	s_and_saveexec_b64 s[20:21], vcc
	s_xor_b64 s[90:91], exec, s[20:21]
	s_cbranch_execz .LBB2_1654
; %bb.1645:                             ;   in Loop: Header=BB2_939 Depth=2
	v_mov_b32_e32 v5, 0
	v_cmp_ne_u32_e32 vcc, 0, v10
	s_and_saveexec_b64 s[92:93], vcc
	s_cbranch_execz .LBB2_1653
; %bb.1646:                             ;   in Loop: Header=BB2_939 Depth=2
	v_bfe_u32 v5, v10, 23, 8
	v_cmp_gt_u32_e64 s[20:21], s54, v5
	v_sub_u32_e32 v6, 0x79, v5
	v_cmp_eq_u32_e32 vcc, 0, v5
	v_cndmask_b32_e64 v6, 0, v6, s[20:21]
	v_cndmask_b32_e32 v6, v6, v47, vcc
	v_and_b32_e32 v7, 0x7fffff, v10
	v_add_u32_e32 v9, 20, v6
	v_or_b32_e32 v8, 0x800000, v7
	v_lshlrev_b64 v[9:10], v9, -1
	v_add_u32_e32 v11, 19, v6
	v_cndmask_b32_e32 v7, v8, v7, vcc
	v_lshlrev_b64 v[22:23], v11, 1
	v_mov_b32_e32 v8, v33
	v_bfi_b32 v10, v10, 0, 0
	v_bfi_b32 v9, v9, 0, v7
	v_cmp_eq_u64_e64 s[20:21], v[9:10], v[22:23]
	v_lshrrev_b64 v[10:11], v6, v[7:8]
	v_mov_b32_e32 v41, v11
	v_mov_b32_e32 v40, v10
	s_and_saveexec_b64 s[94:95], s[20:21]
; %bb.1647:                             ;   in Loop: Header=BB2_939 Depth=2
	v_bfe_u32 v7, v10, 20, 1
	v_add_co_u32_e64 v7, s[20:21], v10, v7
	v_add_co_u32_e64 v40, s[20:21], -1, v7
; %bb.1648:                             ;   in Loop: Header=BB2_939 Depth=2
	s_or_b64 exec, exec, s[94:95]
	v_add_u32_e32 v5, 0xffffff81, v5
	v_cndmask_b32_e32 v5, v5, v44, vcc
	v_lshrrev_b32_e32 v7, 23, v10
	v_add3_u32 v7, v6, v5, v7
	v_add_u32_e32 v6, 6, v7
	v_and_b32_e32 v5, 0xfffff, v40
	v_add_u32_e32 v10, v5, v10
	v_mov_b32_e32 v11, v33
	v_cmp_ne_u32_e32 vcc, 0, v6
                                        ; implicit-def: $vgpr5
	s_and_saveexec_b64 s[20:21], vcc
	s_xor_b64 s[20:21], exec, s[20:21]
; %bb.1649:                             ;   in Loop: Header=BB2_939 Depth=2
	v_cmp_lt_u64_e32 vcc, s[60:61], v[10:11]
	v_add_u32_e32 v5, 7, v7
	v_cndmask_b32_e32 v5, v6, v5, vcc
	v_cndmask_b32_e64 v6, 0, 1, vcc
	v_lshrrev_b64 v[10:11], v6, v[10:11]
; %bb.1650:                             ;   in Loop: Header=BB2_939 Depth=2
	s_andn2_saveexec_b64 s[20:21], s[20:21]
; %bb.1651:                             ;   in Loop: Header=BB2_939 Depth=2
	v_bfe_u32 v5, v10, 23, 1
; %bb.1652:                             ;   in Loop: Header=BB2_939 Depth=2
	s_or_b64 exec, exec, s[20:21]
	v_lshrrev_b64 v[6:7], 20, v[10:11]
	v_cmp_gt_i32_e32 vcc, 16, v5
	v_cndmask_b32_e32 v7, 0, v7, vcc
	v_cndmask_b32_e32 v6, 7, v6, vcc
	v_cmp_eq_u32_e32 vcc, 0, v5
	v_min_i32_e32 v5, 15, v5
	v_cmp_eq_u64_e64 s[20:21], 0, v[6:7]
	v_lshlrev_b32_e32 v5, 3, v5
	v_and_b32_e32 v5, 0xf8, v5
	v_and_or_b32 v5, v6, 7, v5
	s_and_b64 s[20:21], vcc, s[20:21]
	v_cndmask_b32_e64 v5, v5, 0, s[20:21]
	v_or_b32_e32 v5, v5, v20
.LBB2_1653:                             ;   in Loop: Header=BB2_939 Depth=2
	s_or_b64 exec, exec, s[92:93]
                                        ; implicit-def: $vgpr20
.LBB2_1654:                             ;   in Loop: Header=BB2_939 Depth=2
	s_andn2_saveexec_b64 s[20:21], s[90:91]
; %bb.1655:                             ;   in Loop: Header=BB2_939 Depth=2
	v_or_b32_e32 v5, 0x7e, v20
; %bb.1656:                             ;   in Loop: Header=BB2_939 Depth=2
	s_or_b64 exec, exec, s[20:21]
                                        ; implicit-def: $vgpr10
.LBB2_1657:                             ;   in Loop: Header=BB2_939 Depth=2
	s_andn2_saveexec_b64 s[20:21], s[88:89]
; %bb.1658:                             ;   in Loop: Header=BB2_939 Depth=2
	v_or_b32_sdwa v5, v10, s51 dst_sel:DWORD dst_unused:UNUSED_PAD src0_sel:BYTE_3 src1_sel:DWORD
; %bb.1659:                             ;   in Loop: Header=BB2_939 Depth=2
	s_or_b64 exec, exec, s[20:21]
	v_lshrrev_b32_e32 v10, 16, v32
	v_cmp_ne_u16_sdwa s[88:89], v10, v33 src0_sel:BYTE_0 src1_sel:DWORD
	v_mov_b32_e32 v11, 0
	s_and_saveexec_b64 s[20:21], s[88:89]
	s_cbranch_execz .LBB2_1665
; %bb.1660:                             ;   in Loop: Header=BB2_939 Depth=2
	v_cmp_ne_u16_sdwa s[90:91], v10, s53 src0_sel:BYTE_0 src1_sel:DWORD
	v_bfrev_b32_e32 v11, 1
	s_and_saveexec_b64 s[88:89], s[90:91]
	s_cbranch_execz .LBB2_1664
; %bb.1661:                             ;   in Loop: Header=BB2_939 Depth=2
	v_bfe_u32 v6, v32, 16, 7
	v_cmp_ne_u32_e32 vcc, s51, v6
	v_mov_b32_e32 v11, 0x7f800001
	s_and_saveexec_b64 s[90:91], vcc
	s_cbranch_execz .LBB2_1663
; %bb.1662:                             ;   in Loop: Header=BB2_939 Depth=2
	v_and_b32_e32 v8, 7, v10
	v_lshrrev_b32_e32 v9, 3, v6
	v_cmp_gt_u32_e32 vcc, 8, v6
	v_ffbh_u32_e32 v6, v8
	v_min_u32_e32 v11, 32, v6
	v_subrev_u32_e32 v6, 28, v11
	v_lshlrev_b64 v[6:7], v6, v[10:11]
	v_sub_u32_e32 v7, 29, v11
	v_and_b32_e32 v6, 7, v6
	v_cndmask_b32_e32 v7, v9, v7, vcc
	v_cndmask_b32_e32 v6, v8, v6, vcc
	v_lshlrev_b32_e32 v8, 24, v10
	v_lshlrev_b32_e32 v6, 20, v6
	v_and_b32_e32 v8, 0x80000000, v8
	v_lshl_add_u32 v7, v7, 23, v3
	v_or3_b32 v11, v8, v7, v6
.LBB2_1663:                             ;   in Loop: Header=BB2_939 Depth=2
	s_or_b64 exec, exec, s[90:91]
.LBB2_1664:                             ;   in Loop: Header=BB2_939 Depth=2
	s_or_b64 exec, exec, s[88:89]
.LBB2_1665:                             ;   in Loop: Header=BB2_939 Depth=2
	s_or_b64 exec, exec, s[20:21]
	v_lshrrev_b32_e32 v10, 16, v13
	v_cmp_gt_i16_sdwa s[88:89], v10, s51 src0_sel:BYTE_0 src1_sel:DWORD
	s_mov_b64 s[20:21], 0
	s_and_saveexec_b64 s[90:91], s[88:89]
	s_xor_b64 s[88:89], exec, s[90:91]
	s_cbranch_execnz .LBB2_1743
; %bb.1666:                             ;   in Loop: Header=BB2_939 Depth=2
	s_or_saveexec_b64 s[88:89], s[88:89]
	v_bfrev_b32_e32 v6, 1
	s_xor_b64 exec, exec, s[88:89]
	s_cbranch_execnz .LBB2_1746
.LBB2_1667:                             ;   in Loop: Header=BB2_939 Depth=2
	s_or_b64 exec, exec, s[88:89]
	s_and_saveexec_b64 s[88:89], s[20:21]
	s_cbranch_execz .LBB2_1669
.LBB2_1668:                             ;   in Loop: Header=BB2_939 Depth=2
	v_and_b32_e32 v8, 7, v10
	v_ffbh_u32_e32 v6, v8
	v_min_u32_e32 v22, 32, v6
	v_subrev_u32_e32 v6, 28, v22
	v_lshlrev_b64 v[6:7], v6, v[10:11]
	v_and_b32_e32 v9, 0x7f, v10
	v_bfe_u32 v20, v10, 3, 4
	v_sub_u32_e32 v7, 29, v22
	v_and_b32_e32 v6, 7, v6
	v_cmp_gt_u32_e32 vcc, 8, v9
	v_cndmask_b32_e32 v7, v20, v7, vcc
	v_cndmask_b32_e32 v6, v8, v6, vcc
	v_lshlrev_b32_e32 v8, 24, v10
	v_lshlrev_b32_e32 v6, 20, v6
	v_and_b32_e32 v8, 0x80000000, v8
	v_lshl_add_u32 v7, v7, 23, v3
	v_or3_b32 v6, v8, v7, v6
	v_cmp_ne_u32_e32 vcc, s51, v9
	v_cndmask_b32_e32 v6, v2, v6, vcc
.LBB2_1669:                             ;   in Loop: Header=BB2_939 Depth=2
	s_or_b64 exec, exec, s[88:89]
	v_add_f32_e32 v10, v11, v6
	v_and_b32_e32 v6, 0x7f800000, v10
	v_mov_b32_e32 v7, v33
	v_cmp_ne_u64_e32 vcc, s[56:57], v[6:7]
                                        ; implicit-def: $vgpr20
	s_and_saveexec_b64 s[20:21], vcc
	s_xor_b64 s[88:89], exec, s[20:21]
	s_cbranch_execz .LBB2_1683
; %bb.1670:                             ;   in Loop: Header=BB2_939 Depth=2
	v_and_b32_e32 v6, 0x7fffffff, v10
	v_mov_b32_e32 v7, v33
	v_cmp_gt_u64_e32 vcc, s[58:59], v[6:7]
	v_and_b32_sdwa v22, v10, s53 dst_sel:DWORD dst_unused:UNUSED_PAD src0_sel:BYTE_3 src1_sel:DWORD
                                        ; implicit-def: $vgpr20
	s_and_saveexec_b64 s[20:21], vcc
	s_xor_b64 s[90:91], exec, s[20:21]
	s_cbranch_execz .LBB2_1680
; %bb.1671:                             ;   in Loop: Header=BB2_939 Depth=2
	v_mov_b32_e32 v20, 0
	v_cmp_ne_u32_e32 vcc, 0, v10
	s_and_saveexec_b64 s[92:93], vcc
	s_cbranch_execz .LBB2_1679
; %bb.1672:                             ;   in Loop: Header=BB2_939 Depth=2
	v_bfe_u32 v20, v10, 23, 8
	v_cmp_gt_u32_e64 s[20:21], s54, v20
	v_sub_u32_e32 v6, 0x79, v20
	v_cmp_eq_u32_e32 vcc, 0, v20
	v_cndmask_b32_e64 v6, 0, v6, s[20:21]
	v_cndmask_b32_e32 v6, v6, v47, vcc
	v_and_b32_e32 v7, 0x7fffff, v10
	v_add_u32_e32 v9, 20, v6
	v_or_b32_e32 v8, 0x800000, v7
	v_lshlrev_b64 v[9:10], v9, -1
	v_add_u32_e32 v11, 19, v6
	v_cndmask_b32_e32 v7, v8, v7, vcc
	v_lshlrev_b64 v[27:28], v11, 1
	v_mov_b32_e32 v8, v33
	v_bfi_b32 v10, v10, 0, 0
	v_bfi_b32 v9, v9, 0, v7
	v_cmp_eq_u64_e64 s[20:21], v[9:10], v[27:28]
	v_lshrrev_b64 v[10:11], v6, v[7:8]
	v_mov_b32_e32 v41, v11
	v_mov_b32_e32 v40, v10
	s_and_saveexec_b64 s[94:95], s[20:21]
; %bb.1673:                             ;   in Loop: Header=BB2_939 Depth=2
	v_bfe_u32 v7, v10, 20, 1
	v_add_co_u32_e64 v7, s[20:21], v10, v7
	v_add_co_u32_e64 v40, s[20:21], -1, v7
; %bb.1674:                             ;   in Loop: Header=BB2_939 Depth=2
	s_or_b64 exec, exec, s[94:95]
	v_add_u32_e32 v7, 0xffffff81, v20
	v_cndmask_b32_e32 v7, v7, v44, vcc
	v_lshrrev_b32_e32 v8, 23, v10
	v_add3_u32 v8, v6, v7, v8
	v_add_u32_e32 v7, 6, v8
	v_and_b32_e32 v6, 0xfffff, v40
	v_add_u32_e32 v10, v6, v10
	v_mov_b32_e32 v11, v33
	v_cmp_ne_u32_e32 vcc, 0, v7
                                        ; implicit-def: $vgpr6
	s_and_saveexec_b64 s[20:21], vcc
	s_xor_b64 s[20:21], exec, s[20:21]
; %bb.1675:                             ;   in Loop: Header=BB2_939 Depth=2
	v_cmp_lt_u64_e32 vcc, s[60:61], v[10:11]
	v_add_u32_e32 v6, 7, v8
	v_cndmask_b32_e32 v6, v7, v6, vcc
	v_cndmask_b32_e64 v7, 0, 1, vcc
	v_lshrrev_b64 v[10:11], v7, v[10:11]
; %bb.1676:                             ;   in Loop: Header=BB2_939 Depth=2
	s_andn2_saveexec_b64 s[20:21], s[20:21]
; %bb.1677:                             ;   in Loop: Header=BB2_939 Depth=2
	v_bfe_u32 v6, v10, 23, 1
; %bb.1678:                             ;   in Loop: Header=BB2_939 Depth=2
	s_or_b64 exec, exec, s[20:21]
	v_lshrrev_b64 v[7:8], 20, v[10:11]
	v_cmp_gt_i32_e32 vcc, 16, v6
	v_cndmask_b32_e32 v8, 0, v8, vcc
	v_cndmask_b32_e32 v7, 7, v7, vcc
	v_cmp_eq_u32_e32 vcc, 0, v6
	v_min_i32_e32 v6, 15, v6
	v_cmp_eq_u64_e64 s[20:21], 0, v[7:8]
	v_lshlrev_b32_e32 v6, 3, v6
	v_and_b32_e32 v6, 0xf8, v6
	v_and_or_b32 v6, v7, 7, v6
	s_and_b64 s[20:21], vcc, s[20:21]
	v_cndmask_b32_e64 v6, v6, 0, s[20:21]
	v_or_b32_e32 v20, v6, v22
.LBB2_1679:                             ;   in Loop: Header=BB2_939 Depth=2
	s_or_b64 exec, exec, s[92:93]
                                        ; implicit-def: $vgpr22
.LBB2_1680:                             ;   in Loop: Header=BB2_939 Depth=2
	s_andn2_saveexec_b64 s[20:21], s[90:91]
; %bb.1681:                             ;   in Loop: Header=BB2_939 Depth=2
	v_or_b32_e32 v20, 0x7e, v22
; %bb.1682:                             ;   in Loop: Header=BB2_939 Depth=2
	s_or_b64 exec, exec, s[20:21]
                                        ; implicit-def: $vgpr10
.LBB2_1683:                             ;   in Loop: Header=BB2_939 Depth=2
	s_andn2_saveexec_b64 s[20:21], s[88:89]
; %bb.1684:                             ;   in Loop: Header=BB2_939 Depth=2
	v_or_b32_sdwa v20, v10, s51 dst_sel:DWORD dst_unused:UNUSED_PAD src0_sel:BYTE_3 src1_sel:DWORD
; %bb.1685:                             ;   in Loop: Header=BB2_939 Depth=2
	s_or_b64 exec, exec, s[20:21]
	v_cmp_lt_u32_e32 vcc, s63, v32
	v_mov_b32_e32 v11, 0
	s_and_saveexec_b64 s[20:21], vcc
	s_cbranch_execz .LBB2_1691
; %bb.1686:                             ;   in Loop: Header=BB2_939 Depth=2
	v_lshrrev_b32_e32 v10, 24, v32
	v_cmp_ne_u32_sdwa s[90:91], v32, s53 src0_sel:BYTE_3 src1_sel:DWORD
	v_bfrev_b32_e32 v11, 1
	s_and_saveexec_b64 s[88:89], s[90:91]
	s_cbranch_execz .LBB2_1690
; %bb.1687:                             ;   in Loop: Header=BB2_939 Depth=2
	v_bfe_u32 v6, v32, 24, 7
	v_cmp_ne_u32_e32 vcc, s51, v6
	v_mov_b32_e32 v11, 0x7f800001
	s_and_saveexec_b64 s[90:91], vcc
	s_cbranch_execz .LBB2_1689
; %bb.1688:                             ;   in Loop: Header=BB2_939 Depth=2
	v_and_b32_e32 v8, 7, v10
	v_lshrrev_b32_e32 v9, 3, v6
	v_cmp_gt_u32_e32 vcc, 8, v6
	v_ffbh_u32_e32 v6, v8
	v_min_u32_e32 v11, 32, v6
	v_subrev_u32_e32 v6, 28, v11
	v_lshlrev_b64 v[6:7], v6, v[10:11]
	v_sub_u32_e32 v7, 29, v11
	v_and_b32_e32 v6, 7, v6
	v_cndmask_b32_e32 v6, v8, v6, vcc
	v_mov_b32_e32 v8, 24
	v_cndmask_b32_e32 v7, v9, v7, vcc
	v_lshlrev_b32_sdwa v8, v8, v32 dst_sel:DWORD dst_unused:UNUSED_PAD src0_sel:DWORD src1_sel:BYTE_3
	v_lshlrev_b32_e32 v6, 20, v6
	v_and_b32_e32 v8, 0x80000000, v8
	v_lshl_add_u32 v7, v7, 23, v3
	v_or3_b32 v11, v8, v7, v6
.LBB2_1689:                             ;   in Loop: Header=BB2_939 Depth=2
	s_or_b64 exec, exec, s[90:91]
.LBB2_1690:                             ;   in Loop: Header=BB2_939 Depth=2
	s_or_b64 exec, exec, s[88:89]
.LBB2_1691:                             ;   in Loop: Header=BB2_939 Depth=2
	s_or_b64 exec, exec, s[20:21]
	v_bfe_u32 v9, v13, 24, 3
	v_ffbh_u32_e32 v7, v9
	v_min_u32_e32 v23, 32, v7
	v_lshrrev_b32_e32 v6, 24, v13
	v_subrev_u32_e32 v7, 28, v23
	v_lshlrev_b64 v[7:8], v7, v[6:7]
	v_bfe_u32 v10, v13, 24, 7
	v_bfe_u32 v22, v6, 3, 4
	v_sub_u32_e32 v8, 29, v23
	v_and_b32_e32 v7, 7, v7
	v_cmp_gt_u32_e32 vcc, 8, v10
	v_cndmask_b32_e32 v8, v22, v8, vcc
	v_cndmask_b32_e32 v7, v9, v7, vcc
	v_lshlrev_b32_e32 v7, 20, v7
	v_and_b32_e32 v9, 0x80000000, v13
	v_lshl_add_u32 v8, v8, 23, v3
	v_or3_b32 v7, v9, v8, v7
	v_cmp_ne_u32_e32 vcc, s51, v10
	v_cndmask_b32_e32 v7, v2, v7, vcc
	v_cmp_ne_u32_e32 vcc, s53, v6
	v_cndmask_b32_e32 v6, v31, v7, vcc
	v_cmp_lt_u64_e32 vcc, s[62:63], v[12:13]
                                        ; implicit-def: $vgpr10
	v_cndmask_b32_e32 v6, 0, v6, vcc
	v_add_f32_e32 v11, v6, v11
	v_and_b32_e32 v32, 0x7f800000, v11
	v_cmp_ne_u64_e32 vcc, s[56:57], v[32:33]
	s_and_saveexec_b64 s[20:21], vcc
	s_xor_b64 s[88:89], exec, s[20:21]
	s_cbranch_execz .LBB2_1705
; %bb.1692:                             ;   in Loop: Header=BB2_939 Depth=2
	v_and_b32_e32 v32, 0x7fffffff, v11
	v_cmp_gt_u64_e32 vcc, s[58:59], v[32:33]
	v_and_b32_sdwa v13, v11, s53 dst_sel:DWORD dst_unused:UNUSED_PAD src0_sel:BYTE_3 src1_sel:DWORD
                                        ; implicit-def: $vgpr10
	s_and_saveexec_b64 s[20:21], vcc
	s_xor_b64 s[90:91], exec, s[20:21]
	s_cbranch_execz .LBB2_1702
; %bb.1693:                             ;   in Loop: Header=BB2_939 Depth=2
	v_mov_b32_e32 v10, 0
	v_cmp_ne_u32_e32 vcc, 0, v11
	s_and_saveexec_b64 s[92:93], vcc
	s_cbranch_execz .LBB2_1701
; %bb.1694:                             ;   in Loop: Header=BB2_939 Depth=2
	v_bfe_u32 v22, v11, 23, 8
	v_cmp_gt_u32_e64 s[20:21], s54, v22
	v_sub_u32_e32 v6, 0x79, v22
	v_and_b32_e32 v7, 0x7fffff, v11
	v_cmp_eq_u32_e32 vcc, 0, v22
	v_cndmask_b32_e64 v6, 0, v6, s[20:21]
	v_or_b32_e32 v8, 0x800000, v7
	v_cndmask_b32_e32 v6, v6, v47, vcc
	v_cndmask_b32_e32 v32, v8, v7, vcc
	v_add_u32_e32 v7, 20, v6
	v_lshlrev_b64 v[7:8], v7, -1
	v_add_u32_e32 v9, 19, v6
	v_lshlrev_b64 v[9:10], v9, 1
	v_bfi_b32 v8, v8, 0, 0
	v_bfi_b32 v7, v7, 0, v32
	v_cmp_eq_u64_e64 s[20:21], v[7:8], v[9:10]
	v_lshrrev_b64 v[10:11], v6, v[32:33]
	v_mov_b32_e32 v12, v11
	v_mov_b32_e32 v11, v10
	s_and_saveexec_b64 s[94:95], s[20:21]
; %bb.1695:                             ;   in Loop: Header=BB2_939 Depth=2
	v_bfe_u32 v7, v10, 20, 1
	v_add_co_u32_e64 v7, s[20:21], v10, v7
	v_add_co_u32_e64 v11, s[20:21], -1, v7
; %bb.1696:                             ;   in Loop: Header=BB2_939 Depth=2
	s_or_b64 exec, exec, s[94:95]
	v_add_u32_e32 v7, 0xffffff81, v22
	v_cndmask_b32_e32 v7, v7, v44, vcc
	v_lshrrev_b32_e32 v8, 23, v10
	v_add3_u32 v8, v6, v7, v8
	v_add_u32_e32 v7, 6, v8
	v_and_b32_e32 v6, 0xfffff, v11
	v_add_u32_e32 v32, v6, v10
	v_cmp_ne_u32_e32 vcc, 0, v7
                                        ; implicit-def: $vgpr10_vgpr11
                                        ; implicit-def: $vgpr6
	s_and_saveexec_b64 s[20:21], vcc
	s_xor_b64 s[20:21], exec, s[20:21]
; %bb.1697:                             ;   in Loop: Header=BB2_939 Depth=2
	v_cmp_lt_u64_e32 vcc, s[60:61], v[32:33]
	v_add_u32_e32 v6, 7, v8
	v_cndmask_b32_e32 v6, v7, v6, vcc
	v_cndmask_b32_e64 v7, 0, 1, vcc
	v_lshrrev_b64 v[10:11], v7, v[32:33]
; %bb.1698:                             ;   in Loop: Header=BB2_939 Depth=2
	s_andn2_saveexec_b64 s[20:21], s[20:21]
; %bb.1699:                             ;   in Loop: Header=BB2_939 Depth=2
	v_mov_b32_e32 v10, v32
	v_bfe_u32 v6, v32, 23, 1
	v_mov_b32_e32 v11, v33
; %bb.1700:                             ;   in Loop: Header=BB2_939 Depth=2
	s_or_b64 exec, exec, s[20:21]
	v_lshrrev_b64 v[7:8], 20, v[10:11]
	v_cmp_gt_i32_e32 vcc, 16, v6
	v_cndmask_b32_e32 v8, 0, v8, vcc
	v_cndmask_b32_e32 v7, 7, v7, vcc
	v_cmp_eq_u32_e32 vcc, 0, v6
	v_min_i32_e32 v6, 15, v6
	v_cmp_eq_u64_e64 s[20:21], 0, v[7:8]
	v_lshlrev_b32_e32 v6, 3, v6
	v_and_b32_e32 v6, 0xf8, v6
	v_and_or_b32 v6, v7, 7, v6
	s_and_b64 s[20:21], vcc, s[20:21]
	v_cndmask_b32_e64 v6, v6, 0, s[20:21]
	v_or_b32_e32 v10, v6, v13
.LBB2_1701:                             ;   in Loop: Header=BB2_939 Depth=2
	s_or_b64 exec, exec, s[92:93]
                                        ; implicit-def: $vgpr13
.LBB2_1702:                             ;   in Loop: Header=BB2_939 Depth=2
	s_andn2_saveexec_b64 s[20:21], s[90:91]
; %bb.1703:                             ;   in Loop: Header=BB2_939 Depth=2
	v_or_b32_e32 v10, 0x7e, v13
; %bb.1704:                             ;   in Loop: Header=BB2_939 Depth=2
	s_or_b64 exec, exec, s[20:21]
                                        ; implicit-def: $vgpr11
.LBB2_1705:                             ;   in Loop: Header=BB2_939 Depth=2
	s_andn2_saveexec_b64 s[20:21], s[88:89]
	s_cbranch_execz .LBB2_938
; %bb.1706:                             ;   in Loop: Header=BB2_939 Depth=2
	v_or_b32_sdwa v10, v11, s51 dst_sel:DWORD dst_unused:UNUSED_PAD src0_sel:BYTE_3 src1_sel:DWORD
	s_branch .LBB2_938
.LBB2_1707:                             ;   in Loop: Header=BB2_939 Depth=2
	v_cmp_eq_u16_sdwa s[92:93], v10, s53 src0_sel:BYTE_0 src1_sel:DWORD
	s_mov_b64 s[20:21], -1
	s_and_saveexec_b64 s[90:91], s[92:93]
; %bb.1708:                             ;   in Loop: Header=BB2_939 Depth=2
	s_xor_b64 s[20:21], exec, -1
; %bb.1709:                             ;   in Loop: Header=BB2_939 Depth=2
	s_or_b64 exec, exec, s[90:91]
	s_and_b64 s[20:21], s[20:21], exec
	s_or_saveexec_b64 s[88:89], s[88:89]
	v_bfrev_b32_e32 v0, 1
	s_xor_b64 exec, exec, s[88:89]
	s_cbranch_execz .LBB2_1307
.LBB2_1710:                             ;   in Loop: Header=BB2_939 Depth=2
	v_cmp_ne_u16_sdwa s[90:91], v10, v33 src0_sel:BYTE_0 src1_sel:DWORD
	s_andn2_b64 s[20:21], s[20:21], exec
	s_and_b64 s[90:91], s[90:91], exec
	v_mov_b32_e32 v0, 0
	s_or_b64 s[20:21], s[20:21], s[90:91]
	s_or_b64 exec, exec, s[88:89]
	s_and_saveexec_b64 s[88:89], s[20:21]
	s_cbranch_execnz .LBB2_1308
	s_branch .LBB2_1309
.LBB2_1711:                             ;   in Loop: Header=BB2_939 Depth=2
	v_cmp_eq_u16_e32 vcc, s53, v40
	s_mov_b64 s[20:21], -1
	s_and_saveexec_b64 s[90:91], vcc
; %bb.1712:                             ;   in Loop: Header=BB2_939 Depth=2
	s_xor_b64 s[20:21], exec, -1
; %bb.1713:                             ;   in Loop: Header=BB2_939 Depth=2
	s_or_b64 exec, exec, s[90:91]
	s_and_b64 s[20:21], s[20:21], exec
	s_or_saveexec_b64 s[88:89], s[88:89]
	v_bfrev_b32_e32 v4, 1
	s_xor_b64 exec, exec, s[88:89]
	s_cbranch_execz .LBB2_1333
.LBB2_1714:                             ;   in Loop: Header=BB2_939 Depth=2
	v_cmp_ne_u16_e32 vcc, 0, v40
	s_andn2_b64 s[20:21], s[20:21], exec
	s_and_b64 s[90:91], vcc, exec
	v_mov_b32_e32 v4, 0
	s_or_b64 s[20:21], s[20:21], s[90:91]
	s_or_b64 exec, exec, s[88:89]
	s_and_saveexec_b64 s[88:89], s[20:21]
	s_cbranch_execnz .LBB2_1334
	s_branch .LBB2_1335
.LBB2_1715:                             ;   in Loop: Header=BB2_939 Depth=2
	v_cmp_eq_u16_sdwa s[92:93], v30, s53 src0_sel:BYTE_0 src1_sel:DWORD
	s_mov_b64 s[20:21], -1
	s_and_saveexec_b64 s[90:91], s[92:93]
; %bb.1716:                             ;   in Loop: Header=BB2_939 Depth=2
	s_xor_b64 s[20:21], exec, -1
; %bb.1717:                             ;   in Loop: Header=BB2_939 Depth=2
	s_or_b64 exec, exec, s[90:91]
	s_and_b64 s[20:21], s[20:21], exec
	s_or_saveexec_b64 s[88:89], s[88:89]
	v_bfrev_b32_e32 v5, 1
	s_xor_b64 exec, exec, s[88:89]
	s_cbranch_execz .LBB2_1359
.LBB2_1718:                             ;   in Loop: Header=BB2_939 Depth=2
	v_cmp_ne_u16_sdwa s[90:91], v30, v33 src0_sel:BYTE_0 src1_sel:DWORD
	s_andn2_b64 s[20:21], s[20:21], exec
	s_and_b64 s[90:91], s[90:91], exec
	v_mov_b32_e32 v5, 0
	s_or_b64 s[20:21], s[20:21], s[90:91]
	s_or_b64 exec, exec, s[88:89]
	s_and_saveexec_b64 s[88:89], s[20:21]
	s_cbranch_execnz .LBB2_1360
	s_branch .LBB2_1361
.LBB2_1719:                             ;   in Loop: Header=BB2_939 Depth=2
	v_cmp_eq_u16_e32 vcc, s53, v40
	s_mov_b64 s[20:21], -1
	s_and_saveexec_b64 s[90:91], vcc
; %bb.1720:                             ;   in Loop: Header=BB2_939 Depth=2
	s_xor_b64 s[20:21], exec, -1
; %bb.1721:                             ;   in Loop: Header=BB2_939 Depth=2
	s_or_b64 exec, exec, s[90:91]
	s_and_b64 s[20:21], s[20:21], exec
	s_or_saveexec_b64 s[88:89], s[88:89]
	v_bfrev_b32_e32 v4, 1
	s_xor_b64 exec, exec, s[88:89]
	s_cbranch_execz .LBB2_1437
.LBB2_1722:                             ;   in Loop: Header=BB2_939 Depth=2
	v_cmp_ne_u16_e32 vcc, 0, v40
	s_andn2_b64 s[20:21], s[20:21], exec
	s_and_b64 s[90:91], vcc, exec
	v_mov_b32_e32 v4, 0
	s_or_b64 s[20:21], s[20:21], s[90:91]
	s_or_b64 exec, exec, s[88:89]
	s_and_saveexec_b64 s[88:89], s[20:21]
	s_cbranch_execnz .LBB2_1438
	s_branch .LBB2_1439
.LBB2_1723:                             ;   in Loop: Header=BB2_939 Depth=2
	v_cmp_eq_u16_sdwa s[92:93], v30, s53 src0_sel:BYTE_0 src1_sel:DWORD
	s_mov_b64 s[20:21], -1
	s_and_saveexec_b64 s[90:91], s[92:93]
; %bb.1724:                             ;   in Loop: Header=BB2_939 Depth=2
	s_xor_b64 s[20:21], exec, -1
; %bb.1725:                             ;   in Loop: Header=BB2_939 Depth=2
	s_or_b64 exec, exec, s[90:91]
	s_and_b64 s[20:21], s[20:21], exec
	s_or_saveexec_b64 s[88:89], s[88:89]
	v_bfrev_b32_e32 v5, 1
	s_xor_b64 exec, exec, s[88:89]
	s_cbranch_execz .LBB2_1463
.LBB2_1726:                             ;   in Loop: Header=BB2_939 Depth=2
	v_cmp_ne_u16_sdwa s[90:91], v30, v33 src0_sel:BYTE_0 src1_sel:DWORD
	s_andn2_b64 s[20:21], s[20:21], exec
	s_and_b64 s[90:91], s[90:91], exec
	v_mov_b32_e32 v5, 0
	s_or_b64 s[20:21], s[20:21], s[90:91]
	s_or_b64 exec, exec, s[88:89]
	s_and_saveexec_b64 s[88:89], s[20:21]
	s_cbranch_execnz .LBB2_1464
	s_branch .LBB2_1465
.LBB2_1727:                             ;   in Loop: Header=BB2_939 Depth=2
	v_cmp_eq_u16_sdwa s[92:93], v12, s53 src0_sel:BYTE_0 src1_sel:DWORD
	s_mov_b64 s[20:21], -1
	s_and_saveexec_b64 s[90:91], s[92:93]
; %bb.1728:                             ;   in Loop: Header=BB2_939 Depth=2
	s_xor_b64 s[20:21], exec, -1
; %bb.1729:                             ;   in Loop: Header=BB2_939 Depth=2
	s_or_b64 exec, exec, s[90:91]
	s_and_b64 s[20:21], s[20:21], exec
	s_or_saveexec_b64 s[88:89], s[88:89]
	v_bfrev_b32_e32 v6, 1
	s_xor_b64 exec, exec, s[88:89]
	s_cbranch_execz .LBB2_1511
.LBB2_1730:                             ;   in Loop: Header=BB2_939 Depth=2
	v_cmp_ne_u16_sdwa s[90:91], v12, v33 src0_sel:BYTE_0 src1_sel:DWORD
	s_andn2_b64 s[20:21], s[20:21], exec
	s_and_b64 s[90:91], s[90:91], exec
	v_mov_b32_e32 v6, 0
	s_or_b64 s[20:21], s[20:21], s[90:91]
	s_or_b64 exec, exec, s[88:89]
	s_and_saveexec_b64 s[88:89], s[20:21]
	s_cbranch_execnz .LBB2_1512
	s_branch .LBB2_1513
.LBB2_1731:                             ;   in Loop: Header=BB2_939 Depth=2
	v_cmp_eq_u16_e32 vcc, s53, v10
	s_mov_b64 s[20:21], -1
	s_and_saveexec_b64 s[90:91], vcc
; %bb.1732:                             ;   in Loop: Header=BB2_939 Depth=2
	s_xor_b64 s[20:21], exec, -1
; %bb.1733:                             ;   in Loop: Header=BB2_939 Depth=2
	s_or_b64 exec, exec, s[90:91]
	s_and_b64 s[20:21], s[20:21], exec
	s_or_saveexec_b64 s[88:89], s[88:89]
	v_bfrev_b32_e32 v4, 1
	s_xor_b64 exec, exec, s[88:89]
	s_cbranch_execz .LBB2_1537
.LBB2_1734:                             ;   in Loop: Header=BB2_939 Depth=2
	v_cmp_ne_u16_e32 vcc, 0, v10
	s_andn2_b64 s[20:21], s[20:21], exec
	s_and_b64 s[90:91], vcc, exec
	v_mov_b32_e32 v4, 0
	s_or_b64 s[20:21], s[20:21], s[90:91]
	s_or_b64 exec, exec, s[88:89]
	s_and_saveexec_b64 s[88:89], s[20:21]
	s_cbranch_execnz .LBB2_1538
	s_branch .LBB2_1539
.LBB2_1735:                             ;   in Loop: Header=BB2_939 Depth=2
	v_cmp_eq_u16_sdwa s[92:93], v10, s53 src0_sel:BYTE_0 src1_sel:DWORD
	s_mov_b64 s[20:21], -1
	s_and_saveexec_b64 s[90:91], s[92:93]
; %bb.1736:                             ;   in Loop: Header=BB2_939 Depth=2
	s_xor_b64 s[20:21], exec, -1
; %bb.1737:                             ;   in Loop: Header=BB2_939 Depth=2
	s_or_b64 exec, exec, s[90:91]
	s_and_b64 s[20:21], s[20:21], exec
	s_or_saveexec_b64 s[88:89], s[88:89]
	v_bfrev_b32_e32 v5, 1
	s_xor_b64 exec, exec, s[88:89]
	s_cbranch_execz .LBB2_1563
.LBB2_1738:                             ;   in Loop: Header=BB2_939 Depth=2
	v_cmp_ne_u16_sdwa s[90:91], v10, v33 src0_sel:BYTE_0 src1_sel:DWORD
	s_andn2_b64 s[20:21], s[20:21], exec
	s_and_b64 s[90:91], s[90:91], exec
	v_mov_b32_e32 v5, 0
	s_or_b64 s[20:21], s[20:21], s[90:91]
	s_or_b64 exec, exec, s[88:89]
	s_and_saveexec_b64 s[88:89], s[20:21]
	s_cbranch_execnz .LBB2_1564
	s_branch .LBB2_1565
.LBB2_1739:                             ;   in Loop: Header=BB2_939 Depth=2
	v_cmp_eq_u16_e32 vcc, s53, v10
	s_mov_b64 s[20:21], -1
	s_and_saveexec_b64 s[90:91], vcc
; %bb.1740:                             ;   in Loop: Header=BB2_939 Depth=2
	s_xor_b64 s[20:21], exec, -1
; %bb.1741:                             ;   in Loop: Header=BB2_939 Depth=2
	s_or_b64 exec, exec, s[90:91]
	s_and_b64 s[20:21], s[20:21], exec
	s_or_saveexec_b64 s[88:89], s[88:89]
	v_bfrev_b32_e32 v5, 1
	s_xor_b64 exec, exec, s[88:89]
	s_cbranch_execz .LBB2_1641
.LBB2_1742:                             ;   in Loop: Header=BB2_939 Depth=2
	v_cmp_ne_u16_e32 vcc, 0, v10
	s_andn2_b64 s[20:21], s[20:21], exec
	s_and_b64 s[90:91], vcc, exec
	v_mov_b32_e32 v5, 0
	s_or_b64 s[20:21], s[20:21], s[90:91]
	s_or_b64 exec, exec, s[88:89]
	s_and_saveexec_b64 s[88:89], s[20:21]
	s_cbranch_execnz .LBB2_1642
	s_branch .LBB2_1643
.LBB2_1743:                             ;   in Loop: Header=BB2_939 Depth=2
	v_cmp_eq_u16_sdwa s[92:93], v10, s53 src0_sel:BYTE_0 src1_sel:DWORD
	s_mov_b64 s[20:21], -1
	s_and_saveexec_b64 s[90:91], s[92:93]
; %bb.1744:                             ;   in Loop: Header=BB2_939 Depth=2
	s_xor_b64 s[20:21], exec, -1
; %bb.1745:                             ;   in Loop: Header=BB2_939 Depth=2
	s_or_b64 exec, exec, s[90:91]
	s_and_b64 s[20:21], s[20:21], exec
	s_or_saveexec_b64 s[88:89], s[88:89]
	v_bfrev_b32_e32 v6, 1
	s_xor_b64 exec, exec, s[88:89]
	s_cbranch_execz .LBB2_1667
.LBB2_1746:                             ;   in Loop: Header=BB2_939 Depth=2
	v_cmp_ne_u16_sdwa s[90:91], v10, v33 src0_sel:BYTE_0 src1_sel:DWORD
	s_andn2_b64 s[20:21], s[20:21], exec
	s_and_b64 s[90:91], s[90:91], exec
	v_mov_b32_e32 v6, 0
	s_or_b64 s[20:21], s[20:21], s[90:91]
	s_or_b64 exec, exec, s[88:89]
	s_and_saveexec_b64 s[88:89], s[20:21]
	s_cbranch_execnz .LBB2_1668
	s_branch .LBB2_1669
.LBB2_1747:                             ;   in Loop: Header=BB2_49 Depth=1
	s_or_b64 exec, exec, s[78:79]
	buffer_load_dword v54, off, s[0:3], s33 offset:144 ; 4-byte Folded Reload
	buffer_load_dword v53, off, s[0:3], s33 offset:148 ; 4-byte Folded Reload
	;; [unrolled: 1-line block ×9, first 2 shown]
	v_mov_b32_e32 v55, 1
.LBB2_1748:                             ;   in Loop: Header=BB2_49 Depth=1
	s_or_b64 exec, exec, s[76:77]
	v_cmp_lt_i32_e32 vcc, 0, v16
	v_cndmask_b32_e32 v0, 0, v56, vcc
	v_sub_u32_e32 v0, v0, v16
	s_mov_b64 s[76:77], exec
	s_waitcnt vmcnt(0)
	v_lshl_add_u32 v14, v0, 6, v1
.LBB2_1749:                             ;   in Loop: Header=BB2_49 Depth=1
	s_or_b64 exec, exec, s[22:23]
	s_and_saveexec_b64 s[22:23], s[76:77]
	s_cbranch_execz .LBB2_2290
.LBB2_1750:                             ;   in Loop: Header=BB2_49 Depth=1
	s_waitcnt vmcnt(1)
	v_ashrrev_i32_e32 v0, 31, v14
	v_lshrrev_b32_e32 v0, 26, v0
	v_add_u32_e32 v0, v14, v0
	v_ashrrev_i32_e32 v15, 6, v0
	v_lshrrev_b32_e32 v1, 9, v4
	v_sub_u32_e32 v16, v1, v15
	v_cmp_lt_i32_e32 vcc, 0, v16
	s_and_saveexec_b64 s[76:77], vcc
	s_cbranch_execz .LBB2_2223
; %bb.1751:                             ;   in Loop: Header=BB2_49 Depth=1
	v_and_b32_e32 v0, 0xffffffc0, v0
	v_sub_u32_e32 v0, v14, v0
	v_lshlrev_b32_e32 v1, 9, v15
	v_mov_b32_e32 v41, v4
	v_add3_u32 v4, v5, v0, v1
	s_trap 2
	ds_read_b64 v[0:1], v0
	v_mov_b32_e32 v40, v5
	v_ashrrev_i32_e32 v5, 31, v4
	v_add_co_u32_e32 v10, vcc, v4, v8
	v_addc_co_u32_e32 v11, vcc, v5, v9, vcc
	s_waitcnt lgkmcnt(0)
	v_add_co_u32_e32 v12, vcc, v0, v4
	v_addc_co_u32_e32 v13, vcc, v1, v5, vcc
	v_add_co_u32_e32 v0, vcc, 0x1c0, v6
	v_addc_co_u32_e32 v1, vcc, 0, v7, vcc
	;; [unrolled: 2-line block ×3, first 2 shown]
	s_mov_b64 s[78:79], 0
	s_branch .LBB2_1753
.LBB2_1752:                             ;   in Loop: Header=BB2_1753 Depth=2
	s_or_b64 exec, exec, s[20:21]
	v_add_co_u32_e32 v6, vcc, 0xfffffe40, v38
	v_addc_co_u32_e32 v7, vcc, -1, v39, vcc
	flat_store_byte v[6:7], v17 glc slc
	v_add_co_u32_e32 v6, vcc, 0xfffffe80, v38
	v_addc_co_u32_e32 v7, vcc, -1, v39, vcc
	flat_store_byte v[6:7], v29 glc slc
	;; [unrolled: 3-line block ×4, first 2 shown]
	v_add_co_u32_e32 v6, vcc, 0xffffff40, v38
	v_addc_co_u32_e32 v7, vcc, -1, v39, vcc
	v_add_co_u32_e32 v4, vcc, 0xffffff80, v38
	flat_store_byte v[6:7], v5 glc slc
	v_addc_co_u32_e32 v5, vcc, -1, v39, vcc
	flat_store_byte v[4:5], v21 glc slc
	v_add_co_u32_e32 v4, vcc, s64, v38
	v_addc_co_u32_e32 v5, vcc, -1, v39, vcc
	v_add_co_u32_e32 v10, vcc, v10, v60
	v_addc_co_u32_e32 v11, vcc, 0, v11, vcc
	v_add_co_u32_e32 v12, vcc, v12, v60
	v_addc_co_u32_e32 v13, vcc, 0, v13, vcc
	v_sub_u32_e32 v16, v16, v56
	v_cmp_gt_i32_e32 vcc, 1, v16
	flat_store_byte v[4:5], v20 glc slc
	flat_store_byte v[38:39], v1 glc slc
	s_or_b64 s[78:79], vcc, s[78:79]
	v_add_co_u32_e32 v38, vcc, v38, v60
	v_addc_co_u32_e32 v39, vcc, 0, v39, vcc
	s_andn2_b64 exec, exec, s[78:79]
	s_cbranch_execz .LBB2_2222
.LBB2_1753:                             ;   Parent Loop BB2_49 Depth=1
                                        ; =>  This Inner Loop Header: Depth=2
	s_trap 2
	ds_read_b64 v[48:49], v0
	s_waitcnt lgkmcnt(0)
	v_cmp_eq_u32_sdwa s[88:89], v48, v33 src0_sel:BYTE_0 src1_sel:DWORD
	v_readfirstlane_b32 s20, v48
	v_readfirstlane_b32 s21, v49
	s_and_b64 vcc, exec, s[88:89]
	s_cbranch_vccnz .LBB2_1757
; %bb.1754:                             ;   in Loop: Header=BB2_1753 Depth=2
	v_cmp_eq_u32_sdwa s[88:89], v48, s53 src0_sel:BYTE_0 src1_sel:DWORD
	s_brev_b32 s30, 1
	s_and_b64 vcc, exec, s[88:89]
	s_cbranch_vccnz .LBB2_1758
; %bb.1755:                             ;   in Loop: Header=BB2_1753 Depth=2
	s_and_b32 s88, s20, 0x7f
	s_cmpk_eq_i32 s88, 0x7f
	s_mov_b32 s30, 0x7f800001
	s_cbranch_scc1 .LBB2_1758
; %bb.1756:                             ;   in Loop: Header=BB2_1753 Depth=2
	s_and_b32 s89, s20, 7
	s_flbit_i32_b32 s89, s89
	s_min_u32 s89, s89, 32
	s_lshr_b32 s90, s88, 3
	s_sub_i32 s91, s89, 28
	s_sub_i32 s89, 29, s89
	s_cmp_lt_u32 s88, 8
	s_cselect_b32 s88, s91, 0
	s_cselect_b32 s90, s89, s90
	s_lshl_b64 s[88:89], s[20:21], s88
	s_lshl_b32 s21, s88, 20
	s_lshl_b32 s20, s20, 24
	;; [unrolled: 1-line block ×3, first 2 shown]
	s_and_b32 s20, s20, 0x80000000
	s_add_i32 s88, s88, 0x3c000000
	s_and_b32 s21, s21, 0x700000
	s_or_b32 s20, s20, s88
	s_or_b32 s30, s20, s21
	s_branch .LBB2_1758
.LBB2_1757:                             ;   in Loop: Header=BB2_1753 Depth=2
	s_mov_b32 s30, 0
.LBB2_1758:                             ;   in Loop: Header=BB2_1753 Depth=2
	flat_load_ubyte v0, v[10:11] glc slc
	v_mov_b32_e32 v1, 0
	s_waitcnt vmcnt(0) lgkmcnt(0)
	v_cmp_ne_u16_e32 vcc, 0, v0
	s_and_saveexec_b64 s[20:21], vcc
	s_cbranch_execz .LBB2_1764
; %bb.1759:                             ;   in Loop: Header=BB2_1753 Depth=2
	v_cmp_ne_u16_e32 vcc, s53, v0
	v_bfrev_b32_e32 v1, 1
	s_and_saveexec_b64 s[88:89], vcc
	s_cbranch_execz .LBB2_1763
; %bb.1760:                             ;   in Loop: Header=BB2_1753 Depth=2
	v_and_b32_e32 v30, 0xffff, v0
	v_and_b32_e32 v4, 0x7f, v30
	v_cmp_ne_u32_e32 vcc, s51, v4
	v_mov_b32_e32 v1, 0x7f800001
	s_and_saveexec_b64 s[90:91], vcc
	s_cbranch_execz .LBB2_1762
; %bb.1761:                             ;   in Loop: Header=BB2_1753 Depth=2
	v_and_b32_e32 v1, 7, v30
	v_lshrrev_b32_e32 v6, 3, v4
	v_cmp_gt_u32_e32 vcc, 8, v4
	v_ffbh_u32_e32 v4, v1
	v_min_u32_e32 v7, 32, v4
	v_subrev_u32_e32 v4, 28, v7
	v_lshlrev_b64 v[4:5], v4, v[30:31]
	v_sub_u32_e32 v5, 29, v7
	v_and_b32_e32 v4, 7, v4
	v_cndmask_b32_e32 v5, v6, v5, vcc
	v_cndmask_b32_e32 v1, v1, v4, vcc
	v_lshlrev_b32_e32 v0, 24, v0
	v_lshlrev_b32_e32 v1, 20, v1
	v_and_b32_e32 v0, 0x80000000, v0
	v_lshl_add_u32 v4, v5, 23, v3
	v_or3_b32 v1, v0, v4, v1
.LBB2_1762:                             ;   in Loop: Header=BB2_1753 Depth=2
	s_or_b64 exec, exec, s[90:91]
.LBB2_1763:                             ;   in Loop: Header=BB2_1753 Depth=2
	s_or_b64 exec, exec, s[88:89]
.LBB2_1764:                             ;   in Loop: Header=BB2_1753 Depth=2
	s_or_b64 exec, exec, s[20:21]
	v_mul_f32_e32 v1, s30, v1
	v_and_b32_e32 v32, 0x7f800000, v1
	v_cmp_ne_u64_e32 vcc, s[56:57], v[32:33]
                                        ; implicit-def: $vgpr17
	s_and_saveexec_b64 s[20:21], vcc
	s_xor_b64 s[88:89], exec, s[20:21]
	s_cbranch_execz .LBB2_1782
; %bb.1765:                             ;   in Loop: Header=BB2_1753 Depth=2
	v_and_b32_e32 v32, 0x7fffffff, v1
	v_cmp_gt_u64_e32 vcc, s[58:59], v[32:33]
	v_and_b32_sdwa v0, v1, s53 dst_sel:DWORD dst_unused:UNUSED_PAD src0_sel:BYTE_3 src1_sel:DWORD
                                        ; implicit-def: $vgpr17
	s_and_saveexec_b64 s[20:21], vcc
	s_xor_b64 s[90:91], exec, s[20:21]
	s_cbranch_execz .LBB2_1779
; %bb.1766:                             ;   in Loop: Header=BB2_1753 Depth=2
	v_cmp_ne_u32_e32 vcc, 0, v1
	v_mov_b32_e32 v17, 0
	s_and_saveexec_b64 s[92:93], vcc
	s_cbranch_execz .LBB2_1778
; %bb.1767:                             ;   in Loop: Header=BB2_1753 Depth=2
	v_and_b32_e32 v5, 0x7fffff, v1
	v_bfe_u32 v1, v1, 23, 8
	v_cmp_gt_u32_e64 s[20:21], s54, v1
	v_sub_u32_e32 v4, 0x79, v1
	v_cmp_eq_u32_e32 vcc, 0, v1
	v_cndmask_b32_e64 v4, 0, v4, s[20:21]
	v_or_b32_e32 v6, 0x800000, v5
	v_cndmask_b32_e32 v4, v4, v47, vcc
	v_cndmask_b32_e32 v32, v6, v5, vcc
	v_add_u32_e32 v5, 20, v4
	v_lshlrev_b64 v[5:6], v5, -1
	v_add_u32_e32 v7, 19, v4
	v_lshlrev_b64 v[7:8], v7, 1
	v_lshrrev_b64 v[48:49], v4, v[32:33]
	v_bfi_b32 v6, v6, 0, 0
	v_bfi_b32 v5, v5, 0, v32
	v_cmp_eq_u64_e64 s[20:21], v[5:6], v[7:8]
	v_mov_b32_e32 v50, v49
	v_mov_b32_e32 v49, v48
	s_and_saveexec_b64 s[94:95], s[20:21]
; %bb.1768:                             ;   in Loop: Header=BB2_1753 Depth=2
	v_bfe_u32 v5, v48, 20, 1
	v_add_co_u32_e64 v5, s[20:21], v48, v5
	v_add_co_u32_e64 v49, s[20:21], -1, v5
; %bb.1769:                             ;   in Loop: Header=BB2_1753 Depth=2
	s_or_b64 exec, exec, s[94:95]
	v_add_u32_e32 v1, 0xffffff81, v1
	v_cndmask_b32_e32 v1, v1, v44, vcc
	v_lshrrev_b32_e32 v5, 23, v48
	v_add3_u32 v5, v4, v1, v5
	v_add_u32_e32 v4, 6, v5
	v_and_b32_e32 v1, 0xfffff, v49
	v_add_u32_e32 v32, v1, v48
	v_cmp_ne_u32_e32 vcc, 0, v4
                                        ; implicit-def: $vgpr48_vgpr49
                                        ; implicit-def: $vgpr1
	s_and_saveexec_b64 s[20:21], vcc
	s_xor_b64 s[20:21], exec, s[20:21]
; %bb.1770:                             ;   in Loop: Header=BB2_1753 Depth=2
	v_cmp_lt_u64_e32 vcc, s[60:61], v[32:33]
	v_add_u32_e32 v1, 7, v5
	v_cndmask_b32_e32 v1, v4, v1, vcc
	v_cndmask_b32_e64 v4, 0, 1, vcc
	v_lshrrev_b64 v[48:49], v4, v[32:33]
; %bb.1771:                             ;   in Loop: Header=BB2_1753 Depth=2
	s_andn2_saveexec_b64 s[20:21], s[20:21]
; %bb.1772:                             ;   in Loop: Header=BB2_1753 Depth=2
	v_mov_b32_e32 v49, v33
	v_bfe_u32 v1, v32, 23, 1
	v_mov_b32_e32 v48, v32
; %bb.1773:                             ;   in Loop: Header=BB2_1753 Depth=2
	s_or_b64 exec, exec, s[20:21]
	v_lshrrev_b64 v[4:5], 20, v[48:49]
	v_cmp_gt_i32_e32 vcc, 16, v1
	v_cndmask_b32_e32 v49, 0, v5, vcc
	v_cndmask_b32_e32 v48, 7, v4, vcc
	v_cmp_ne_u64_e32 vcc, 0, v[48:49]
	v_cmp_ne_u32_e64 s[20:21], 0, v1
	s_or_b64 s[20:21], s[20:21], vcc
                                        ; implicit-def: $vgpr17
	s_and_saveexec_b64 s[94:95], s[20:21]
	s_xor_b64 s[20:21], exec, s[94:95]
; %bb.1774:                             ;   in Loop: Header=BB2_1753 Depth=2
	v_min_i32_e32 v1, 15, v1
	v_lshl_or_b32 v0, v1, 3, v0
	v_and_or_b32 v17, v48, 7, v0
                                        ; implicit-def: $vgpr0
; %bb.1775:                             ;   in Loop: Header=BB2_1753 Depth=2
	s_andn2_saveexec_b64 s[20:21], s[20:21]
; %bb.1776:                             ;   in Loop: Header=BB2_1753 Depth=2
	v_mov_b32_e32 v17, v0
; %bb.1777:                             ;   in Loop: Header=BB2_1753 Depth=2
	s_or_b64 exec, exec, s[20:21]
.LBB2_1778:                             ;   in Loop: Header=BB2_1753 Depth=2
	s_or_b64 exec, exec, s[92:93]
                                        ; implicit-def: $vgpr0
.LBB2_1779:                             ;   in Loop: Header=BB2_1753 Depth=2
	s_andn2_saveexec_b64 s[20:21], s[90:91]
; %bb.1780:                             ;   in Loop: Header=BB2_1753 Depth=2
	v_or_b32_e32 v17, 0x7e, v0
; %bb.1781:                             ;   in Loop: Header=BB2_1753 Depth=2
	s_or_b64 exec, exec, s[20:21]
                                        ; implicit-def: $vgpr1
.LBB2_1782:                             ;   in Loop: Header=BB2_1753 Depth=2
	s_andn2_saveexec_b64 s[20:21], s[88:89]
; %bb.1783:                             ;   in Loop: Header=BB2_1753 Depth=2
	v_or_b32_sdwa v17, v1, s51 dst_sel:DWORD dst_unused:UNUSED_PAD src0_sel:BYTE_3 src1_sel:DWORD
; %bb.1784:                             ;   in Loop: Header=BB2_1753 Depth=2
	s_or_b64 exec, exec, s[20:21]
	flat_load_ubyte v0, v[10:11] offset:64 glc slc
	v_mov_b32_e32 v1, 0
	s_waitcnt vmcnt(0) lgkmcnt(0)
	v_cmp_ne_u16_e32 vcc, 0, v0
	s_and_saveexec_b64 s[20:21], vcc
	s_cbranch_execz .LBB2_1790
; %bb.1785:                             ;   in Loop: Header=BB2_1753 Depth=2
	v_cmp_ne_u16_e32 vcc, s53, v0
	v_bfrev_b32_e32 v1, 1
	s_and_saveexec_b64 s[88:89], vcc
	s_cbranch_execz .LBB2_1789
; %bb.1786:                             ;   in Loop: Header=BB2_1753 Depth=2
	v_and_b32_e32 v30, 0xffff, v0
	v_and_b32_e32 v4, 0x7f, v30
	v_cmp_ne_u32_e32 vcc, s51, v4
	v_mov_b32_e32 v1, 0x7f800001
	s_and_saveexec_b64 s[90:91], vcc
	s_cbranch_execz .LBB2_1788
; %bb.1787:                             ;   in Loop: Header=BB2_1753 Depth=2
	v_and_b32_e32 v1, 7, v30
	v_lshrrev_b32_e32 v6, 3, v4
	v_cmp_gt_u32_e32 vcc, 8, v4
	v_ffbh_u32_e32 v4, v1
	v_min_u32_e32 v7, 32, v4
	v_subrev_u32_e32 v4, 28, v7
	v_lshlrev_b64 v[4:5], v4, v[30:31]
	v_sub_u32_e32 v5, 29, v7
	v_and_b32_e32 v4, 7, v4
	v_cndmask_b32_e32 v5, v6, v5, vcc
	v_cndmask_b32_e32 v1, v1, v4, vcc
	v_lshlrev_b32_e32 v0, 24, v0
	v_lshlrev_b32_e32 v1, 20, v1
	v_and_b32_e32 v0, 0x80000000, v0
	v_lshl_add_u32 v4, v5, 23, v3
	v_or3_b32 v1, v0, v4, v1
.LBB2_1788:                             ;   in Loop: Header=BB2_1753 Depth=2
	s_or_b64 exec, exec, s[90:91]
.LBB2_1789:                             ;   in Loop: Header=BB2_1753 Depth=2
	s_or_b64 exec, exec, s[88:89]
.LBB2_1790:                             ;   in Loop: Header=BB2_1753 Depth=2
	s_or_b64 exec, exec, s[20:21]
	v_mul_f32_e32 v1, s30, v1
	v_and_b32_e32 v32, 0x7f800000, v1
	v_cmp_ne_u64_e32 vcc, s[56:57], v[32:33]
                                        ; implicit-def: $vgpr29
	s_and_saveexec_b64 s[20:21], vcc
	s_xor_b64 s[88:89], exec, s[20:21]
	s_cbranch_execz .LBB2_1808
; %bb.1791:                             ;   in Loop: Header=BB2_1753 Depth=2
	v_and_b32_e32 v32, 0x7fffffff, v1
	v_cmp_gt_u64_e32 vcc, s[58:59], v[32:33]
	v_and_b32_sdwa v0, v1, s53 dst_sel:DWORD dst_unused:UNUSED_PAD src0_sel:BYTE_3 src1_sel:DWORD
                                        ; implicit-def: $vgpr29
	s_and_saveexec_b64 s[20:21], vcc
	s_xor_b64 s[90:91], exec, s[20:21]
	s_cbranch_execz .LBB2_1805
; %bb.1792:                             ;   in Loop: Header=BB2_1753 Depth=2
	v_cmp_ne_u32_e32 vcc, 0, v1
	v_mov_b32_e32 v29, 0
	s_and_saveexec_b64 s[92:93], vcc
	s_cbranch_execz .LBB2_1804
; %bb.1793:                             ;   in Loop: Header=BB2_1753 Depth=2
	v_and_b32_e32 v5, 0x7fffff, v1
	v_bfe_u32 v1, v1, 23, 8
	v_cmp_gt_u32_e64 s[20:21], s54, v1
	v_sub_u32_e32 v4, 0x79, v1
	v_cmp_eq_u32_e32 vcc, 0, v1
	v_cndmask_b32_e64 v4, 0, v4, s[20:21]
	v_or_b32_e32 v6, 0x800000, v5
	v_cndmask_b32_e32 v4, v4, v47, vcc
	v_cndmask_b32_e32 v32, v6, v5, vcc
	v_add_u32_e32 v5, 20, v4
	v_lshlrev_b64 v[5:6], v5, -1
	v_add_u32_e32 v7, 19, v4
	v_lshlrev_b64 v[7:8], v7, 1
	v_lshrrev_b64 v[48:49], v4, v[32:33]
	v_bfi_b32 v6, v6, 0, 0
	v_bfi_b32 v5, v5, 0, v32
	v_cmp_eq_u64_e64 s[20:21], v[5:6], v[7:8]
	v_mov_b32_e32 v50, v49
	v_mov_b32_e32 v49, v48
	s_and_saveexec_b64 s[94:95], s[20:21]
; %bb.1794:                             ;   in Loop: Header=BB2_1753 Depth=2
	v_bfe_u32 v5, v48, 20, 1
	v_add_co_u32_e64 v5, s[20:21], v48, v5
	v_add_co_u32_e64 v49, s[20:21], -1, v5
; %bb.1795:                             ;   in Loop: Header=BB2_1753 Depth=2
	s_or_b64 exec, exec, s[94:95]
	v_add_u32_e32 v1, 0xffffff81, v1
	v_cndmask_b32_e32 v1, v1, v44, vcc
	v_lshrrev_b32_e32 v5, 23, v48
	v_add3_u32 v5, v4, v1, v5
	v_add_u32_e32 v4, 6, v5
	v_and_b32_e32 v1, 0xfffff, v49
	v_add_u32_e32 v32, v1, v48
	v_cmp_ne_u32_e32 vcc, 0, v4
                                        ; implicit-def: $vgpr48_vgpr49
                                        ; implicit-def: $vgpr1
	s_and_saveexec_b64 s[20:21], vcc
	s_xor_b64 s[20:21], exec, s[20:21]
; %bb.1796:                             ;   in Loop: Header=BB2_1753 Depth=2
	v_cmp_lt_u64_e32 vcc, s[60:61], v[32:33]
	v_add_u32_e32 v1, 7, v5
	v_cndmask_b32_e32 v1, v4, v1, vcc
	v_cndmask_b32_e64 v4, 0, 1, vcc
	v_lshrrev_b64 v[48:49], v4, v[32:33]
; %bb.1797:                             ;   in Loop: Header=BB2_1753 Depth=2
	s_andn2_saveexec_b64 s[20:21], s[20:21]
; %bb.1798:                             ;   in Loop: Header=BB2_1753 Depth=2
	v_mov_b32_e32 v49, v33
	v_bfe_u32 v1, v32, 23, 1
	v_mov_b32_e32 v48, v32
; %bb.1799:                             ;   in Loop: Header=BB2_1753 Depth=2
	s_or_b64 exec, exec, s[20:21]
	v_lshrrev_b64 v[4:5], 20, v[48:49]
	v_cmp_gt_i32_e32 vcc, 16, v1
	v_cndmask_b32_e32 v49, 0, v5, vcc
	v_cndmask_b32_e32 v48, 7, v4, vcc
	v_cmp_ne_u64_e32 vcc, 0, v[48:49]
	v_cmp_ne_u32_e64 s[20:21], 0, v1
	s_or_b64 s[20:21], s[20:21], vcc
                                        ; implicit-def: $vgpr29
	s_and_saveexec_b64 s[94:95], s[20:21]
	s_xor_b64 s[20:21], exec, s[94:95]
; %bb.1800:                             ;   in Loop: Header=BB2_1753 Depth=2
	v_min_i32_e32 v1, 15, v1
	v_lshl_or_b32 v0, v1, 3, v0
	v_and_or_b32 v29, v48, 7, v0
                                        ; implicit-def: $vgpr0
; %bb.1801:                             ;   in Loop: Header=BB2_1753 Depth=2
	s_andn2_saveexec_b64 s[20:21], s[20:21]
; %bb.1802:                             ;   in Loop: Header=BB2_1753 Depth=2
	v_mov_b32_e32 v29, v0
; %bb.1803:                             ;   in Loop: Header=BB2_1753 Depth=2
	s_or_b64 exec, exec, s[20:21]
.LBB2_1804:                             ;   in Loop: Header=BB2_1753 Depth=2
	s_or_b64 exec, exec, s[92:93]
                                        ; implicit-def: $vgpr0
.LBB2_1805:                             ;   in Loop: Header=BB2_1753 Depth=2
	s_andn2_saveexec_b64 s[20:21], s[90:91]
; %bb.1806:                             ;   in Loop: Header=BB2_1753 Depth=2
	v_or_b32_e32 v29, 0x7e, v0
; %bb.1807:                             ;   in Loop: Header=BB2_1753 Depth=2
	s_or_b64 exec, exec, s[20:21]
                                        ; implicit-def: $vgpr1
.LBB2_1808:                             ;   in Loop: Header=BB2_1753 Depth=2
	s_andn2_saveexec_b64 s[20:21], s[88:89]
; %bb.1809:                             ;   in Loop: Header=BB2_1753 Depth=2
	v_or_b32_sdwa v29, v1, s51 dst_sel:DWORD dst_unused:UNUSED_PAD src0_sel:BYTE_3 src1_sel:DWORD
; %bb.1810:                             ;   in Loop: Header=BB2_1753 Depth=2
	s_or_b64 exec, exec, s[20:21]
	flat_load_ubyte v0, v[10:11] offset:128 glc slc
	v_mov_b32_e32 v1, 0
	s_waitcnt vmcnt(0) lgkmcnt(0)
	v_cmp_ne_u16_e32 vcc, 0, v0
	s_and_saveexec_b64 s[20:21], vcc
	s_cbranch_execz .LBB2_1816
; %bb.1811:                             ;   in Loop: Header=BB2_1753 Depth=2
	v_cmp_ne_u16_e32 vcc, s53, v0
	v_bfrev_b32_e32 v1, 1
	s_and_saveexec_b64 s[88:89], vcc
	s_cbranch_execz .LBB2_1815
; %bb.1812:                             ;   in Loop: Header=BB2_1753 Depth=2
	v_and_b32_e32 v30, 0xffff, v0
	v_and_b32_e32 v4, 0x7f, v30
	v_cmp_ne_u32_e32 vcc, s51, v4
	v_mov_b32_e32 v1, 0x7f800001
	s_and_saveexec_b64 s[90:91], vcc
	s_cbranch_execz .LBB2_1814
; %bb.1813:                             ;   in Loop: Header=BB2_1753 Depth=2
	v_and_b32_e32 v1, 7, v30
	v_lshrrev_b32_e32 v6, 3, v4
	v_cmp_gt_u32_e32 vcc, 8, v4
	v_ffbh_u32_e32 v4, v1
	v_min_u32_e32 v7, 32, v4
	v_subrev_u32_e32 v4, 28, v7
	v_lshlrev_b64 v[4:5], v4, v[30:31]
	v_sub_u32_e32 v5, 29, v7
	v_and_b32_e32 v4, 7, v4
	v_cndmask_b32_e32 v5, v6, v5, vcc
	v_cndmask_b32_e32 v1, v1, v4, vcc
	v_lshlrev_b32_e32 v0, 24, v0
	v_lshlrev_b32_e32 v1, 20, v1
	v_and_b32_e32 v0, 0x80000000, v0
	v_lshl_add_u32 v4, v5, 23, v3
	v_or3_b32 v1, v0, v4, v1
.LBB2_1814:                             ;   in Loop: Header=BB2_1753 Depth=2
	s_or_b64 exec, exec, s[90:91]
.LBB2_1815:                             ;   in Loop: Header=BB2_1753 Depth=2
	s_or_b64 exec, exec, s[88:89]
.LBB2_1816:                             ;   in Loop: Header=BB2_1753 Depth=2
	s_or_b64 exec, exec, s[20:21]
	v_mul_f32_e32 v1, s30, v1
	v_and_b32_e32 v32, 0x7f800000, v1
	v_cmp_ne_u64_e32 vcc, s[56:57], v[32:33]
                                        ; implicit-def: $vgpr28
	s_and_saveexec_b64 s[20:21], vcc
	s_xor_b64 s[88:89], exec, s[20:21]
	s_cbranch_execz .LBB2_1834
; %bb.1817:                             ;   in Loop: Header=BB2_1753 Depth=2
	v_and_b32_e32 v32, 0x7fffffff, v1
	v_cmp_gt_u64_e32 vcc, s[58:59], v[32:33]
	v_and_b32_sdwa v0, v1, s53 dst_sel:DWORD dst_unused:UNUSED_PAD src0_sel:BYTE_3 src1_sel:DWORD
                                        ; implicit-def: $vgpr28
	s_and_saveexec_b64 s[20:21], vcc
	s_xor_b64 s[90:91], exec, s[20:21]
	s_cbranch_execz .LBB2_1831
; %bb.1818:                             ;   in Loop: Header=BB2_1753 Depth=2
	v_cmp_ne_u32_e32 vcc, 0, v1
	v_mov_b32_e32 v28, 0
	s_and_saveexec_b64 s[92:93], vcc
	s_cbranch_execz .LBB2_1830
; %bb.1819:                             ;   in Loop: Header=BB2_1753 Depth=2
	v_and_b32_e32 v5, 0x7fffff, v1
	v_bfe_u32 v1, v1, 23, 8
	v_cmp_gt_u32_e64 s[20:21], s54, v1
	v_sub_u32_e32 v4, 0x79, v1
	v_cmp_eq_u32_e32 vcc, 0, v1
	v_cndmask_b32_e64 v4, 0, v4, s[20:21]
	v_or_b32_e32 v6, 0x800000, v5
	v_cndmask_b32_e32 v4, v4, v47, vcc
	v_cndmask_b32_e32 v32, v6, v5, vcc
	v_add_u32_e32 v5, 20, v4
	v_lshlrev_b64 v[5:6], v5, -1
	v_add_u32_e32 v7, 19, v4
	v_lshlrev_b64 v[7:8], v7, 1
	v_lshrrev_b64 v[48:49], v4, v[32:33]
	v_bfi_b32 v6, v6, 0, 0
	v_bfi_b32 v5, v5, 0, v32
	v_cmp_eq_u64_e64 s[20:21], v[5:6], v[7:8]
	v_mov_b32_e32 v50, v49
	v_mov_b32_e32 v49, v48
	s_and_saveexec_b64 s[94:95], s[20:21]
; %bb.1820:                             ;   in Loop: Header=BB2_1753 Depth=2
	v_bfe_u32 v5, v48, 20, 1
	v_add_co_u32_e64 v5, s[20:21], v48, v5
	v_add_co_u32_e64 v49, s[20:21], -1, v5
; %bb.1821:                             ;   in Loop: Header=BB2_1753 Depth=2
	s_or_b64 exec, exec, s[94:95]
	v_add_u32_e32 v1, 0xffffff81, v1
	v_cndmask_b32_e32 v1, v1, v44, vcc
	v_lshrrev_b32_e32 v5, 23, v48
	v_add3_u32 v5, v4, v1, v5
	v_add_u32_e32 v4, 6, v5
	v_and_b32_e32 v1, 0xfffff, v49
	v_add_u32_e32 v32, v1, v48
	v_cmp_ne_u32_e32 vcc, 0, v4
                                        ; implicit-def: $vgpr48_vgpr49
                                        ; implicit-def: $vgpr1
	s_and_saveexec_b64 s[20:21], vcc
	s_xor_b64 s[20:21], exec, s[20:21]
; %bb.1822:                             ;   in Loop: Header=BB2_1753 Depth=2
	v_cmp_lt_u64_e32 vcc, s[60:61], v[32:33]
	v_add_u32_e32 v1, 7, v5
	v_cndmask_b32_e32 v1, v4, v1, vcc
	v_cndmask_b32_e64 v4, 0, 1, vcc
	v_lshrrev_b64 v[48:49], v4, v[32:33]
; %bb.1823:                             ;   in Loop: Header=BB2_1753 Depth=2
	s_andn2_saveexec_b64 s[20:21], s[20:21]
; %bb.1824:                             ;   in Loop: Header=BB2_1753 Depth=2
	v_mov_b32_e32 v49, v33
	v_bfe_u32 v1, v32, 23, 1
	v_mov_b32_e32 v48, v32
; %bb.1825:                             ;   in Loop: Header=BB2_1753 Depth=2
	s_or_b64 exec, exec, s[20:21]
	v_lshrrev_b64 v[4:5], 20, v[48:49]
	v_cmp_gt_i32_e32 vcc, 16, v1
	v_cndmask_b32_e32 v49, 0, v5, vcc
	v_cndmask_b32_e32 v48, 7, v4, vcc
	v_cmp_ne_u64_e32 vcc, 0, v[48:49]
	v_cmp_ne_u32_e64 s[20:21], 0, v1
	s_or_b64 s[20:21], s[20:21], vcc
                                        ; implicit-def: $vgpr28
	s_and_saveexec_b64 s[94:95], s[20:21]
	s_xor_b64 s[20:21], exec, s[94:95]
; %bb.1826:                             ;   in Loop: Header=BB2_1753 Depth=2
	v_min_i32_e32 v1, 15, v1
	v_lshl_or_b32 v0, v1, 3, v0
	v_and_or_b32 v28, v48, 7, v0
                                        ; implicit-def: $vgpr0
; %bb.1827:                             ;   in Loop: Header=BB2_1753 Depth=2
	s_andn2_saveexec_b64 s[20:21], s[20:21]
; %bb.1828:                             ;   in Loop: Header=BB2_1753 Depth=2
	v_mov_b32_e32 v28, v0
; %bb.1829:                             ;   in Loop: Header=BB2_1753 Depth=2
	s_or_b64 exec, exec, s[20:21]
.LBB2_1830:                             ;   in Loop: Header=BB2_1753 Depth=2
	s_or_b64 exec, exec, s[92:93]
                                        ; implicit-def: $vgpr0
.LBB2_1831:                             ;   in Loop: Header=BB2_1753 Depth=2
	s_andn2_saveexec_b64 s[20:21], s[90:91]
; %bb.1832:                             ;   in Loop: Header=BB2_1753 Depth=2
	v_or_b32_e32 v28, 0x7e, v0
; %bb.1833:                             ;   in Loop: Header=BB2_1753 Depth=2
	s_or_b64 exec, exec, s[20:21]
                                        ; implicit-def: $vgpr1
.LBB2_1834:                             ;   in Loop: Header=BB2_1753 Depth=2
	s_andn2_saveexec_b64 s[20:21], s[88:89]
; %bb.1835:                             ;   in Loop: Header=BB2_1753 Depth=2
	v_or_b32_sdwa v28, v1, s51 dst_sel:DWORD dst_unused:UNUSED_PAD src0_sel:BYTE_3 src1_sel:DWORD
; %bb.1836:                             ;   in Loop: Header=BB2_1753 Depth=2
	s_or_b64 exec, exec, s[20:21]
	flat_load_ubyte v0, v[10:11] offset:192 glc slc
	v_mov_b32_e32 v1, 0
	s_waitcnt vmcnt(0) lgkmcnt(0)
	v_cmp_ne_u16_e32 vcc, 0, v0
	s_and_saveexec_b64 s[20:21], vcc
	s_cbranch_execz .LBB2_1842
; %bb.1837:                             ;   in Loop: Header=BB2_1753 Depth=2
	v_cmp_ne_u16_e32 vcc, s53, v0
	v_bfrev_b32_e32 v1, 1
	s_and_saveexec_b64 s[88:89], vcc
	s_cbranch_execz .LBB2_1841
; %bb.1838:                             ;   in Loop: Header=BB2_1753 Depth=2
	v_and_b32_e32 v30, 0xffff, v0
	v_and_b32_e32 v4, 0x7f, v30
	v_cmp_ne_u32_e32 vcc, s51, v4
	v_mov_b32_e32 v1, 0x7f800001
	s_and_saveexec_b64 s[90:91], vcc
	s_cbranch_execz .LBB2_1840
; %bb.1839:                             ;   in Loop: Header=BB2_1753 Depth=2
	v_and_b32_e32 v1, 7, v30
	v_lshrrev_b32_e32 v6, 3, v4
	v_cmp_gt_u32_e32 vcc, 8, v4
	v_ffbh_u32_e32 v4, v1
	v_min_u32_e32 v7, 32, v4
	v_subrev_u32_e32 v4, 28, v7
	v_lshlrev_b64 v[4:5], v4, v[30:31]
	v_sub_u32_e32 v5, 29, v7
	v_and_b32_e32 v4, 7, v4
	v_cndmask_b32_e32 v5, v6, v5, vcc
	v_cndmask_b32_e32 v1, v1, v4, vcc
	v_lshlrev_b32_e32 v0, 24, v0
	v_lshlrev_b32_e32 v1, 20, v1
	v_and_b32_e32 v0, 0x80000000, v0
	v_lshl_add_u32 v4, v5, 23, v3
	v_or3_b32 v1, v0, v4, v1
.LBB2_1840:                             ;   in Loop: Header=BB2_1753 Depth=2
	s_or_b64 exec, exec, s[90:91]
.LBB2_1841:                             ;   in Loop: Header=BB2_1753 Depth=2
	s_or_b64 exec, exec, s[88:89]
.LBB2_1842:                             ;   in Loop: Header=BB2_1753 Depth=2
	s_or_b64 exec, exec, s[20:21]
	v_mul_f32_e32 v1, s30, v1
	v_and_b32_e32 v32, 0x7f800000, v1
	v_cmp_ne_u64_e32 vcc, s[56:57], v[32:33]
                                        ; implicit-def: $vgpr27
	s_and_saveexec_b64 s[20:21], vcc
	s_xor_b64 s[88:89], exec, s[20:21]
	s_cbranch_execz .LBB2_1860
; %bb.1843:                             ;   in Loop: Header=BB2_1753 Depth=2
	v_and_b32_e32 v32, 0x7fffffff, v1
	v_cmp_gt_u64_e32 vcc, s[58:59], v[32:33]
	v_and_b32_sdwa v0, v1, s53 dst_sel:DWORD dst_unused:UNUSED_PAD src0_sel:BYTE_3 src1_sel:DWORD
                                        ; implicit-def: $vgpr27
	s_and_saveexec_b64 s[20:21], vcc
	s_xor_b64 s[90:91], exec, s[20:21]
	s_cbranch_execz .LBB2_1857
; %bb.1844:                             ;   in Loop: Header=BB2_1753 Depth=2
	v_cmp_ne_u32_e32 vcc, 0, v1
	v_mov_b32_e32 v27, 0
	s_and_saveexec_b64 s[92:93], vcc
	s_cbranch_execz .LBB2_1856
; %bb.1845:                             ;   in Loop: Header=BB2_1753 Depth=2
	v_and_b32_e32 v5, 0x7fffff, v1
	v_bfe_u32 v1, v1, 23, 8
	v_cmp_gt_u32_e64 s[20:21], s54, v1
	v_sub_u32_e32 v4, 0x79, v1
	v_cmp_eq_u32_e32 vcc, 0, v1
	v_cndmask_b32_e64 v4, 0, v4, s[20:21]
	v_or_b32_e32 v6, 0x800000, v5
	v_cndmask_b32_e32 v4, v4, v47, vcc
	v_cndmask_b32_e32 v32, v6, v5, vcc
	v_add_u32_e32 v5, 20, v4
	v_lshlrev_b64 v[5:6], v5, -1
	v_add_u32_e32 v7, 19, v4
	v_lshlrev_b64 v[7:8], v7, 1
	v_lshrrev_b64 v[48:49], v4, v[32:33]
	v_bfi_b32 v6, v6, 0, 0
	v_bfi_b32 v5, v5, 0, v32
	v_cmp_eq_u64_e64 s[20:21], v[5:6], v[7:8]
	v_mov_b32_e32 v50, v49
	v_mov_b32_e32 v49, v48
	s_and_saveexec_b64 s[94:95], s[20:21]
; %bb.1846:                             ;   in Loop: Header=BB2_1753 Depth=2
	v_bfe_u32 v5, v48, 20, 1
	v_add_co_u32_e64 v5, s[20:21], v48, v5
	v_add_co_u32_e64 v49, s[20:21], -1, v5
; %bb.1847:                             ;   in Loop: Header=BB2_1753 Depth=2
	s_or_b64 exec, exec, s[94:95]
	v_add_u32_e32 v1, 0xffffff81, v1
	v_cndmask_b32_e32 v1, v1, v44, vcc
	v_lshrrev_b32_e32 v5, 23, v48
	v_add3_u32 v5, v4, v1, v5
	v_add_u32_e32 v4, 6, v5
	v_and_b32_e32 v1, 0xfffff, v49
	v_add_u32_e32 v32, v1, v48
	v_cmp_ne_u32_e32 vcc, 0, v4
                                        ; implicit-def: $vgpr48_vgpr49
                                        ; implicit-def: $vgpr1
	s_and_saveexec_b64 s[20:21], vcc
	s_xor_b64 s[20:21], exec, s[20:21]
; %bb.1848:                             ;   in Loop: Header=BB2_1753 Depth=2
	v_cmp_lt_u64_e32 vcc, s[60:61], v[32:33]
	v_add_u32_e32 v1, 7, v5
	v_cndmask_b32_e32 v1, v4, v1, vcc
	v_cndmask_b32_e64 v4, 0, 1, vcc
	v_lshrrev_b64 v[48:49], v4, v[32:33]
; %bb.1849:                             ;   in Loop: Header=BB2_1753 Depth=2
	s_andn2_saveexec_b64 s[20:21], s[20:21]
; %bb.1850:                             ;   in Loop: Header=BB2_1753 Depth=2
	v_mov_b32_e32 v49, v33
	v_bfe_u32 v1, v32, 23, 1
	v_mov_b32_e32 v48, v32
; %bb.1851:                             ;   in Loop: Header=BB2_1753 Depth=2
	s_or_b64 exec, exec, s[20:21]
	v_lshrrev_b64 v[4:5], 20, v[48:49]
	v_cmp_gt_i32_e32 vcc, 16, v1
	v_cndmask_b32_e32 v49, 0, v5, vcc
	v_cndmask_b32_e32 v48, 7, v4, vcc
	v_cmp_ne_u64_e32 vcc, 0, v[48:49]
	v_cmp_ne_u32_e64 s[20:21], 0, v1
	s_or_b64 s[20:21], s[20:21], vcc
                                        ; implicit-def: $vgpr27
	s_and_saveexec_b64 s[94:95], s[20:21]
	s_xor_b64 s[20:21], exec, s[94:95]
; %bb.1852:                             ;   in Loop: Header=BB2_1753 Depth=2
	v_min_i32_e32 v1, 15, v1
	v_lshl_or_b32 v0, v1, 3, v0
	v_and_or_b32 v27, v48, 7, v0
                                        ; implicit-def: $vgpr0
; %bb.1853:                             ;   in Loop: Header=BB2_1753 Depth=2
	s_andn2_saveexec_b64 s[20:21], s[20:21]
; %bb.1854:                             ;   in Loop: Header=BB2_1753 Depth=2
	v_mov_b32_e32 v27, v0
; %bb.1855:                             ;   in Loop: Header=BB2_1753 Depth=2
	s_or_b64 exec, exec, s[20:21]
.LBB2_1856:                             ;   in Loop: Header=BB2_1753 Depth=2
	s_or_b64 exec, exec, s[92:93]
                                        ; implicit-def: $vgpr0
.LBB2_1857:                             ;   in Loop: Header=BB2_1753 Depth=2
	s_andn2_saveexec_b64 s[20:21], s[90:91]
; %bb.1858:                             ;   in Loop: Header=BB2_1753 Depth=2
	v_or_b32_e32 v27, 0x7e, v0
; %bb.1859:                             ;   in Loop: Header=BB2_1753 Depth=2
	s_or_b64 exec, exec, s[20:21]
                                        ; implicit-def: $vgpr1
.LBB2_1860:                             ;   in Loop: Header=BB2_1753 Depth=2
	s_andn2_saveexec_b64 s[20:21], s[88:89]
; %bb.1861:                             ;   in Loop: Header=BB2_1753 Depth=2
	v_or_b32_sdwa v27, v1, s51 dst_sel:DWORD dst_unused:UNUSED_PAD src0_sel:BYTE_3 src1_sel:DWORD
; %bb.1862:                             ;   in Loop: Header=BB2_1753 Depth=2
	s_or_b64 exec, exec, s[20:21]
	flat_load_ubyte v0, v[10:11] offset:256 glc slc
	v_mov_b32_e32 v1, 0
	s_waitcnt vmcnt(0) lgkmcnt(0)
	v_cmp_ne_u16_e32 vcc, 0, v0
	s_and_saveexec_b64 s[20:21], vcc
	s_cbranch_execz .LBB2_1868
; %bb.1863:                             ;   in Loop: Header=BB2_1753 Depth=2
	v_cmp_ne_u16_e32 vcc, s53, v0
	v_bfrev_b32_e32 v1, 1
	s_and_saveexec_b64 s[88:89], vcc
	s_cbranch_execz .LBB2_1867
; %bb.1864:                             ;   in Loop: Header=BB2_1753 Depth=2
	v_and_b32_e32 v30, 0xffff, v0
	v_and_b32_e32 v4, 0x7f, v30
	v_cmp_ne_u32_e32 vcc, s51, v4
	v_mov_b32_e32 v1, 0x7f800001
	s_and_saveexec_b64 s[90:91], vcc
	s_cbranch_execz .LBB2_1866
; %bb.1865:                             ;   in Loop: Header=BB2_1753 Depth=2
	v_and_b32_e32 v1, 7, v30
	v_lshrrev_b32_e32 v6, 3, v4
	v_cmp_gt_u32_e32 vcc, 8, v4
	v_ffbh_u32_e32 v4, v1
	v_min_u32_e32 v7, 32, v4
	v_subrev_u32_e32 v4, 28, v7
	v_lshlrev_b64 v[4:5], v4, v[30:31]
	v_sub_u32_e32 v5, 29, v7
	v_and_b32_e32 v4, 7, v4
	v_cndmask_b32_e32 v5, v6, v5, vcc
	v_cndmask_b32_e32 v1, v1, v4, vcc
	v_lshlrev_b32_e32 v0, 24, v0
	v_lshlrev_b32_e32 v1, 20, v1
	v_and_b32_e32 v0, 0x80000000, v0
	v_lshl_add_u32 v4, v5, 23, v3
	v_or3_b32 v1, v0, v4, v1
.LBB2_1866:                             ;   in Loop: Header=BB2_1753 Depth=2
	s_or_b64 exec, exec, s[90:91]
.LBB2_1867:                             ;   in Loop: Header=BB2_1753 Depth=2
	s_or_b64 exec, exec, s[88:89]
.LBB2_1868:                             ;   in Loop: Header=BB2_1753 Depth=2
	s_or_b64 exec, exec, s[20:21]
	v_mul_f32_e32 v1, s30, v1
	v_and_b32_e32 v32, 0x7f800000, v1
	v_cmp_ne_u64_e32 vcc, s[56:57], v[32:33]
                                        ; implicit-def: $vgpr26
	s_and_saveexec_b64 s[20:21], vcc
	s_xor_b64 s[88:89], exec, s[20:21]
	s_cbranch_execz .LBB2_1886
; %bb.1869:                             ;   in Loop: Header=BB2_1753 Depth=2
	v_and_b32_e32 v32, 0x7fffffff, v1
	v_cmp_gt_u64_e32 vcc, s[58:59], v[32:33]
	v_and_b32_sdwa v0, v1, s53 dst_sel:DWORD dst_unused:UNUSED_PAD src0_sel:BYTE_3 src1_sel:DWORD
                                        ; implicit-def: $vgpr26
	s_and_saveexec_b64 s[20:21], vcc
	s_xor_b64 s[90:91], exec, s[20:21]
	s_cbranch_execz .LBB2_1883
; %bb.1870:                             ;   in Loop: Header=BB2_1753 Depth=2
	v_cmp_ne_u32_e32 vcc, 0, v1
	v_mov_b32_e32 v26, 0
	s_and_saveexec_b64 s[92:93], vcc
	s_cbranch_execz .LBB2_1882
; %bb.1871:                             ;   in Loop: Header=BB2_1753 Depth=2
	v_and_b32_e32 v5, 0x7fffff, v1
	v_bfe_u32 v1, v1, 23, 8
	v_cmp_gt_u32_e64 s[20:21], s54, v1
	v_sub_u32_e32 v4, 0x79, v1
	v_cmp_eq_u32_e32 vcc, 0, v1
	v_cndmask_b32_e64 v4, 0, v4, s[20:21]
	v_or_b32_e32 v6, 0x800000, v5
	v_cndmask_b32_e32 v4, v4, v47, vcc
	v_cndmask_b32_e32 v32, v6, v5, vcc
	v_add_u32_e32 v5, 20, v4
	v_lshlrev_b64 v[5:6], v5, -1
	v_add_u32_e32 v7, 19, v4
	v_lshlrev_b64 v[7:8], v7, 1
	v_lshrrev_b64 v[48:49], v4, v[32:33]
	v_bfi_b32 v6, v6, 0, 0
	v_bfi_b32 v5, v5, 0, v32
	v_cmp_eq_u64_e64 s[20:21], v[5:6], v[7:8]
	v_mov_b32_e32 v50, v49
	v_mov_b32_e32 v49, v48
	s_and_saveexec_b64 s[94:95], s[20:21]
; %bb.1872:                             ;   in Loop: Header=BB2_1753 Depth=2
	v_bfe_u32 v5, v48, 20, 1
	v_add_co_u32_e64 v5, s[20:21], v48, v5
	v_add_co_u32_e64 v49, s[20:21], -1, v5
; %bb.1873:                             ;   in Loop: Header=BB2_1753 Depth=2
	s_or_b64 exec, exec, s[94:95]
	v_add_u32_e32 v1, 0xffffff81, v1
	v_cndmask_b32_e32 v1, v1, v44, vcc
	v_lshrrev_b32_e32 v5, 23, v48
	v_add3_u32 v5, v4, v1, v5
	v_add_u32_e32 v4, 6, v5
	v_and_b32_e32 v1, 0xfffff, v49
	v_add_u32_e32 v32, v1, v48
	v_cmp_ne_u32_e32 vcc, 0, v4
                                        ; implicit-def: $vgpr48_vgpr49
                                        ; implicit-def: $vgpr1
	s_and_saveexec_b64 s[20:21], vcc
	s_xor_b64 s[20:21], exec, s[20:21]
; %bb.1874:                             ;   in Loop: Header=BB2_1753 Depth=2
	v_cmp_lt_u64_e32 vcc, s[60:61], v[32:33]
	v_add_u32_e32 v1, 7, v5
	v_cndmask_b32_e32 v1, v4, v1, vcc
	v_cndmask_b32_e64 v4, 0, 1, vcc
	v_lshrrev_b64 v[48:49], v4, v[32:33]
; %bb.1875:                             ;   in Loop: Header=BB2_1753 Depth=2
	s_andn2_saveexec_b64 s[20:21], s[20:21]
; %bb.1876:                             ;   in Loop: Header=BB2_1753 Depth=2
	v_mov_b32_e32 v49, v33
	v_bfe_u32 v1, v32, 23, 1
	v_mov_b32_e32 v48, v32
; %bb.1877:                             ;   in Loop: Header=BB2_1753 Depth=2
	s_or_b64 exec, exec, s[20:21]
	v_lshrrev_b64 v[4:5], 20, v[48:49]
	v_cmp_gt_i32_e32 vcc, 16, v1
	v_cndmask_b32_e32 v49, 0, v5, vcc
	v_cndmask_b32_e32 v48, 7, v4, vcc
	v_cmp_ne_u64_e32 vcc, 0, v[48:49]
	v_cmp_ne_u32_e64 s[20:21], 0, v1
	s_or_b64 s[20:21], s[20:21], vcc
                                        ; implicit-def: $vgpr26
	s_and_saveexec_b64 s[94:95], s[20:21]
	s_xor_b64 s[20:21], exec, s[94:95]
; %bb.1878:                             ;   in Loop: Header=BB2_1753 Depth=2
	v_min_i32_e32 v1, 15, v1
	v_lshl_or_b32 v0, v1, 3, v0
	v_and_or_b32 v26, v48, 7, v0
                                        ; implicit-def: $vgpr0
; %bb.1879:                             ;   in Loop: Header=BB2_1753 Depth=2
	s_andn2_saveexec_b64 s[20:21], s[20:21]
; %bb.1880:                             ;   in Loop: Header=BB2_1753 Depth=2
	v_mov_b32_e32 v26, v0
; %bb.1881:                             ;   in Loop: Header=BB2_1753 Depth=2
	s_or_b64 exec, exec, s[20:21]
.LBB2_1882:                             ;   in Loop: Header=BB2_1753 Depth=2
	s_or_b64 exec, exec, s[92:93]
                                        ; implicit-def: $vgpr0
.LBB2_1883:                             ;   in Loop: Header=BB2_1753 Depth=2
	s_andn2_saveexec_b64 s[20:21], s[90:91]
; %bb.1884:                             ;   in Loop: Header=BB2_1753 Depth=2
	v_or_b32_e32 v26, 0x7e, v0
; %bb.1885:                             ;   in Loop: Header=BB2_1753 Depth=2
	s_or_b64 exec, exec, s[20:21]
                                        ; implicit-def: $vgpr1
.LBB2_1886:                             ;   in Loop: Header=BB2_1753 Depth=2
	s_andn2_saveexec_b64 s[20:21], s[88:89]
; %bb.1887:                             ;   in Loop: Header=BB2_1753 Depth=2
	v_or_b32_sdwa v26, v1, s51 dst_sel:DWORD dst_unused:UNUSED_PAD src0_sel:BYTE_3 src1_sel:DWORD
; %bb.1888:                             ;   in Loop: Header=BB2_1753 Depth=2
	s_or_b64 exec, exec, s[20:21]
	flat_load_ubyte v0, v[10:11] offset:320 glc slc
	v_mov_b32_e32 v1, 0
	s_waitcnt vmcnt(0) lgkmcnt(0)
	v_cmp_ne_u16_e32 vcc, 0, v0
	s_and_saveexec_b64 s[20:21], vcc
	s_cbranch_execz .LBB2_1894
; %bb.1889:                             ;   in Loop: Header=BB2_1753 Depth=2
	v_cmp_ne_u16_e32 vcc, s53, v0
	v_bfrev_b32_e32 v1, 1
	s_and_saveexec_b64 s[88:89], vcc
	s_cbranch_execz .LBB2_1893
; %bb.1890:                             ;   in Loop: Header=BB2_1753 Depth=2
	v_and_b32_e32 v30, 0xffff, v0
	v_and_b32_e32 v4, 0x7f, v30
	v_cmp_ne_u32_e32 vcc, s51, v4
	v_mov_b32_e32 v1, 0x7f800001
	s_and_saveexec_b64 s[90:91], vcc
	s_cbranch_execz .LBB2_1892
; %bb.1891:                             ;   in Loop: Header=BB2_1753 Depth=2
	v_and_b32_e32 v1, 7, v30
	v_lshrrev_b32_e32 v6, 3, v4
	v_cmp_gt_u32_e32 vcc, 8, v4
	v_ffbh_u32_e32 v4, v1
	v_min_u32_e32 v7, 32, v4
	v_subrev_u32_e32 v4, 28, v7
	v_lshlrev_b64 v[4:5], v4, v[30:31]
	v_sub_u32_e32 v5, 29, v7
	v_and_b32_e32 v4, 7, v4
	v_cndmask_b32_e32 v5, v6, v5, vcc
	v_cndmask_b32_e32 v1, v1, v4, vcc
	v_lshlrev_b32_e32 v0, 24, v0
	v_lshlrev_b32_e32 v1, 20, v1
	v_and_b32_e32 v0, 0x80000000, v0
	v_lshl_add_u32 v4, v5, 23, v3
	v_or3_b32 v1, v0, v4, v1
.LBB2_1892:                             ;   in Loop: Header=BB2_1753 Depth=2
	s_or_b64 exec, exec, s[90:91]
.LBB2_1893:                             ;   in Loop: Header=BB2_1753 Depth=2
	s_or_b64 exec, exec, s[88:89]
.LBB2_1894:                             ;   in Loop: Header=BB2_1753 Depth=2
	s_or_b64 exec, exec, s[20:21]
	v_mul_f32_e32 v1, s30, v1
	v_and_b32_e32 v32, 0x7f800000, v1
	v_cmp_ne_u64_e32 vcc, s[56:57], v[32:33]
                                        ; implicit-def: $vgpr21
	s_and_saveexec_b64 s[20:21], vcc
	s_xor_b64 s[88:89], exec, s[20:21]
	s_cbranch_execz .LBB2_1912
; %bb.1895:                             ;   in Loop: Header=BB2_1753 Depth=2
	v_and_b32_e32 v32, 0x7fffffff, v1
	v_cmp_gt_u64_e32 vcc, s[58:59], v[32:33]
	v_and_b32_sdwa v0, v1, s53 dst_sel:DWORD dst_unused:UNUSED_PAD src0_sel:BYTE_3 src1_sel:DWORD
                                        ; implicit-def: $vgpr21
	s_and_saveexec_b64 s[20:21], vcc
	s_xor_b64 s[90:91], exec, s[20:21]
	s_cbranch_execz .LBB2_1909
; %bb.1896:                             ;   in Loop: Header=BB2_1753 Depth=2
	v_cmp_ne_u32_e32 vcc, 0, v1
	v_mov_b32_e32 v21, 0
	s_and_saveexec_b64 s[92:93], vcc
	s_cbranch_execz .LBB2_1908
; %bb.1897:                             ;   in Loop: Header=BB2_1753 Depth=2
	v_and_b32_e32 v5, 0x7fffff, v1
	v_bfe_u32 v1, v1, 23, 8
	v_cmp_gt_u32_e64 s[20:21], s54, v1
	v_sub_u32_e32 v4, 0x79, v1
	v_cmp_eq_u32_e32 vcc, 0, v1
	v_cndmask_b32_e64 v4, 0, v4, s[20:21]
	v_or_b32_e32 v6, 0x800000, v5
	v_cndmask_b32_e32 v4, v4, v47, vcc
	v_cndmask_b32_e32 v32, v6, v5, vcc
	v_add_u32_e32 v5, 20, v4
	v_lshlrev_b64 v[5:6], v5, -1
	v_add_u32_e32 v7, 19, v4
	v_lshlrev_b64 v[7:8], v7, 1
	v_lshrrev_b64 v[48:49], v4, v[32:33]
	v_bfi_b32 v6, v6, 0, 0
	v_bfi_b32 v5, v5, 0, v32
	v_cmp_eq_u64_e64 s[20:21], v[5:6], v[7:8]
	v_mov_b32_e32 v50, v49
	v_mov_b32_e32 v49, v48
	s_and_saveexec_b64 s[94:95], s[20:21]
; %bb.1898:                             ;   in Loop: Header=BB2_1753 Depth=2
	v_bfe_u32 v5, v48, 20, 1
	v_add_co_u32_e64 v5, s[20:21], v48, v5
	v_add_co_u32_e64 v49, s[20:21], -1, v5
; %bb.1899:                             ;   in Loop: Header=BB2_1753 Depth=2
	s_or_b64 exec, exec, s[94:95]
	v_add_u32_e32 v1, 0xffffff81, v1
	v_cndmask_b32_e32 v1, v1, v44, vcc
	v_lshrrev_b32_e32 v5, 23, v48
	v_add3_u32 v5, v4, v1, v5
	v_add_u32_e32 v4, 6, v5
	v_and_b32_e32 v1, 0xfffff, v49
	v_add_u32_e32 v32, v1, v48
	v_cmp_ne_u32_e32 vcc, 0, v4
                                        ; implicit-def: $vgpr48_vgpr49
                                        ; implicit-def: $vgpr1
	s_and_saveexec_b64 s[20:21], vcc
	s_xor_b64 s[20:21], exec, s[20:21]
; %bb.1900:                             ;   in Loop: Header=BB2_1753 Depth=2
	v_cmp_lt_u64_e32 vcc, s[60:61], v[32:33]
	v_add_u32_e32 v1, 7, v5
	v_cndmask_b32_e32 v1, v4, v1, vcc
	v_cndmask_b32_e64 v4, 0, 1, vcc
	v_lshrrev_b64 v[48:49], v4, v[32:33]
; %bb.1901:                             ;   in Loop: Header=BB2_1753 Depth=2
	s_andn2_saveexec_b64 s[20:21], s[20:21]
; %bb.1902:                             ;   in Loop: Header=BB2_1753 Depth=2
	v_mov_b32_e32 v49, v33
	v_bfe_u32 v1, v32, 23, 1
	v_mov_b32_e32 v48, v32
; %bb.1903:                             ;   in Loop: Header=BB2_1753 Depth=2
	s_or_b64 exec, exec, s[20:21]
	v_lshrrev_b64 v[4:5], 20, v[48:49]
	v_cmp_gt_i32_e32 vcc, 16, v1
	v_cndmask_b32_e32 v49, 0, v5, vcc
	v_cndmask_b32_e32 v48, 7, v4, vcc
	v_cmp_ne_u64_e32 vcc, 0, v[48:49]
	v_cmp_ne_u32_e64 s[20:21], 0, v1
	s_or_b64 s[20:21], s[20:21], vcc
                                        ; implicit-def: $vgpr21
	s_and_saveexec_b64 s[94:95], s[20:21]
	s_xor_b64 s[20:21], exec, s[94:95]
; %bb.1904:                             ;   in Loop: Header=BB2_1753 Depth=2
	v_min_i32_e32 v1, 15, v1
	v_lshl_or_b32 v0, v1, 3, v0
	v_and_or_b32 v21, v48, 7, v0
                                        ; implicit-def: $vgpr0
; %bb.1905:                             ;   in Loop: Header=BB2_1753 Depth=2
	s_andn2_saveexec_b64 s[20:21], s[20:21]
; %bb.1906:                             ;   in Loop: Header=BB2_1753 Depth=2
	v_mov_b32_e32 v21, v0
; %bb.1907:                             ;   in Loop: Header=BB2_1753 Depth=2
	s_or_b64 exec, exec, s[20:21]
.LBB2_1908:                             ;   in Loop: Header=BB2_1753 Depth=2
	s_or_b64 exec, exec, s[92:93]
                                        ; implicit-def: $vgpr0
.LBB2_1909:                             ;   in Loop: Header=BB2_1753 Depth=2
	s_andn2_saveexec_b64 s[20:21], s[90:91]
; %bb.1910:                             ;   in Loop: Header=BB2_1753 Depth=2
	v_or_b32_e32 v21, 0x7e, v0
; %bb.1911:                             ;   in Loop: Header=BB2_1753 Depth=2
	s_or_b64 exec, exec, s[20:21]
                                        ; implicit-def: $vgpr1
.LBB2_1912:                             ;   in Loop: Header=BB2_1753 Depth=2
	s_andn2_saveexec_b64 s[20:21], s[88:89]
; %bb.1913:                             ;   in Loop: Header=BB2_1753 Depth=2
	v_or_b32_sdwa v21, v1, s51 dst_sel:DWORD dst_unused:UNUSED_PAD src0_sel:BYTE_3 src1_sel:DWORD
; %bb.1914:                             ;   in Loop: Header=BB2_1753 Depth=2
	s_or_b64 exec, exec, s[20:21]
	flat_load_ubyte v0, v[10:11] offset:384 glc slc
	v_mov_b32_e32 v1, 0
	s_waitcnt vmcnt(0) lgkmcnt(0)
	v_cmp_ne_u16_e32 vcc, 0, v0
	s_and_saveexec_b64 s[20:21], vcc
	s_cbranch_execz .LBB2_1920
; %bb.1915:                             ;   in Loop: Header=BB2_1753 Depth=2
	v_cmp_ne_u16_e32 vcc, s53, v0
	v_bfrev_b32_e32 v1, 1
	s_and_saveexec_b64 s[88:89], vcc
	s_cbranch_execz .LBB2_1919
; %bb.1916:                             ;   in Loop: Header=BB2_1753 Depth=2
	v_and_b32_e32 v30, 0xffff, v0
	v_and_b32_e32 v4, 0x7f, v30
	v_cmp_ne_u32_e32 vcc, s51, v4
	v_mov_b32_e32 v1, 0x7f800001
	s_and_saveexec_b64 s[90:91], vcc
	s_cbranch_execz .LBB2_1918
; %bb.1917:                             ;   in Loop: Header=BB2_1753 Depth=2
	v_and_b32_e32 v1, 7, v30
	v_lshrrev_b32_e32 v6, 3, v4
	v_cmp_gt_u32_e32 vcc, 8, v4
	v_ffbh_u32_e32 v4, v1
	v_min_u32_e32 v7, 32, v4
	v_subrev_u32_e32 v4, 28, v7
	v_lshlrev_b64 v[4:5], v4, v[30:31]
	v_sub_u32_e32 v5, 29, v7
	v_and_b32_e32 v4, 7, v4
	v_cndmask_b32_e32 v5, v6, v5, vcc
	v_cndmask_b32_e32 v1, v1, v4, vcc
	v_lshlrev_b32_e32 v0, 24, v0
	v_lshlrev_b32_e32 v1, 20, v1
	v_and_b32_e32 v0, 0x80000000, v0
	v_lshl_add_u32 v4, v5, 23, v3
	v_or3_b32 v1, v0, v4, v1
.LBB2_1918:                             ;   in Loop: Header=BB2_1753 Depth=2
	s_or_b64 exec, exec, s[90:91]
.LBB2_1919:                             ;   in Loop: Header=BB2_1753 Depth=2
	s_or_b64 exec, exec, s[88:89]
.LBB2_1920:                             ;   in Loop: Header=BB2_1753 Depth=2
	s_or_b64 exec, exec, s[20:21]
	v_mul_f32_e32 v1, s30, v1
	v_and_b32_e32 v32, 0x7f800000, v1
	v_cmp_ne_u64_e32 vcc, s[56:57], v[32:33]
                                        ; implicit-def: $vgpr20
	s_and_saveexec_b64 s[20:21], vcc
	s_xor_b64 s[88:89], exec, s[20:21]
	s_cbranch_execz .LBB2_1938
; %bb.1921:                             ;   in Loop: Header=BB2_1753 Depth=2
	v_and_b32_e32 v32, 0x7fffffff, v1
	v_cmp_gt_u64_e32 vcc, s[58:59], v[32:33]
	v_and_b32_sdwa v0, v1, s53 dst_sel:DWORD dst_unused:UNUSED_PAD src0_sel:BYTE_3 src1_sel:DWORD
                                        ; implicit-def: $vgpr20
	s_and_saveexec_b64 s[20:21], vcc
	s_xor_b64 s[90:91], exec, s[20:21]
	s_cbranch_execz .LBB2_1935
; %bb.1922:                             ;   in Loop: Header=BB2_1753 Depth=2
	v_cmp_ne_u32_e32 vcc, 0, v1
	v_mov_b32_e32 v20, 0
	s_and_saveexec_b64 s[92:93], vcc
	s_cbranch_execz .LBB2_1934
; %bb.1923:                             ;   in Loop: Header=BB2_1753 Depth=2
	v_and_b32_e32 v5, 0x7fffff, v1
	v_bfe_u32 v1, v1, 23, 8
	v_cmp_gt_u32_e64 s[20:21], s54, v1
	v_sub_u32_e32 v4, 0x79, v1
	v_cmp_eq_u32_e32 vcc, 0, v1
	v_cndmask_b32_e64 v4, 0, v4, s[20:21]
	v_or_b32_e32 v6, 0x800000, v5
	v_cndmask_b32_e32 v4, v4, v47, vcc
	v_cndmask_b32_e32 v32, v6, v5, vcc
	v_add_u32_e32 v5, 20, v4
	v_lshlrev_b64 v[5:6], v5, -1
	v_add_u32_e32 v7, 19, v4
	v_lshlrev_b64 v[7:8], v7, 1
	v_lshrrev_b64 v[48:49], v4, v[32:33]
	v_bfi_b32 v6, v6, 0, 0
	v_bfi_b32 v5, v5, 0, v32
	v_cmp_eq_u64_e64 s[20:21], v[5:6], v[7:8]
	v_mov_b32_e32 v50, v49
	v_mov_b32_e32 v49, v48
	s_and_saveexec_b64 s[94:95], s[20:21]
; %bb.1924:                             ;   in Loop: Header=BB2_1753 Depth=2
	v_bfe_u32 v5, v48, 20, 1
	v_add_co_u32_e64 v5, s[20:21], v48, v5
	v_add_co_u32_e64 v49, s[20:21], -1, v5
; %bb.1925:                             ;   in Loop: Header=BB2_1753 Depth=2
	s_or_b64 exec, exec, s[94:95]
	v_add_u32_e32 v1, 0xffffff81, v1
	v_cndmask_b32_e32 v1, v1, v44, vcc
	v_lshrrev_b32_e32 v5, 23, v48
	v_add3_u32 v5, v4, v1, v5
	v_add_u32_e32 v4, 6, v5
	v_and_b32_e32 v1, 0xfffff, v49
	v_add_u32_e32 v32, v1, v48
	v_cmp_ne_u32_e32 vcc, 0, v4
                                        ; implicit-def: $vgpr48_vgpr49
                                        ; implicit-def: $vgpr1
	s_and_saveexec_b64 s[20:21], vcc
	s_xor_b64 s[20:21], exec, s[20:21]
; %bb.1926:                             ;   in Loop: Header=BB2_1753 Depth=2
	v_cmp_lt_u64_e32 vcc, s[60:61], v[32:33]
	v_add_u32_e32 v1, 7, v5
	v_cndmask_b32_e32 v1, v4, v1, vcc
	v_cndmask_b32_e64 v4, 0, 1, vcc
	v_lshrrev_b64 v[48:49], v4, v[32:33]
; %bb.1927:                             ;   in Loop: Header=BB2_1753 Depth=2
	s_andn2_saveexec_b64 s[20:21], s[20:21]
; %bb.1928:                             ;   in Loop: Header=BB2_1753 Depth=2
	v_mov_b32_e32 v49, v33
	v_bfe_u32 v1, v32, 23, 1
	v_mov_b32_e32 v48, v32
; %bb.1929:                             ;   in Loop: Header=BB2_1753 Depth=2
	s_or_b64 exec, exec, s[20:21]
	v_lshrrev_b64 v[4:5], 20, v[48:49]
	v_cmp_gt_i32_e32 vcc, 16, v1
	v_cndmask_b32_e32 v49, 0, v5, vcc
	v_cndmask_b32_e32 v48, 7, v4, vcc
	v_cmp_ne_u64_e32 vcc, 0, v[48:49]
	v_cmp_ne_u32_e64 s[20:21], 0, v1
	s_or_b64 s[20:21], s[20:21], vcc
                                        ; implicit-def: $vgpr20
	s_and_saveexec_b64 s[94:95], s[20:21]
	s_xor_b64 s[20:21], exec, s[94:95]
; %bb.1930:                             ;   in Loop: Header=BB2_1753 Depth=2
	v_min_i32_e32 v1, 15, v1
	v_lshl_or_b32 v0, v1, 3, v0
	v_and_or_b32 v20, v48, 7, v0
                                        ; implicit-def: $vgpr0
; %bb.1931:                             ;   in Loop: Header=BB2_1753 Depth=2
	s_andn2_saveexec_b64 s[20:21], s[20:21]
; %bb.1932:                             ;   in Loop: Header=BB2_1753 Depth=2
	v_mov_b32_e32 v20, v0
; %bb.1933:                             ;   in Loop: Header=BB2_1753 Depth=2
	s_or_b64 exec, exec, s[20:21]
.LBB2_1934:                             ;   in Loop: Header=BB2_1753 Depth=2
	s_or_b64 exec, exec, s[92:93]
                                        ; implicit-def: $vgpr0
.LBB2_1935:                             ;   in Loop: Header=BB2_1753 Depth=2
	s_andn2_saveexec_b64 s[20:21], s[90:91]
; %bb.1936:                             ;   in Loop: Header=BB2_1753 Depth=2
	v_or_b32_e32 v20, 0x7e, v0
; %bb.1937:                             ;   in Loop: Header=BB2_1753 Depth=2
	s_or_b64 exec, exec, s[20:21]
                                        ; implicit-def: $vgpr1
.LBB2_1938:                             ;   in Loop: Header=BB2_1753 Depth=2
	s_andn2_saveexec_b64 s[20:21], s[88:89]
; %bb.1939:                             ;   in Loop: Header=BB2_1753 Depth=2
	v_or_b32_sdwa v20, v1, s51 dst_sel:DWORD dst_unused:UNUSED_PAD src0_sel:BYTE_3 src1_sel:DWORD
; %bb.1940:                             ;   in Loop: Header=BB2_1753 Depth=2
	s_or_b64 exec, exec, s[20:21]
	flat_load_ubyte v0, v[10:11] offset:448 glc slc
	v_mov_b32_e32 v1, 0
	s_waitcnt vmcnt(0) lgkmcnt(0)
	v_cmp_ne_u16_e32 vcc, 0, v0
	s_and_saveexec_b64 s[20:21], vcc
	s_cbranch_execz .LBB2_1946
; %bb.1941:                             ;   in Loop: Header=BB2_1753 Depth=2
	v_cmp_ne_u16_e32 vcc, s53, v0
	v_bfrev_b32_e32 v1, 1
	s_and_saveexec_b64 s[88:89], vcc
	s_cbranch_execz .LBB2_1945
; %bb.1942:                             ;   in Loop: Header=BB2_1753 Depth=2
	v_and_b32_e32 v30, 0xffff, v0
	v_and_b32_e32 v4, 0x7f, v30
	v_cmp_ne_u32_e32 vcc, s51, v4
	v_mov_b32_e32 v1, 0x7f800001
	s_and_saveexec_b64 s[90:91], vcc
	s_cbranch_execz .LBB2_1944
; %bb.1943:                             ;   in Loop: Header=BB2_1753 Depth=2
	v_and_b32_e32 v1, 7, v30
	v_lshrrev_b32_e32 v6, 3, v4
	v_cmp_gt_u32_e32 vcc, 8, v4
	v_ffbh_u32_e32 v4, v1
	v_min_u32_e32 v7, 32, v4
	v_subrev_u32_e32 v4, 28, v7
	v_lshlrev_b64 v[4:5], v4, v[30:31]
	v_sub_u32_e32 v5, 29, v7
	v_and_b32_e32 v4, 7, v4
	v_cndmask_b32_e32 v5, v6, v5, vcc
	v_cndmask_b32_e32 v1, v1, v4, vcc
	v_lshlrev_b32_e32 v0, 24, v0
	v_lshlrev_b32_e32 v1, 20, v1
	v_and_b32_e32 v0, 0x80000000, v0
	v_lshl_add_u32 v4, v5, 23, v3
	v_or3_b32 v1, v0, v4, v1
.LBB2_1944:                             ;   in Loop: Header=BB2_1753 Depth=2
	s_or_b64 exec, exec, s[90:91]
.LBB2_1945:                             ;   in Loop: Header=BB2_1753 Depth=2
	s_or_b64 exec, exec, s[88:89]
.LBB2_1946:                             ;   in Loop: Header=BB2_1753 Depth=2
	s_or_b64 exec, exec, s[20:21]
	v_mul_f32_e32 v4, s30, v1
	v_and_b32_e32 v32, 0x7f800000, v4
	v_cmp_ne_u64_e32 vcc, s[56:57], v[32:33]
                                        ; implicit-def: $vgpr0
	s_and_saveexec_b64 s[20:21], vcc
	s_xor_b64 s[88:89], exec, s[20:21]
	s_cbranch_execz .LBB2_1964
; %bb.1947:                             ;   in Loop: Header=BB2_1753 Depth=2
	v_and_b32_e32 v32, 0x7fffffff, v4
	v_cmp_gt_u64_e32 vcc, s[58:59], v[32:33]
	v_and_b32_sdwa v1, v4, s53 dst_sel:DWORD dst_unused:UNUSED_PAD src0_sel:BYTE_3 src1_sel:DWORD
                                        ; implicit-def: $vgpr0
	s_and_saveexec_b64 s[20:21], vcc
	s_xor_b64 s[90:91], exec, s[20:21]
	s_cbranch_execz .LBB2_1961
; %bb.1948:                             ;   in Loop: Header=BB2_1753 Depth=2
	v_cmp_ne_u32_e32 vcc, 0, v4
	v_mov_b32_e32 v0, 0
	s_and_saveexec_b64 s[92:93], vcc
	s_cbranch_execz .LBB2_1960
; %bb.1949:                             ;   in Loop: Header=BB2_1753 Depth=2
	v_bfe_u32 v0, v4, 23, 8
	v_and_b32_e32 v5, 0x7fffff, v4
	v_cmp_gt_u32_e64 s[20:21], s54, v0
	v_sub_u32_e32 v4, 0x79, v0
	v_cmp_eq_u32_e32 vcc, 0, v0
	v_cndmask_b32_e64 v4, 0, v4, s[20:21]
	v_or_b32_e32 v6, 0x800000, v5
	v_cndmask_b32_e32 v4, v4, v47, vcc
	v_cndmask_b32_e32 v32, v6, v5, vcc
	v_add_u32_e32 v5, 20, v4
	v_lshlrev_b64 v[5:6], v5, -1
	v_add_u32_e32 v7, 19, v4
	v_lshlrev_b64 v[7:8], v7, 1
	v_lshrrev_b64 v[48:49], v4, v[32:33]
	v_bfi_b32 v6, v6, 0, 0
	v_bfi_b32 v5, v5, 0, v32
	v_cmp_eq_u64_e64 s[20:21], v[5:6], v[7:8]
	v_mov_b32_e32 v50, v49
	v_mov_b32_e32 v49, v48
	s_and_saveexec_b64 s[94:95], s[20:21]
; %bb.1950:                             ;   in Loop: Header=BB2_1753 Depth=2
	v_bfe_u32 v5, v48, 20, 1
	v_add_co_u32_e64 v5, s[20:21], v48, v5
	v_add_co_u32_e64 v49, s[20:21], -1, v5
; %bb.1951:                             ;   in Loop: Header=BB2_1753 Depth=2
	s_or_b64 exec, exec, s[94:95]
	v_add_u32_e32 v0, 0xffffff81, v0
	v_cndmask_b32_e32 v0, v0, v44, vcc
	v_lshrrev_b32_e32 v5, 23, v48
	v_add3_u32 v5, v4, v0, v5
	v_add_u32_e32 v0, 6, v5
	v_and_b32_e32 v4, 0xfffff, v49
	v_add_u32_e32 v32, v4, v48
	v_cmp_ne_u32_e32 vcc, 0, v0
                                        ; implicit-def: $vgpr48_vgpr49
                                        ; implicit-def: $vgpr4
	s_and_saveexec_b64 s[20:21], vcc
	s_xor_b64 s[20:21], exec, s[20:21]
; %bb.1952:                             ;   in Loop: Header=BB2_1753 Depth=2
	v_cmp_lt_u64_e32 vcc, s[60:61], v[32:33]
	v_add_u32_e32 v4, 7, v5
	v_cndmask_b32_e32 v4, v0, v4, vcc
	v_cndmask_b32_e64 v0, 0, 1, vcc
	v_lshrrev_b64 v[48:49], v0, v[32:33]
; %bb.1953:                             ;   in Loop: Header=BB2_1753 Depth=2
	s_andn2_saveexec_b64 s[20:21], s[20:21]
; %bb.1954:                             ;   in Loop: Header=BB2_1753 Depth=2
	v_mov_b32_e32 v49, v33
	v_bfe_u32 v4, v32, 23, 1
	v_mov_b32_e32 v48, v32
; %bb.1955:                             ;   in Loop: Header=BB2_1753 Depth=2
	s_or_b64 exec, exec, s[20:21]
	v_lshrrev_b64 v[5:6], 20, v[48:49]
	v_cmp_gt_i32_e32 vcc, 16, v4
	v_cndmask_b32_e32 v49, 0, v6, vcc
	v_cndmask_b32_e32 v48, 7, v5, vcc
	v_cmp_ne_u64_e32 vcc, 0, v[48:49]
	v_cmp_ne_u32_e64 s[20:21], 0, v4
	s_or_b64 s[20:21], s[20:21], vcc
                                        ; implicit-def: $vgpr0
	s_and_saveexec_b64 s[94:95], s[20:21]
	s_xor_b64 s[20:21], exec, s[94:95]
; %bb.1956:                             ;   in Loop: Header=BB2_1753 Depth=2
	v_min_i32_e32 v0, 15, v4
	v_lshl_or_b32 v0, v0, 3, v1
	v_and_or_b32 v0, v48, 7, v0
                                        ; implicit-def: $vgpr1
; %bb.1957:                             ;   in Loop: Header=BB2_1753 Depth=2
	s_andn2_saveexec_b64 s[20:21], s[20:21]
; %bb.1958:                             ;   in Loop: Header=BB2_1753 Depth=2
	v_mov_b32_e32 v0, v1
; %bb.1959:                             ;   in Loop: Header=BB2_1753 Depth=2
	s_or_b64 exec, exec, s[20:21]
.LBB2_1960:                             ;   in Loop: Header=BB2_1753 Depth=2
	s_or_b64 exec, exec, s[92:93]
                                        ; implicit-def: $vgpr1
.LBB2_1961:                             ;   in Loop: Header=BB2_1753 Depth=2
	s_andn2_saveexec_b64 s[20:21], s[90:91]
; %bb.1962:                             ;   in Loop: Header=BB2_1753 Depth=2
	v_or_b32_e32 v0, 0x7e, v1
; %bb.1963:                             ;   in Loop: Header=BB2_1753 Depth=2
	s_or_b64 exec, exec, s[20:21]
                                        ; implicit-def: $vgpr4
.LBB2_1964:                             ;   in Loop: Header=BB2_1753 Depth=2
	s_andn2_saveexec_b64 s[20:21], s[88:89]
; %bb.1965:                             ;   in Loop: Header=BB2_1753 Depth=2
	v_or_b32_sdwa v0, v4, s51 dst_sel:DWORD dst_unused:UNUSED_PAD src0_sel:BYTE_3 src1_sel:DWORD
; %bb.1966:                             ;   in Loop: Header=BB2_1753 Depth=2
	s_or_b64 exec, exec, s[20:21]
	flat_load_ubyte v32, v[12:13] glc slc
	flat_load_ubyte v23, v[12:13] offset:64 glc slc
	flat_load_ubyte v22, v[12:13] offset:128 glc slc
	;; [unrolled: 1-line block ×7, first 2 shown]
	v_and_b32_e32 v30, 0xff, v17
	v_cmp_ne_u16_e32 vcc, 0, v30
	v_mov_b32_e32 v48, 0
	v_mov_b32_e32 v49, 0
	s_and_saveexec_b64 s[20:21], vcc
	s_cbranch_execz .LBB2_1972
; %bb.1967:                             ;   in Loop: Header=BB2_1753 Depth=2
	v_cmp_ne_u16_e32 vcc, s53, v30
	v_bfrev_b32_e32 v49, 1
	s_and_saveexec_b64 s[88:89], vcc
	s_cbranch_execz .LBB2_1971
; %bb.1968:                             ;   in Loop: Header=BB2_1753 Depth=2
	v_and_b32_e32 v6, 0x7f, v17
	v_cmp_ne_u32_e32 vcc, s51, v6
	v_mov_b32_e32 v49, 0x7f800001
	s_and_saveexec_b64 s[90:91], vcc
	s_cbranch_execz .LBB2_1970
; %bb.1969:                             ;   in Loop: Header=BB2_1753 Depth=2
	v_and_b32_e32 v8, 7, v30
	v_lshrrev_b32_e32 v9, 3, v6
	v_cmp_gt_u32_e32 vcc, 8, v6
	v_ffbh_u32_e32 v6, v8
	v_min_u32_e32 v49, 32, v6
	v_subrev_u32_e32 v6, 28, v49
	v_lshlrev_b64 v[6:7], v6, v[30:31]
	v_sub_u32_e32 v7, 29, v49
	v_and_b32_e32 v6, 7, v6
	v_cndmask_b32_e32 v7, v9, v7, vcc
	v_cndmask_b32_e32 v6, v8, v6, vcc
	v_lshlrev_b32_e32 v8, 24, v17
	v_lshlrev_b32_e32 v6, 20, v6
	v_and_b32_e32 v8, 0x80000000, v8
	v_lshl_add_u32 v7, v7, 23, v3
	v_or3_b32 v49, v8, v7, v6
.LBB2_1970:                             ;   in Loop: Header=BB2_1753 Depth=2
	s_or_b64 exec, exec, s[90:91]
.LBB2_1971:                             ;   in Loop: Header=BB2_1753 Depth=2
	s_or_b64 exec, exec, s[88:89]
.LBB2_1972:                             ;   in Loop: Header=BB2_1753 Depth=2
	s_or_b64 exec, exec, s[20:21]
	s_waitcnt vmcnt(0) lgkmcnt(0)
	v_and_b32_e32 v30, 0xff, v32
	v_cmp_ne_u16_e32 vcc, 0, v30
	s_and_saveexec_b64 s[20:21], vcc
	s_cbranch_execz .LBB2_1978
; %bb.1973:                             ;   in Loop: Header=BB2_1753 Depth=2
	v_cmp_ne_u16_e32 vcc, s53, v30
	v_bfrev_b32_e32 v48, 1
	s_and_saveexec_b64 s[88:89], vcc
	s_cbranch_execz .LBB2_1977
; %bb.1974:                             ;   in Loop: Header=BB2_1753 Depth=2
	v_and_b32_e32 v6, 0x7f, v32
	v_cmp_ne_u32_e32 vcc, s51, v6
	v_mov_b32_e32 v48, 0x7f800001
	s_and_saveexec_b64 s[90:91], vcc
	s_cbranch_execz .LBB2_1976
; %bb.1975:                             ;   in Loop: Header=BB2_1753 Depth=2
	v_and_b32_e32 v8, 7, v30
	v_lshrrev_b32_e32 v9, 3, v6
	v_cmp_gt_u32_e32 vcc, 8, v6
	v_ffbh_u32_e32 v6, v8
	v_min_u32_e32 v17, 32, v6
	v_subrev_u32_e32 v6, 28, v17
	v_lshlrev_b64 v[6:7], v6, v[30:31]
	v_sub_u32_e32 v7, 29, v17
	v_and_b32_e32 v6, 7, v6
	v_cndmask_b32_e32 v7, v9, v7, vcc
	v_cndmask_b32_e32 v6, v8, v6, vcc
	v_lshlrev_b32_e32 v8, 24, v32
	v_lshlrev_b32_e32 v6, 20, v6
	v_and_b32_e32 v8, 0x80000000, v8
	v_lshl_add_u32 v7, v7, 23, v3
	v_or3_b32 v48, v8, v7, v6
.LBB2_1976:                             ;   in Loop: Header=BB2_1753 Depth=2
	s_or_b64 exec, exec, s[90:91]
.LBB2_1977:                             ;   in Loop: Header=BB2_1753 Depth=2
	s_or_b64 exec, exec, s[88:89]
.LBB2_1978:                             ;   in Loop: Header=BB2_1753 Depth=2
	s_or_b64 exec, exec, s[20:21]
	v_add_f32_e32 v48, v49, v48
	v_and_b32_e32 v32, 0x7f800000, v48
	v_cmp_ne_u64_e32 vcc, s[56:57], v[32:33]
                                        ; implicit-def: $vgpr17
	s_and_saveexec_b64 s[20:21], vcc
	s_xor_b64 s[88:89], exec, s[20:21]
	s_cbranch_execz .LBB2_1996
; %bb.1979:                             ;   in Loop: Header=BB2_1753 Depth=2
	v_and_b32_e32 v32, 0x7fffffff, v48
	v_cmp_gt_u64_e32 vcc, s[58:59], v[32:33]
	v_and_b32_sdwa v30, v48, s53 dst_sel:DWORD dst_unused:UNUSED_PAD src0_sel:BYTE_3 src1_sel:DWORD
                                        ; implicit-def: $vgpr17
	s_and_saveexec_b64 s[20:21], vcc
	s_xor_b64 s[90:91], exec, s[20:21]
	s_cbranch_execz .LBB2_1993
; %bb.1980:                             ;   in Loop: Header=BB2_1753 Depth=2
	v_cmp_ne_u32_e32 vcc, 0, v48
	v_mov_b32_e32 v17, 0
	s_and_saveexec_b64 s[92:93], vcc
	s_cbranch_execz .LBB2_1992
; %bb.1981:                             ;   in Loop: Header=BB2_1753 Depth=2
	v_bfe_u32 v17, v48, 23, 8
	v_cmp_gt_u32_e64 s[20:21], s54, v17
	v_sub_u32_e32 v6, 0x79, v17
	v_and_b32_e32 v7, 0x7fffff, v48
	v_cmp_eq_u32_e32 vcc, 0, v17
	v_cndmask_b32_e64 v6, 0, v6, s[20:21]
	v_or_b32_e32 v8, 0x800000, v7
	v_cndmask_b32_e32 v6, v6, v47, vcc
	v_cndmask_b32_e32 v32, v8, v7, vcc
	v_add_u32_e32 v7, 20, v6
	v_lshlrev_b64 v[7:8], v7, -1
	v_add_u32_e32 v9, 19, v6
	v_lshlrev_b64 v[48:49], v9, 1
	v_bfi_b32 v8, v8, 0, 0
	v_bfi_b32 v7, v7, 0, v32
	v_cmp_eq_u64_e64 s[20:21], v[7:8], v[48:49]
	v_lshrrev_b64 v[48:49], v6, v[32:33]
	v_mov_b32_e32 v50, v49
	v_mov_b32_e32 v49, v48
	s_and_saveexec_b64 s[94:95], s[20:21]
; %bb.1982:                             ;   in Loop: Header=BB2_1753 Depth=2
	v_bfe_u32 v7, v48, 20, 1
	v_add_co_u32_e64 v7, s[20:21], v48, v7
	v_add_co_u32_e64 v49, s[20:21], -1, v7
; %bb.1983:                             ;   in Loop: Header=BB2_1753 Depth=2
	s_or_b64 exec, exec, s[94:95]
	v_add_u32_e32 v7, 0xffffff81, v17
	v_cndmask_b32_e32 v7, v7, v44, vcc
	v_lshrrev_b32_e32 v8, 23, v48
	v_add3_u32 v7, v6, v7, v8
	v_add_u32_e32 v6, 6, v7
	v_and_b32_e32 v8, 0xfffff, v49
	v_add_u32_e32 v32, v8, v48
	v_cmp_ne_u32_e32 vcc, 0, v6
                                        ; implicit-def: $vgpr48_vgpr49
                                        ; implicit-def: $vgpr50
	s_and_saveexec_b64 s[20:21], vcc
	s_xor_b64 s[20:21], exec, s[20:21]
; %bb.1984:                             ;   in Loop: Header=BB2_1753 Depth=2
	v_cmp_lt_u64_e32 vcc, s[60:61], v[32:33]
	v_add_u32_e32 v7, 7, v7
	v_cndmask_b32_e32 v50, v6, v7, vcc
	v_cndmask_b32_e64 v6, 0, 1, vcc
	v_lshrrev_b64 v[48:49], v6, v[32:33]
; %bb.1985:                             ;   in Loop: Header=BB2_1753 Depth=2
	s_andn2_saveexec_b64 s[20:21], s[20:21]
; %bb.1986:                             ;   in Loop: Header=BB2_1753 Depth=2
	v_mov_b32_e32 v49, v33
	v_bfe_u32 v50, v32, 23, 1
	v_mov_b32_e32 v48, v32
; %bb.1987:                             ;   in Loop: Header=BB2_1753 Depth=2
	s_or_b64 exec, exec, s[20:21]
	v_lshrrev_b64 v[6:7], 20, v[48:49]
	v_cmp_gt_i32_e32 vcc, 16, v50
	v_cndmask_b32_e32 v49, 0, v7, vcc
	v_cndmask_b32_e32 v48, 7, v6, vcc
	v_cmp_ne_u64_e32 vcc, 0, v[48:49]
	v_cmp_ne_u32_e64 s[20:21], 0, v50
	s_or_b64 s[20:21], s[20:21], vcc
                                        ; implicit-def: $vgpr17
	s_and_saveexec_b64 s[94:95], s[20:21]
	s_xor_b64 s[20:21], exec, s[94:95]
; %bb.1988:                             ;   in Loop: Header=BB2_1753 Depth=2
	v_min_i32_e32 v6, 15, v50
	v_lshl_or_b32 v6, v6, 3, v30
	v_and_or_b32 v17, v48, 7, v6
                                        ; implicit-def: $vgpr30
; %bb.1989:                             ;   in Loop: Header=BB2_1753 Depth=2
	s_andn2_saveexec_b64 s[20:21], s[20:21]
; %bb.1990:                             ;   in Loop: Header=BB2_1753 Depth=2
	v_mov_b32_e32 v17, v30
; %bb.1991:                             ;   in Loop: Header=BB2_1753 Depth=2
	s_or_b64 exec, exec, s[20:21]
.LBB2_1992:                             ;   in Loop: Header=BB2_1753 Depth=2
	s_or_b64 exec, exec, s[92:93]
                                        ; implicit-def: $vgpr30
.LBB2_1993:                             ;   in Loop: Header=BB2_1753 Depth=2
	s_andn2_saveexec_b64 s[20:21], s[90:91]
; %bb.1994:                             ;   in Loop: Header=BB2_1753 Depth=2
	v_or_b32_e32 v17, 0x7e, v30
; %bb.1995:                             ;   in Loop: Header=BB2_1753 Depth=2
	s_or_b64 exec, exec, s[20:21]
                                        ; implicit-def: $vgpr48
.LBB2_1996:                             ;   in Loop: Header=BB2_1753 Depth=2
	s_andn2_saveexec_b64 s[20:21], s[88:89]
; %bb.1997:                             ;   in Loop: Header=BB2_1753 Depth=2
	v_or_b32_sdwa v17, v48, s51 dst_sel:DWORD dst_unused:UNUSED_PAD src0_sel:BYTE_3 src1_sel:DWORD
; %bb.1998:                             ;   in Loop: Header=BB2_1753 Depth=2
	s_or_b64 exec, exec, s[20:21]
	v_and_b32_e32 v30, 0xff, v29
	v_cmp_ne_u16_e32 vcc, 0, v30
	v_mov_b32_e32 v32, 0
	v_mov_b32_e32 v48, 0
	s_and_saveexec_b64 s[20:21], vcc
	s_cbranch_execz .LBB2_2004
; %bb.1999:                             ;   in Loop: Header=BB2_1753 Depth=2
	v_cmp_ne_u16_e32 vcc, s53, v30
	v_bfrev_b32_e32 v48, 1
	s_and_saveexec_b64 s[88:89], vcc
	s_cbranch_execz .LBB2_2003
; %bb.2000:                             ;   in Loop: Header=BB2_1753 Depth=2
	v_and_b32_e32 v6, 0x7f, v29
	v_cmp_ne_u32_e32 vcc, s51, v6
	v_mov_b32_e32 v48, 0x7f800001
	s_and_saveexec_b64 s[90:91], vcc
	s_cbranch_execz .LBB2_2002
; %bb.2001:                             ;   in Loop: Header=BB2_1753 Depth=2
	v_and_b32_e32 v8, 7, v30
	v_lshrrev_b32_e32 v9, 3, v6
	v_cmp_gt_u32_e32 vcc, 8, v6
	v_ffbh_u32_e32 v6, v8
	v_min_u32_e32 v48, 32, v6
	v_subrev_u32_e32 v6, 28, v48
	v_lshlrev_b64 v[6:7], v6, v[30:31]
	v_sub_u32_e32 v7, 29, v48
	v_and_b32_e32 v6, 7, v6
	v_cndmask_b32_e32 v7, v9, v7, vcc
	v_cndmask_b32_e32 v6, v8, v6, vcc
	v_lshlrev_b32_e32 v8, 24, v29
	v_lshlrev_b32_e32 v6, 20, v6
	v_and_b32_e32 v8, 0x80000000, v8
	v_lshl_add_u32 v7, v7, 23, v3
	v_or3_b32 v48, v8, v7, v6
.LBB2_2002:                             ;   in Loop: Header=BB2_1753 Depth=2
	s_or_b64 exec, exec, s[90:91]
.LBB2_2003:                             ;   in Loop: Header=BB2_1753 Depth=2
	s_or_b64 exec, exec, s[88:89]
.LBB2_2004:                             ;   in Loop: Header=BB2_1753 Depth=2
	s_or_b64 exec, exec, s[20:21]
	v_and_b32_e32 v30, 0xff, v23
	v_cmp_ne_u16_e32 vcc, 0, v30
	s_and_saveexec_b64 s[20:21], vcc
	s_cbranch_execz .LBB2_2010
; %bb.2005:                             ;   in Loop: Header=BB2_1753 Depth=2
	v_cmp_ne_u16_e32 vcc, s53, v30
	v_bfrev_b32_e32 v32, 1
	s_and_saveexec_b64 s[88:89], vcc
	s_cbranch_execz .LBB2_2009
; %bb.2006:                             ;   in Loop: Header=BB2_1753 Depth=2
	v_and_b32_e32 v6, 0x7f, v23
	v_cmp_ne_u32_e32 vcc, s51, v6
	v_mov_b32_e32 v32, 0x7f800001
	s_and_saveexec_b64 s[90:91], vcc
	s_cbranch_execz .LBB2_2008
; %bb.2007:                             ;   in Loop: Header=BB2_1753 Depth=2
	v_and_b32_e32 v8, 7, v30
	v_lshrrev_b32_e32 v9, 3, v6
	v_cmp_gt_u32_e32 vcc, 8, v6
	v_ffbh_u32_e32 v6, v8
	v_min_u32_e32 v29, 32, v6
	v_subrev_u32_e32 v6, 28, v29
	v_lshlrev_b64 v[6:7], v6, v[30:31]
	v_sub_u32_e32 v7, 29, v29
	v_and_b32_e32 v6, 7, v6
	v_cndmask_b32_e32 v7, v9, v7, vcc
	v_cndmask_b32_e32 v6, v8, v6, vcc
	v_lshlrev_b32_e32 v8, 24, v23
	v_lshlrev_b32_e32 v6, 20, v6
	v_and_b32_e32 v8, 0x80000000, v8
	v_lshl_add_u32 v7, v7, 23, v3
	v_or3_b32 v32, v8, v7, v6
.LBB2_2008:                             ;   in Loop: Header=BB2_1753 Depth=2
	s_or_b64 exec, exec, s[90:91]
.LBB2_2009:                             ;   in Loop: Header=BB2_1753 Depth=2
	s_or_b64 exec, exec, s[88:89]
.LBB2_2010:                             ;   in Loop: Header=BB2_1753 Depth=2
	s_or_b64 exec, exec, s[20:21]
	v_add_f32_e32 v30, v48, v32
	v_and_b32_e32 v32, 0x7f800000, v30
	v_cmp_ne_u64_e32 vcc, s[56:57], v[32:33]
                                        ; implicit-def: $vgpr29
	s_and_saveexec_b64 s[20:21], vcc
	s_xor_b64 s[88:89], exec, s[20:21]
	s_cbranch_execz .LBB2_2028
; %bb.2011:                             ;   in Loop: Header=BB2_1753 Depth=2
	v_and_b32_e32 v32, 0x7fffffff, v30
	v_cmp_gt_u64_e32 vcc, s[58:59], v[32:33]
	v_and_b32_sdwa v23, v30, s53 dst_sel:DWORD dst_unused:UNUSED_PAD src0_sel:BYTE_3 src1_sel:DWORD
                                        ; implicit-def: $vgpr29
	s_and_saveexec_b64 s[20:21], vcc
	s_xor_b64 s[90:91], exec, s[20:21]
	s_cbranch_execz .LBB2_2025
; %bb.2012:                             ;   in Loop: Header=BB2_1753 Depth=2
	v_cmp_ne_u32_e32 vcc, 0, v30
	v_mov_b32_e32 v29, 0
	s_and_saveexec_b64 s[92:93], vcc
	s_cbranch_execz .LBB2_2024
; %bb.2013:                             ;   in Loop: Header=BB2_1753 Depth=2
	v_bfe_u32 v29, v30, 23, 8
	v_cmp_gt_u32_e64 s[20:21], s54, v29
	v_sub_u32_e32 v6, 0x79, v29
	v_and_b32_e32 v7, 0x7fffff, v30
	v_cmp_eq_u32_e32 vcc, 0, v29
	v_cndmask_b32_e64 v6, 0, v6, s[20:21]
	v_or_b32_e32 v8, 0x800000, v7
	v_cndmask_b32_e32 v6, v6, v47, vcc
	v_cndmask_b32_e32 v32, v8, v7, vcc
	v_add_u32_e32 v7, 20, v6
	v_lshlrev_b64 v[7:8], v7, -1
	v_add_u32_e32 v9, 19, v6
	v_lshlrev_b64 v[48:49], v9, 1
	v_bfi_b32 v8, v8, 0, 0
	v_bfi_b32 v7, v7, 0, v32
	v_cmp_eq_u64_e64 s[20:21], v[7:8], v[48:49]
	v_lshrrev_b64 v[48:49], v6, v[32:33]
	v_mov_b32_e32 v50, v49
	v_mov_b32_e32 v49, v48
	s_and_saveexec_b64 s[94:95], s[20:21]
; %bb.2014:                             ;   in Loop: Header=BB2_1753 Depth=2
	v_bfe_u32 v7, v48, 20, 1
	v_add_co_u32_e64 v7, s[20:21], v48, v7
	v_add_co_u32_e64 v49, s[20:21], -1, v7
; %bb.2015:                             ;   in Loop: Header=BB2_1753 Depth=2
	s_or_b64 exec, exec, s[94:95]
	v_add_u32_e32 v7, 0xffffff81, v29
	v_cndmask_b32_e32 v7, v7, v44, vcc
	v_lshrrev_b32_e32 v8, 23, v48
	v_add3_u32 v7, v6, v7, v8
	v_add_u32_e32 v6, 6, v7
	v_and_b32_e32 v8, 0xfffff, v49
	v_add_u32_e32 v32, v8, v48
	v_cmp_ne_u32_e32 vcc, 0, v6
                                        ; implicit-def: $vgpr48_vgpr49
                                        ; implicit-def: $vgpr30
	s_and_saveexec_b64 s[20:21], vcc
	s_xor_b64 s[20:21], exec, s[20:21]
; %bb.2016:                             ;   in Loop: Header=BB2_1753 Depth=2
	v_cmp_lt_u64_e32 vcc, s[60:61], v[32:33]
	v_add_u32_e32 v7, 7, v7
	v_cndmask_b32_e32 v30, v6, v7, vcc
	v_cndmask_b32_e64 v6, 0, 1, vcc
	v_lshrrev_b64 v[48:49], v6, v[32:33]
; %bb.2017:                             ;   in Loop: Header=BB2_1753 Depth=2
	s_andn2_saveexec_b64 s[20:21], s[20:21]
; %bb.2018:                             ;   in Loop: Header=BB2_1753 Depth=2
	v_mov_b32_e32 v49, v33
	v_bfe_u32 v30, v32, 23, 1
	v_mov_b32_e32 v48, v32
; %bb.2019:                             ;   in Loop: Header=BB2_1753 Depth=2
	s_or_b64 exec, exec, s[20:21]
	v_lshrrev_b64 v[6:7], 20, v[48:49]
	v_cmp_gt_i32_e32 vcc, 16, v30
	v_cndmask_b32_e32 v49, 0, v7, vcc
	v_cndmask_b32_e32 v48, 7, v6, vcc
	v_cmp_ne_u64_e32 vcc, 0, v[48:49]
	v_cmp_ne_u32_e64 s[20:21], 0, v30
	s_or_b64 s[20:21], s[20:21], vcc
                                        ; implicit-def: $vgpr29
	s_and_saveexec_b64 s[94:95], s[20:21]
	s_xor_b64 s[20:21], exec, s[94:95]
; %bb.2020:                             ;   in Loop: Header=BB2_1753 Depth=2
	v_min_i32_e32 v6, 15, v30
	v_lshl_or_b32 v6, v6, 3, v23
	v_and_or_b32 v29, v48, 7, v6
                                        ; implicit-def: $vgpr23
; %bb.2021:                             ;   in Loop: Header=BB2_1753 Depth=2
	s_andn2_saveexec_b64 s[20:21], s[20:21]
; %bb.2022:                             ;   in Loop: Header=BB2_1753 Depth=2
	v_mov_b32_e32 v29, v23
; %bb.2023:                             ;   in Loop: Header=BB2_1753 Depth=2
	s_or_b64 exec, exec, s[20:21]
.LBB2_2024:                             ;   in Loop: Header=BB2_1753 Depth=2
	s_or_b64 exec, exec, s[92:93]
                                        ; implicit-def: $vgpr23
.LBB2_2025:                             ;   in Loop: Header=BB2_1753 Depth=2
	s_andn2_saveexec_b64 s[20:21], s[90:91]
; %bb.2026:                             ;   in Loop: Header=BB2_1753 Depth=2
	v_or_b32_e32 v29, 0x7e, v23
; %bb.2027:                             ;   in Loop: Header=BB2_1753 Depth=2
	s_or_b64 exec, exec, s[20:21]
                                        ; implicit-def: $vgpr30
.LBB2_2028:                             ;   in Loop: Header=BB2_1753 Depth=2
	s_andn2_saveexec_b64 s[20:21], s[88:89]
; %bb.2029:                             ;   in Loop: Header=BB2_1753 Depth=2
	v_or_b32_sdwa v29, v30, s51 dst_sel:DWORD dst_unused:UNUSED_PAD src0_sel:BYTE_3 src1_sel:DWORD
; %bb.2030:                             ;   in Loop: Header=BB2_1753 Depth=2
	s_or_b64 exec, exec, s[20:21]
	v_and_b32_e32 v30, 0xff, v28
	v_cmp_ne_u16_e32 vcc, 0, v30
	v_mov_b32_e32 v23, 0
	v_mov_b32_e32 v32, 0
	s_and_saveexec_b64 s[20:21], vcc
	s_cbranch_execz .LBB2_2036
; %bb.2031:                             ;   in Loop: Header=BB2_1753 Depth=2
	v_cmp_ne_u16_e32 vcc, s53, v30
	v_bfrev_b32_e32 v32, 1
	s_and_saveexec_b64 s[88:89], vcc
	s_cbranch_execz .LBB2_2035
; %bb.2032:                             ;   in Loop: Header=BB2_1753 Depth=2
	v_and_b32_e32 v6, 0x7f, v28
	v_cmp_ne_u32_e32 vcc, s51, v6
	v_mov_b32_e32 v32, 0x7f800001
	s_and_saveexec_b64 s[90:91], vcc
	s_cbranch_execz .LBB2_2034
; %bb.2033:                             ;   in Loop: Header=BB2_1753 Depth=2
	v_and_b32_e32 v8, 7, v30
	v_lshrrev_b32_e32 v9, 3, v6
	v_cmp_gt_u32_e32 vcc, 8, v6
	v_ffbh_u32_e32 v6, v8
	v_min_u32_e32 v32, 32, v6
	v_subrev_u32_e32 v6, 28, v32
	v_lshlrev_b64 v[6:7], v6, v[30:31]
	v_sub_u32_e32 v7, 29, v32
	v_and_b32_e32 v6, 7, v6
	v_cndmask_b32_e32 v7, v9, v7, vcc
	v_cndmask_b32_e32 v6, v8, v6, vcc
	v_lshlrev_b32_e32 v8, 24, v28
	v_lshlrev_b32_e32 v6, 20, v6
	v_and_b32_e32 v8, 0x80000000, v8
	v_lshl_add_u32 v7, v7, 23, v3
	v_or3_b32 v32, v8, v7, v6
.LBB2_2034:                             ;   in Loop: Header=BB2_1753 Depth=2
	s_or_b64 exec, exec, s[90:91]
.LBB2_2035:                             ;   in Loop: Header=BB2_1753 Depth=2
	s_or_b64 exec, exec, s[88:89]
.LBB2_2036:                             ;   in Loop: Header=BB2_1753 Depth=2
	s_or_b64 exec, exec, s[20:21]
	v_and_b32_e32 v30, 0xff, v22
	v_cmp_ne_u16_e32 vcc, 0, v30
	s_and_saveexec_b64 s[20:21], vcc
	s_cbranch_execz .LBB2_2042
; %bb.2037:                             ;   in Loop: Header=BB2_1753 Depth=2
	v_cmp_ne_u16_e32 vcc, s53, v30
	v_bfrev_b32_e32 v23, 1
	s_and_saveexec_b64 s[88:89], vcc
	s_cbranch_execz .LBB2_2041
; %bb.2038:                             ;   in Loop: Header=BB2_1753 Depth=2
	v_and_b32_e32 v6, 0x7f, v22
	v_cmp_ne_u32_e32 vcc, s51, v6
	v_mov_b32_e32 v23, 0x7f800001
	s_and_saveexec_b64 s[90:91], vcc
	s_cbranch_execz .LBB2_2040
; %bb.2039:                             ;   in Loop: Header=BB2_1753 Depth=2
	v_and_b32_e32 v8, 7, v30
	v_lshrrev_b32_e32 v9, 3, v6
	v_cmp_gt_u32_e32 vcc, 8, v6
	v_ffbh_u32_e32 v6, v8
	v_min_u32_e32 v23, 32, v6
	v_subrev_u32_e32 v6, 28, v23
	v_lshlrev_b64 v[6:7], v6, v[30:31]
	v_sub_u32_e32 v7, 29, v23
	v_and_b32_e32 v6, 7, v6
	v_cndmask_b32_e32 v7, v9, v7, vcc
	v_cndmask_b32_e32 v6, v8, v6, vcc
	v_lshlrev_b32_e32 v8, 24, v22
	v_lshlrev_b32_e32 v6, 20, v6
	v_and_b32_e32 v8, 0x80000000, v8
	v_lshl_add_u32 v7, v7, 23, v3
	v_or3_b32 v23, v8, v7, v6
.LBB2_2040:                             ;   in Loop: Header=BB2_1753 Depth=2
	s_or_b64 exec, exec, s[90:91]
.LBB2_2041:                             ;   in Loop: Header=BB2_1753 Depth=2
	s_or_b64 exec, exec, s[88:89]
.LBB2_2042:                             ;   in Loop: Header=BB2_1753 Depth=2
	s_or_b64 exec, exec, s[20:21]
	v_add_f32_e32 v23, v32, v23
	v_and_b32_e32 v32, 0x7f800000, v23
	v_cmp_ne_u64_e32 vcc, s[56:57], v[32:33]
                                        ; implicit-def: $vgpr28
	s_and_saveexec_b64 s[20:21], vcc
	s_xor_b64 s[88:89], exec, s[20:21]
	s_cbranch_execz .LBB2_2060
; %bb.2043:                             ;   in Loop: Header=BB2_1753 Depth=2
	v_and_b32_e32 v32, 0x7fffffff, v23
	v_cmp_gt_u64_e32 vcc, s[58:59], v[32:33]
	v_and_b32_sdwa v22, v23, s53 dst_sel:DWORD dst_unused:UNUSED_PAD src0_sel:BYTE_3 src1_sel:DWORD
                                        ; implicit-def: $vgpr28
	s_and_saveexec_b64 s[20:21], vcc
	s_xor_b64 s[90:91], exec, s[20:21]
	s_cbranch_execz .LBB2_2057
; %bb.2044:                             ;   in Loop: Header=BB2_1753 Depth=2
	v_cmp_ne_u32_e32 vcc, 0, v23
	v_mov_b32_e32 v28, 0
	s_and_saveexec_b64 s[92:93], vcc
	s_cbranch_execz .LBB2_2056
; %bb.2045:                             ;   in Loop: Header=BB2_1753 Depth=2
	v_and_b32_e32 v7, 0x7fffff, v23
	v_bfe_u32 v23, v23, 23, 8
	v_cmp_gt_u32_e64 s[20:21], s54, v23
	v_sub_u32_e32 v6, 0x79, v23
	v_cmp_eq_u32_e32 vcc, 0, v23
	v_cndmask_b32_e64 v6, 0, v6, s[20:21]
	v_or_b32_e32 v8, 0x800000, v7
	v_cndmask_b32_e32 v6, v6, v47, vcc
	v_cndmask_b32_e32 v32, v8, v7, vcc
	v_add_u32_e32 v7, 20, v6
	v_lshlrev_b64 v[7:8], v7, -1
	v_add_u32_e32 v9, 19, v6
	v_lshlrev_b64 v[48:49], v9, 1
	v_bfi_b32 v8, v8, 0, 0
	v_bfi_b32 v7, v7, 0, v32
	v_cmp_eq_u64_e64 s[20:21], v[7:8], v[48:49]
	v_lshrrev_b64 v[48:49], v6, v[32:33]
	v_mov_b32_e32 v50, v49
	v_mov_b32_e32 v49, v48
	s_and_saveexec_b64 s[94:95], s[20:21]
; %bb.2046:                             ;   in Loop: Header=BB2_1753 Depth=2
	v_bfe_u32 v7, v48, 20, 1
	v_add_co_u32_e64 v7, s[20:21], v48, v7
	v_add_co_u32_e64 v49, s[20:21], -1, v7
; %bb.2047:                             ;   in Loop: Header=BB2_1753 Depth=2
	s_or_b64 exec, exec, s[94:95]
	v_add_u32_e32 v7, 0xffffff81, v23
	v_cndmask_b32_e32 v7, v7, v44, vcc
	v_lshrrev_b32_e32 v8, 23, v48
	v_add3_u32 v7, v6, v7, v8
	v_add_u32_e32 v6, 6, v7
	v_and_b32_e32 v8, 0xfffff, v49
	v_add_u32_e32 v32, v8, v48
	v_cmp_ne_u32_e32 vcc, 0, v6
                                        ; implicit-def: $vgpr48_vgpr49
                                        ; implicit-def: $vgpr23
	s_and_saveexec_b64 s[20:21], vcc
	s_xor_b64 s[20:21], exec, s[20:21]
; %bb.2048:                             ;   in Loop: Header=BB2_1753 Depth=2
	v_cmp_lt_u64_e32 vcc, s[60:61], v[32:33]
	v_add_u32_e32 v7, 7, v7
	v_cndmask_b32_e32 v23, v6, v7, vcc
	v_cndmask_b32_e64 v6, 0, 1, vcc
	v_lshrrev_b64 v[48:49], v6, v[32:33]
; %bb.2049:                             ;   in Loop: Header=BB2_1753 Depth=2
	s_andn2_saveexec_b64 s[20:21], s[20:21]
; %bb.2050:                             ;   in Loop: Header=BB2_1753 Depth=2
	v_mov_b32_e32 v49, v33
	v_bfe_u32 v23, v32, 23, 1
	v_mov_b32_e32 v48, v32
; %bb.2051:                             ;   in Loop: Header=BB2_1753 Depth=2
	s_or_b64 exec, exec, s[20:21]
	v_lshrrev_b64 v[6:7], 20, v[48:49]
	v_cmp_gt_i32_e32 vcc, 16, v23
	v_cndmask_b32_e32 v49, 0, v7, vcc
	v_cndmask_b32_e32 v48, 7, v6, vcc
	v_cmp_ne_u64_e32 vcc, 0, v[48:49]
	v_cmp_ne_u32_e64 s[20:21], 0, v23
	s_or_b64 s[20:21], s[20:21], vcc
                                        ; implicit-def: $vgpr28
	s_and_saveexec_b64 s[94:95], s[20:21]
	s_xor_b64 s[20:21], exec, s[94:95]
; %bb.2052:                             ;   in Loop: Header=BB2_1753 Depth=2
	v_min_i32_e32 v6, 15, v23
	v_lshl_or_b32 v6, v6, 3, v22
	v_and_or_b32 v28, v48, 7, v6
                                        ; implicit-def: $vgpr22
; %bb.2053:                             ;   in Loop: Header=BB2_1753 Depth=2
	s_andn2_saveexec_b64 s[20:21], s[20:21]
; %bb.2054:                             ;   in Loop: Header=BB2_1753 Depth=2
	v_mov_b32_e32 v28, v22
; %bb.2055:                             ;   in Loop: Header=BB2_1753 Depth=2
	s_or_b64 exec, exec, s[20:21]
.LBB2_2056:                             ;   in Loop: Header=BB2_1753 Depth=2
	s_or_b64 exec, exec, s[92:93]
                                        ; implicit-def: $vgpr22
.LBB2_2057:                             ;   in Loop: Header=BB2_1753 Depth=2
	s_andn2_saveexec_b64 s[20:21], s[90:91]
; %bb.2058:                             ;   in Loop: Header=BB2_1753 Depth=2
	v_or_b32_e32 v28, 0x7e, v22
; %bb.2059:                             ;   in Loop: Header=BB2_1753 Depth=2
	s_or_b64 exec, exec, s[20:21]
                                        ; implicit-def: $vgpr23
.LBB2_2060:                             ;   in Loop: Header=BB2_1753 Depth=2
	s_andn2_saveexec_b64 s[20:21], s[88:89]
; %bb.2061:                             ;   in Loop: Header=BB2_1753 Depth=2
	v_or_b32_sdwa v28, v23, s51 dst_sel:DWORD dst_unused:UNUSED_PAD src0_sel:BYTE_3 src1_sel:DWORD
; %bb.2062:                             ;   in Loop: Header=BB2_1753 Depth=2
	s_or_b64 exec, exec, s[20:21]
	v_and_b32_e32 v30, 0xff, v27
	v_cmp_ne_u16_e32 vcc, 0, v30
	v_mov_b32_e32 v22, 0
	v_mov_b32_e32 v23, 0
	s_and_saveexec_b64 s[20:21], vcc
	s_cbranch_execz .LBB2_2068
; %bb.2063:                             ;   in Loop: Header=BB2_1753 Depth=2
	v_cmp_ne_u16_e32 vcc, s53, v30
	v_bfrev_b32_e32 v23, 1
	s_and_saveexec_b64 s[88:89], vcc
	s_cbranch_execz .LBB2_2067
; %bb.2064:                             ;   in Loop: Header=BB2_1753 Depth=2
	v_and_b32_e32 v6, 0x7f, v27
	v_cmp_ne_u32_e32 vcc, s51, v6
	v_mov_b32_e32 v23, 0x7f800001
	s_and_saveexec_b64 s[90:91], vcc
	s_cbranch_execz .LBB2_2066
; %bb.2065:                             ;   in Loop: Header=BB2_1753 Depth=2
	v_and_b32_e32 v8, 7, v30
	v_lshrrev_b32_e32 v9, 3, v6
	v_cmp_gt_u32_e32 vcc, 8, v6
	v_ffbh_u32_e32 v6, v8
	v_min_u32_e32 v23, 32, v6
	v_subrev_u32_e32 v6, 28, v23
	v_lshlrev_b64 v[6:7], v6, v[30:31]
	v_sub_u32_e32 v7, 29, v23
	v_and_b32_e32 v6, 7, v6
	v_cndmask_b32_e32 v7, v9, v7, vcc
	v_cndmask_b32_e32 v6, v8, v6, vcc
	v_lshlrev_b32_e32 v8, 24, v27
	v_lshlrev_b32_e32 v6, 20, v6
	v_and_b32_e32 v8, 0x80000000, v8
	v_lshl_add_u32 v7, v7, 23, v3
	v_or3_b32 v23, v8, v7, v6
.LBB2_2066:                             ;   in Loop: Header=BB2_1753 Depth=2
	s_or_b64 exec, exec, s[90:91]
.LBB2_2067:                             ;   in Loop: Header=BB2_1753 Depth=2
	s_or_b64 exec, exec, s[88:89]
.LBB2_2068:                             ;   in Loop: Header=BB2_1753 Depth=2
	s_or_b64 exec, exec, s[20:21]
	v_and_b32_e32 v30, 0xff, v4
	v_cmp_ne_u16_e32 vcc, 0, v30
	s_and_saveexec_b64 s[20:21], vcc
	s_cbranch_execz .LBB2_2074
; %bb.2069:                             ;   in Loop: Header=BB2_1753 Depth=2
	v_cmp_ne_u16_e32 vcc, s53, v30
	v_bfrev_b32_e32 v22, 1
	s_and_saveexec_b64 s[88:89], vcc
	s_cbranch_execz .LBB2_2073
; %bb.2070:                             ;   in Loop: Header=BB2_1753 Depth=2
	v_and_b32_e32 v6, 0x7f, v4
	v_cmp_ne_u32_e32 vcc, s51, v6
	v_mov_b32_e32 v22, 0x7f800001
	s_and_saveexec_b64 s[90:91], vcc
	s_cbranch_execz .LBB2_2072
; %bb.2071:                             ;   in Loop: Header=BB2_1753 Depth=2
	v_and_b32_e32 v8, 7, v30
	v_lshrrev_b32_e32 v9, 3, v6
	v_cmp_gt_u32_e32 vcc, 8, v6
	v_ffbh_u32_e32 v6, v8
	v_min_u32_e32 v22, 32, v6
	v_subrev_u32_e32 v6, 28, v22
	v_lshlrev_b64 v[6:7], v6, v[30:31]
	v_sub_u32_e32 v7, 29, v22
	v_and_b32_e32 v6, 7, v6
	v_cndmask_b32_e32 v7, v9, v7, vcc
	v_cndmask_b32_e32 v6, v8, v6, vcc
	v_lshlrev_b32_e32 v4, 24, v4
	v_lshlrev_b32_e32 v6, 20, v6
	v_and_b32_e32 v4, 0x80000000, v4
	v_lshl_add_u32 v7, v7, 23, v3
	v_or3_b32 v22, v4, v7, v6
.LBB2_2072:                             ;   in Loop: Header=BB2_1753 Depth=2
	s_or_b64 exec, exec, s[90:91]
.LBB2_2073:                             ;   in Loop: Header=BB2_1753 Depth=2
	s_or_b64 exec, exec, s[88:89]
.LBB2_2074:                             ;   in Loop: Header=BB2_1753 Depth=2
	s_or_b64 exec, exec, s[20:21]
	v_add_f32_e32 v23, v23, v22
	v_and_b32_e32 v32, 0x7f800000, v23
	v_cmp_ne_u64_e32 vcc, s[56:57], v[32:33]
                                        ; implicit-def: $vgpr4
	s_and_saveexec_b64 s[20:21], vcc
	s_xor_b64 s[88:89], exec, s[20:21]
	s_cbranch_execz .LBB2_2092
; %bb.2075:                             ;   in Loop: Header=BB2_1753 Depth=2
	v_and_b32_e32 v32, 0x7fffffff, v23
	v_cmp_gt_u64_e32 vcc, s[58:59], v[32:33]
	v_and_b32_sdwa v22, v23, s53 dst_sel:DWORD dst_unused:UNUSED_PAD src0_sel:BYTE_3 src1_sel:DWORD
                                        ; implicit-def: $vgpr4
	s_and_saveexec_b64 s[20:21], vcc
	s_xor_b64 s[90:91], exec, s[20:21]
	s_cbranch_execz .LBB2_2089
; %bb.2076:                             ;   in Loop: Header=BB2_1753 Depth=2
	v_cmp_ne_u32_e32 vcc, 0, v23
	v_mov_b32_e32 v4, 0
	s_and_saveexec_b64 s[92:93], vcc
	s_cbranch_execz .LBB2_2088
; %bb.2077:                             ;   in Loop: Header=BB2_1753 Depth=2
	v_bfe_u32 v4, v23, 23, 8
	v_cmp_gt_u32_e64 s[20:21], s54, v4
	v_sub_u32_e32 v6, 0x79, v4
	v_and_b32_e32 v7, 0x7fffff, v23
	v_cmp_eq_u32_e32 vcc, 0, v4
	v_cndmask_b32_e64 v6, 0, v6, s[20:21]
	v_or_b32_e32 v8, 0x800000, v7
	v_cndmask_b32_e32 v6, v6, v47, vcc
	v_cndmask_b32_e32 v32, v8, v7, vcc
	v_add_u32_e32 v7, 20, v6
	v_lshlrev_b64 v[7:8], v7, -1
	v_add_u32_e32 v9, 19, v6
	v_lshlrev_b64 v[48:49], v9, 1
	v_bfi_b32 v8, v8, 0, 0
	v_bfi_b32 v7, v7, 0, v32
	v_cmp_eq_u64_e64 s[20:21], v[7:8], v[48:49]
	v_lshrrev_b64 v[48:49], v6, v[32:33]
	v_mov_b32_e32 v50, v49
	v_mov_b32_e32 v49, v48
	s_and_saveexec_b64 s[94:95], s[20:21]
; %bb.2078:                             ;   in Loop: Header=BB2_1753 Depth=2
	v_bfe_u32 v7, v48, 20, 1
	v_add_co_u32_e64 v7, s[20:21], v48, v7
	v_add_co_u32_e64 v49, s[20:21], -1, v7
; %bb.2079:                             ;   in Loop: Header=BB2_1753 Depth=2
	s_or_b64 exec, exec, s[94:95]
	v_add_u32_e32 v4, 0xffffff81, v4
	v_cndmask_b32_e32 v4, v4, v44, vcc
	v_lshrrev_b32_e32 v7, 23, v48
	v_add3_u32 v6, v6, v4, v7
	v_add_u32_e32 v4, 6, v6
	v_and_b32_e32 v7, 0xfffff, v49
	v_add_u32_e32 v32, v7, v48
	v_cmp_ne_u32_e32 vcc, 0, v4
                                        ; implicit-def: $vgpr48_vgpr49
                                        ; implicit-def: $vgpr23
	s_and_saveexec_b64 s[20:21], vcc
	s_xor_b64 s[20:21], exec, s[20:21]
; %bb.2080:                             ;   in Loop: Header=BB2_1753 Depth=2
	v_cmp_lt_u64_e32 vcc, s[60:61], v[32:33]
	v_add_u32_e32 v6, 7, v6
	v_cndmask_b32_e32 v23, v4, v6, vcc
	v_cndmask_b32_e64 v4, 0, 1, vcc
	v_lshrrev_b64 v[48:49], v4, v[32:33]
; %bb.2081:                             ;   in Loop: Header=BB2_1753 Depth=2
	s_andn2_saveexec_b64 s[20:21], s[20:21]
; %bb.2082:                             ;   in Loop: Header=BB2_1753 Depth=2
	v_mov_b32_e32 v49, v33
	v_bfe_u32 v23, v32, 23, 1
	v_mov_b32_e32 v48, v32
; %bb.2083:                             ;   in Loop: Header=BB2_1753 Depth=2
	s_or_b64 exec, exec, s[20:21]
	v_lshrrev_b64 v[6:7], 20, v[48:49]
	v_cmp_gt_i32_e32 vcc, 16, v23
	v_cndmask_b32_e32 v49, 0, v7, vcc
	v_cndmask_b32_e32 v48, 7, v6, vcc
	v_cmp_ne_u64_e32 vcc, 0, v[48:49]
	v_cmp_ne_u32_e64 s[20:21], 0, v23
	s_or_b64 s[20:21], s[20:21], vcc
                                        ; implicit-def: $vgpr4
	s_and_saveexec_b64 s[94:95], s[20:21]
	s_xor_b64 s[20:21], exec, s[94:95]
; %bb.2084:                             ;   in Loop: Header=BB2_1753 Depth=2
	v_min_i32_e32 v4, 15, v23
	v_lshl_or_b32 v4, v4, 3, v22
	v_and_or_b32 v4, v48, 7, v4
                                        ; implicit-def: $vgpr22
; %bb.2085:                             ;   in Loop: Header=BB2_1753 Depth=2
	s_andn2_saveexec_b64 s[20:21], s[20:21]
; %bb.2086:                             ;   in Loop: Header=BB2_1753 Depth=2
	v_mov_b32_e32 v4, v22
; %bb.2087:                             ;   in Loop: Header=BB2_1753 Depth=2
	s_or_b64 exec, exec, s[20:21]
.LBB2_2088:                             ;   in Loop: Header=BB2_1753 Depth=2
	s_or_b64 exec, exec, s[92:93]
                                        ; implicit-def: $vgpr22
.LBB2_2089:                             ;   in Loop: Header=BB2_1753 Depth=2
	s_andn2_saveexec_b64 s[20:21], s[90:91]
; %bb.2090:                             ;   in Loop: Header=BB2_1753 Depth=2
	v_or_b32_e32 v4, 0x7e, v22
; %bb.2091:                             ;   in Loop: Header=BB2_1753 Depth=2
	s_or_b64 exec, exec, s[20:21]
                                        ; implicit-def: $vgpr23
.LBB2_2092:                             ;   in Loop: Header=BB2_1753 Depth=2
	s_andn2_saveexec_b64 s[20:21], s[88:89]
; %bb.2093:                             ;   in Loop: Header=BB2_1753 Depth=2
	v_or_b32_sdwa v4, v23, s51 dst_sel:DWORD dst_unused:UNUSED_PAD src0_sel:BYTE_3 src1_sel:DWORD
; %bb.2094:                             ;   in Loop: Header=BB2_1753 Depth=2
	s_or_b64 exec, exec, s[20:21]
	v_and_b32_e32 v30, 0xff, v26
	v_cmp_ne_u16_e32 vcc, 0, v30
	v_mov_b32_e32 v22, 0
	v_mov_b32_e32 v23, 0
	s_and_saveexec_b64 s[20:21], vcc
	s_cbranch_execz .LBB2_2100
; %bb.2095:                             ;   in Loop: Header=BB2_1753 Depth=2
	v_cmp_ne_u16_e32 vcc, s53, v30
	v_bfrev_b32_e32 v23, 1
	s_and_saveexec_b64 s[88:89], vcc
	s_cbranch_execz .LBB2_2099
; %bb.2096:                             ;   in Loop: Header=BB2_1753 Depth=2
	v_and_b32_e32 v6, 0x7f, v26
	v_cmp_ne_u32_e32 vcc, s51, v6
	v_mov_b32_e32 v23, 0x7f800001
	s_and_saveexec_b64 s[90:91], vcc
	s_cbranch_execz .LBB2_2098
; %bb.2097:                             ;   in Loop: Header=BB2_1753 Depth=2
	v_and_b32_e32 v8, 7, v30
	v_lshrrev_b32_e32 v9, 3, v6
	v_cmp_gt_u32_e32 vcc, 8, v6
	v_ffbh_u32_e32 v6, v8
	v_min_u32_e32 v23, 32, v6
	v_subrev_u32_e32 v6, 28, v23
	v_lshlrev_b64 v[6:7], v6, v[30:31]
	v_sub_u32_e32 v7, 29, v23
	v_and_b32_e32 v6, 7, v6
	v_cndmask_b32_e32 v7, v9, v7, vcc
	v_cndmask_b32_e32 v6, v8, v6, vcc
	v_lshlrev_b32_e32 v8, 24, v26
	v_lshlrev_b32_e32 v6, 20, v6
	v_and_b32_e32 v8, 0x80000000, v8
	v_lshl_add_u32 v7, v7, 23, v3
	v_or3_b32 v23, v8, v7, v6
.LBB2_2098:                             ;   in Loop: Header=BB2_1753 Depth=2
	s_or_b64 exec, exec, s[90:91]
.LBB2_2099:                             ;   in Loop: Header=BB2_1753 Depth=2
	s_or_b64 exec, exec, s[88:89]
.LBB2_2100:                             ;   in Loop: Header=BB2_1753 Depth=2
	s_or_b64 exec, exec, s[20:21]
	v_and_b32_e32 v30, 0xff, v5
	v_cmp_ne_u16_e32 vcc, 0, v30
	s_and_saveexec_b64 s[20:21], vcc
	s_cbranch_execz .LBB2_2106
; %bb.2101:                             ;   in Loop: Header=BB2_1753 Depth=2
	v_cmp_ne_u16_e32 vcc, s53, v30
	v_bfrev_b32_e32 v22, 1
	s_and_saveexec_b64 s[88:89], vcc
	s_cbranch_execz .LBB2_2105
; %bb.2102:                             ;   in Loop: Header=BB2_1753 Depth=2
	v_and_b32_e32 v6, 0x7f, v5
	v_cmp_ne_u32_e32 vcc, s51, v6
	v_mov_b32_e32 v22, 0x7f800001
	s_and_saveexec_b64 s[90:91], vcc
	s_cbranch_execz .LBB2_2104
; %bb.2103:                             ;   in Loop: Header=BB2_1753 Depth=2
	v_and_b32_e32 v8, 7, v30
	v_lshrrev_b32_e32 v9, 3, v6
	v_cmp_gt_u32_e32 vcc, 8, v6
	v_ffbh_u32_e32 v6, v8
	v_min_u32_e32 v22, 32, v6
	v_subrev_u32_e32 v6, 28, v22
	v_lshlrev_b64 v[6:7], v6, v[30:31]
	v_sub_u32_e32 v7, 29, v22
	v_and_b32_e32 v6, 7, v6
	v_cndmask_b32_e32 v7, v9, v7, vcc
	v_cndmask_b32_e32 v6, v8, v6, vcc
	v_lshlrev_b32_e32 v5, 24, v5
	v_lshlrev_b32_e32 v6, 20, v6
	v_and_b32_e32 v5, 0x80000000, v5
	v_lshl_add_u32 v7, v7, 23, v3
	v_or3_b32 v22, v5, v7, v6
.LBB2_2104:                             ;   in Loop: Header=BB2_1753 Depth=2
	s_or_b64 exec, exec, s[90:91]
.LBB2_2105:                             ;   in Loop: Header=BB2_1753 Depth=2
	s_or_b64 exec, exec, s[88:89]
.LBB2_2106:                             ;   in Loop: Header=BB2_1753 Depth=2
	s_or_b64 exec, exec, s[20:21]
	v_add_f32_e32 v23, v23, v22
	v_and_b32_e32 v32, 0x7f800000, v23
	v_cmp_ne_u64_e32 vcc, s[56:57], v[32:33]
                                        ; implicit-def: $vgpr5
	s_and_saveexec_b64 s[20:21], vcc
	s_xor_b64 s[88:89], exec, s[20:21]
	s_cbranch_execz .LBB2_2124
; %bb.2107:                             ;   in Loop: Header=BB2_1753 Depth=2
	v_and_b32_e32 v32, 0x7fffffff, v23
	v_cmp_gt_u64_e32 vcc, s[58:59], v[32:33]
	v_and_b32_sdwa v22, v23, s53 dst_sel:DWORD dst_unused:UNUSED_PAD src0_sel:BYTE_3 src1_sel:DWORD
                                        ; implicit-def: $vgpr5
	s_and_saveexec_b64 s[20:21], vcc
	s_xor_b64 s[90:91], exec, s[20:21]
	s_cbranch_execz .LBB2_2121
; %bb.2108:                             ;   in Loop: Header=BB2_1753 Depth=2
	v_cmp_ne_u32_e32 vcc, 0, v23
	v_mov_b32_e32 v5, 0
	s_and_saveexec_b64 s[92:93], vcc
	s_cbranch_execz .LBB2_2120
; %bb.2109:                             ;   in Loop: Header=BB2_1753 Depth=2
	v_bfe_u32 v5, v23, 23, 8
	v_cmp_gt_u32_e64 s[20:21], s54, v5
	v_sub_u32_e32 v6, 0x79, v5
	v_and_b32_e32 v7, 0x7fffff, v23
	v_cmp_eq_u32_e32 vcc, 0, v5
	v_cndmask_b32_e64 v6, 0, v6, s[20:21]
	v_or_b32_e32 v8, 0x800000, v7
	v_cndmask_b32_e32 v6, v6, v47, vcc
	v_cndmask_b32_e32 v32, v8, v7, vcc
	v_add_u32_e32 v7, 20, v6
	v_lshlrev_b64 v[7:8], v7, -1
	v_add_u32_e32 v9, 19, v6
	v_lshlrev_b64 v[26:27], v9, 1
	v_lshrrev_b64 v[48:49], v6, v[32:33]
	v_bfi_b32 v8, v8, 0, 0
	v_bfi_b32 v7, v7, 0, v32
	v_cmp_eq_u64_e64 s[20:21], v[7:8], v[26:27]
	v_mov_b32_e32 v50, v49
	v_mov_b32_e32 v49, v48
	s_and_saveexec_b64 s[94:95], s[20:21]
; %bb.2110:                             ;   in Loop: Header=BB2_1753 Depth=2
	v_bfe_u32 v7, v48, 20, 1
	v_add_co_u32_e64 v7, s[20:21], v48, v7
	v_add_co_u32_e64 v49, s[20:21], -1, v7
; %bb.2111:                             ;   in Loop: Header=BB2_1753 Depth=2
	s_or_b64 exec, exec, s[94:95]
	v_add_u32_e32 v5, 0xffffff81, v5
	v_cndmask_b32_e32 v5, v5, v44, vcc
	v_lshrrev_b32_e32 v7, 23, v48
	v_add3_u32 v6, v6, v5, v7
	v_add_u32_e32 v5, 6, v6
	v_and_b32_e32 v7, 0xfffff, v49
	v_add_u32_e32 v32, v7, v48
	v_cmp_ne_u32_e32 vcc, 0, v5
                                        ; implicit-def: $vgpr48_vgpr49
                                        ; implicit-def: $vgpr23
	s_and_saveexec_b64 s[20:21], vcc
	s_xor_b64 s[20:21], exec, s[20:21]
; %bb.2112:                             ;   in Loop: Header=BB2_1753 Depth=2
	v_cmp_lt_u64_e32 vcc, s[60:61], v[32:33]
	v_add_u32_e32 v6, 7, v6
	v_cndmask_b32_e32 v23, v5, v6, vcc
	v_cndmask_b32_e64 v5, 0, 1, vcc
	v_lshrrev_b64 v[48:49], v5, v[32:33]
; %bb.2113:                             ;   in Loop: Header=BB2_1753 Depth=2
	s_andn2_saveexec_b64 s[20:21], s[20:21]
; %bb.2114:                             ;   in Loop: Header=BB2_1753 Depth=2
	v_mov_b32_e32 v49, v33
	v_bfe_u32 v23, v32, 23, 1
	v_mov_b32_e32 v48, v32
; %bb.2115:                             ;   in Loop: Header=BB2_1753 Depth=2
	s_or_b64 exec, exec, s[20:21]
	v_lshrrev_b64 v[5:6], 20, v[48:49]
	v_cmp_gt_i32_e32 vcc, 16, v23
	v_cndmask_b32_e32 v49, 0, v6, vcc
	v_cndmask_b32_e32 v48, 7, v5, vcc
	v_cmp_ne_u64_e32 vcc, 0, v[48:49]
	v_cmp_ne_u32_e64 s[20:21], 0, v23
	s_or_b64 s[20:21], s[20:21], vcc
                                        ; implicit-def: $vgpr5
	s_and_saveexec_b64 s[94:95], s[20:21]
	s_xor_b64 s[20:21], exec, s[94:95]
; %bb.2116:                             ;   in Loop: Header=BB2_1753 Depth=2
	v_min_i32_e32 v5, 15, v23
	v_lshl_or_b32 v5, v5, 3, v22
	v_and_or_b32 v5, v48, 7, v5
                                        ; implicit-def: $vgpr22
; %bb.2117:                             ;   in Loop: Header=BB2_1753 Depth=2
	s_andn2_saveexec_b64 s[20:21], s[20:21]
; %bb.2118:                             ;   in Loop: Header=BB2_1753 Depth=2
	v_mov_b32_e32 v5, v22
; %bb.2119:                             ;   in Loop: Header=BB2_1753 Depth=2
	s_or_b64 exec, exec, s[20:21]
.LBB2_2120:                             ;   in Loop: Header=BB2_1753 Depth=2
	s_or_b64 exec, exec, s[92:93]
                                        ; implicit-def: $vgpr22
.LBB2_2121:                             ;   in Loop: Header=BB2_1753 Depth=2
	s_andn2_saveexec_b64 s[20:21], s[90:91]
; %bb.2122:                             ;   in Loop: Header=BB2_1753 Depth=2
	v_or_b32_e32 v5, 0x7e, v22
; %bb.2123:                             ;   in Loop: Header=BB2_1753 Depth=2
	s_or_b64 exec, exec, s[20:21]
                                        ; implicit-def: $vgpr23
.LBB2_2124:                             ;   in Loop: Header=BB2_1753 Depth=2
	s_andn2_saveexec_b64 s[20:21], s[88:89]
; %bb.2125:                             ;   in Loop: Header=BB2_1753 Depth=2
	v_or_b32_sdwa v5, v23, s51 dst_sel:DWORD dst_unused:UNUSED_PAD src0_sel:BYTE_3 src1_sel:DWORD
; %bb.2126:                             ;   in Loop: Header=BB2_1753 Depth=2
	s_or_b64 exec, exec, s[20:21]
	v_and_b32_e32 v30, 0xff, v21
	v_cmp_ne_u16_e32 vcc, 0, v30
	v_mov_b32_e32 v22, 0
	v_mov_b32_e32 v23, 0
	s_and_saveexec_b64 s[20:21], vcc
	s_cbranch_execz .LBB2_2132
; %bb.2127:                             ;   in Loop: Header=BB2_1753 Depth=2
	v_cmp_ne_u16_e32 vcc, s53, v30
	v_bfrev_b32_e32 v23, 1
	s_and_saveexec_b64 s[88:89], vcc
	s_cbranch_execz .LBB2_2131
; %bb.2128:                             ;   in Loop: Header=BB2_1753 Depth=2
	v_and_b32_e32 v6, 0x7f, v21
	v_cmp_ne_u32_e32 vcc, s51, v6
	v_mov_b32_e32 v23, 0x7f800001
	s_and_saveexec_b64 s[90:91], vcc
	s_cbranch_execz .LBB2_2130
; %bb.2129:                             ;   in Loop: Header=BB2_1753 Depth=2
	v_and_b32_e32 v8, 7, v30
	v_lshrrev_b32_e32 v9, 3, v6
	v_cmp_gt_u32_e32 vcc, 8, v6
	v_ffbh_u32_e32 v6, v8
	v_min_u32_e32 v23, 32, v6
	v_subrev_u32_e32 v6, 28, v23
	v_lshlrev_b64 v[6:7], v6, v[30:31]
	v_sub_u32_e32 v7, 29, v23
	v_and_b32_e32 v6, 7, v6
	v_cndmask_b32_e32 v7, v9, v7, vcc
	v_cndmask_b32_e32 v6, v8, v6, vcc
	v_lshlrev_b32_e32 v8, 24, v21
	v_lshlrev_b32_e32 v6, 20, v6
	v_and_b32_e32 v8, 0x80000000, v8
	v_lshl_add_u32 v7, v7, 23, v3
	v_or3_b32 v23, v8, v7, v6
.LBB2_2130:                             ;   in Loop: Header=BB2_1753 Depth=2
	s_or_b64 exec, exec, s[90:91]
.LBB2_2131:                             ;   in Loop: Header=BB2_1753 Depth=2
	s_or_b64 exec, exec, s[88:89]
.LBB2_2132:                             ;   in Loop: Header=BB2_1753 Depth=2
	s_or_b64 exec, exec, s[20:21]
	v_and_b32_e32 v30, 0xff, v52
	v_cmp_ne_u16_e32 vcc, 0, v30
	s_and_saveexec_b64 s[20:21], vcc
	s_cbranch_execz .LBB2_2138
; %bb.2133:                             ;   in Loop: Header=BB2_1753 Depth=2
	v_cmp_ne_u16_e32 vcc, s53, v30
	v_bfrev_b32_e32 v22, 1
	s_and_saveexec_b64 s[88:89], vcc
	s_cbranch_execz .LBB2_2137
; %bb.2134:                             ;   in Loop: Header=BB2_1753 Depth=2
	v_and_b32_e32 v6, 0x7f, v52
	v_cmp_ne_u32_e32 vcc, s51, v6
	v_mov_b32_e32 v22, 0x7f800001
	s_and_saveexec_b64 s[90:91], vcc
	s_cbranch_execz .LBB2_2136
; %bb.2135:                             ;   in Loop: Header=BB2_1753 Depth=2
	v_and_b32_e32 v8, 7, v30
	v_lshrrev_b32_e32 v9, 3, v6
	v_cmp_gt_u32_e32 vcc, 8, v6
	v_ffbh_u32_e32 v6, v8
	v_min_u32_e32 v21, 32, v6
	v_subrev_u32_e32 v6, 28, v21
	v_lshlrev_b64 v[6:7], v6, v[30:31]
	v_sub_u32_e32 v7, 29, v21
	v_and_b32_e32 v6, 7, v6
	v_cndmask_b32_e32 v7, v9, v7, vcc
	v_cndmask_b32_e32 v6, v8, v6, vcc
	v_lshlrev_b32_e32 v8, 24, v52
	v_lshlrev_b32_e32 v6, 20, v6
	v_and_b32_e32 v8, 0x80000000, v8
	v_lshl_add_u32 v7, v7, 23, v3
	v_or3_b32 v22, v8, v7, v6
.LBB2_2136:                             ;   in Loop: Header=BB2_1753 Depth=2
	s_or_b64 exec, exec, s[90:91]
.LBB2_2137:                             ;   in Loop: Header=BB2_1753 Depth=2
	s_or_b64 exec, exec, s[88:89]
.LBB2_2138:                             ;   in Loop: Header=BB2_1753 Depth=2
	s_or_b64 exec, exec, s[20:21]
	v_add_f32_e32 v23, v23, v22
	v_and_b32_e32 v32, 0x7f800000, v23
	v_cmp_ne_u64_e32 vcc, s[56:57], v[32:33]
                                        ; implicit-def: $vgpr21
	s_and_saveexec_b64 s[20:21], vcc
	s_xor_b64 s[88:89], exec, s[20:21]
	s_cbranch_execz .LBB2_2156
; %bb.2139:                             ;   in Loop: Header=BB2_1753 Depth=2
	v_and_b32_e32 v32, 0x7fffffff, v23
	v_cmp_gt_u64_e32 vcc, s[58:59], v[32:33]
	v_and_b32_sdwa v22, v23, s53 dst_sel:DWORD dst_unused:UNUSED_PAD src0_sel:BYTE_3 src1_sel:DWORD
                                        ; implicit-def: $vgpr21
	s_and_saveexec_b64 s[20:21], vcc
	s_xor_b64 s[90:91], exec, s[20:21]
	s_cbranch_execz .LBB2_2153
; %bb.2140:                             ;   in Loop: Header=BB2_1753 Depth=2
	v_cmp_ne_u32_e32 vcc, 0, v23
	v_mov_b32_e32 v21, 0
	s_and_saveexec_b64 s[92:93], vcc
	s_cbranch_execz .LBB2_2152
; %bb.2141:                             ;   in Loop: Header=BB2_1753 Depth=2
	v_bfe_u32 v21, v23, 23, 8
	v_cmp_gt_u32_e64 s[20:21], s54, v21
	v_sub_u32_e32 v6, 0x79, v21
	v_and_b32_e32 v7, 0x7fffff, v23
	v_cmp_eq_u32_e32 vcc, 0, v21
	v_cndmask_b32_e64 v6, 0, v6, s[20:21]
	v_or_b32_e32 v8, 0x800000, v7
	v_cndmask_b32_e32 v6, v6, v47, vcc
	v_cndmask_b32_e32 v32, v8, v7, vcc
	v_add_u32_e32 v7, 20, v6
	v_lshlrev_b64 v[7:8], v7, -1
	v_add_u32_e32 v9, 19, v6
	v_lshlrev_b64 v[26:27], v9, 1
	v_lshrrev_b64 v[48:49], v6, v[32:33]
	v_bfi_b32 v8, v8, 0, 0
	v_bfi_b32 v7, v7, 0, v32
	v_cmp_eq_u64_e64 s[20:21], v[7:8], v[26:27]
	v_mov_b32_e32 v50, v49
	v_mov_b32_e32 v49, v48
	s_and_saveexec_b64 s[94:95], s[20:21]
; %bb.2142:                             ;   in Loop: Header=BB2_1753 Depth=2
	v_bfe_u32 v7, v48, 20, 1
	v_add_co_u32_e64 v7, s[20:21], v48, v7
	v_add_co_u32_e64 v49, s[20:21], -1, v7
; %bb.2143:                             ;   in Loop: Header=BB2_1753 Depth=2
	s_or_b64 exec, exec, s[94:95]
	v_add_u32_e32 v7, 0xffffff81, v21
	v_cndmask_b32_e32 v7, v7, v44, vcc
	v_lshrrev_b32_e32 v8, 23, v48
	v_add3_u32 v7, v6, v7, v8
	v_add_u32_e32 v6, 6, v7
	v_and_b32_e32 v8, 0xfffff, v49
	v_add_u32_e32 v32, v8, v48
	v_cmp_ne_u32_e32 vcc, 0, v6
                                        ; implicit-def: $vgpr48_vgpr49
                                        ; implicit-def: $vgpr23
	s_and_saveexec_b64 s[20:21], vcc
	s_xor_b64 s[20:21], exec, s[20:21]
; %bb.2144:                             ;   in Loop: Header=BB2_1753 Depth=2
	v_cmp_lt_u64_e32 vcc, s[60:61], v[32:33]
	v_add_u32_e32 v7, 7, v7
	v_cndmask_b32_e32 v23, v6, v7, vcc
	v_cndmask_b32_e64 v6, 0, 1, vcc
	v_lshrrev_b64 v[48:49], v6, v[32:33]
; %bb.2145:                             ;   in Loop: Header=BB2_1753 Depth=2
	s_andn2_saveexec_b64 s[20:21], s[20:21]
; %bb.2146:                             ;   in Loop: Header=BB2_1753 Depth=2
	v_mov_b32_e32 v49, v33
	v_bfe_u32 v23, v32, 23, 1
	v_mov_b32_e32 v48, v32
; %bb.2147:                             ;   in Loop: Header=BB2_1753 Depth=2
	s_or_b64 exec, exec, s[20:21]
	v_lshrrev_b64 v[6:7], 20, v[48:49]
	v_cmp_gt_i32_e32 vcc, 16, v23
	v_cndmask_b32_e32 v49, 0, v7, vcc
	v_cndmask_b32_e32 v48, 7, v6, vcc
	v_cmp_ne_u64_e32 vcc, 0, v[48:49]
	v_cmp_ne_u32_e64 s[20:21], 0, v23
	s_or_b64 s[20:21], s[20:21], vcc
                                        ; implicit-def: $vgpr21
	s_and_saveexec_b64 s[94:95], s[20:21]
	s_xor_b64 s[20:21], exec, s[94:95]
; %bb.2148:                             ;   in Loop: Header=BB2_1753 Depth=2
	v_min_i32_e32 v6, 15, v23
	v_lshl_or_b32 v6, v6, 3, v22
	v_and_or_b32 v21, v48, 7, v6
                                        ; implicit-def: $vgpr22
; %bb.2149:                             ;   in Loop: Header=BB2_1753 Depth=2
	s_andn2_saveexec_b64 s[20:21], s[20:21]
; %bb.2150:                             ;   in Loop: Header=BB2_1753 Depth=2
	v_mov_b32_e32 v21, v22
; %bb.2151:                             ;   in Loop: Header=BB2_1753 Depth=2
	s_or_b64 exec, exec, s[20:21]
.LBB2_2152:                             ;   in Loop: Header=BB2_1753 Depth=2
	s_or_b64 exec, exec, s[92:93]
                                        ; implicit-def: $vgpr22
.LBB2_2153:                             ;   in Loop: Header=BB2_1753 Depth=2
	s_andn2_saveexec_b64 s[20:21], s[90:91]
; %bb.2154:                             ;   in Loop: Header=BB2_1753 Depth=2
	v_or_b32_e32 v21, 0x7e, v22
; %bb.2155:                             ;   in Loop: Header=BB2_1753 Depth=2
	s_or_b64 exec, exec, s[20:21]
                                        ; implicit-def: $vgpr23
.LBB2_2156:                             ;   in Loop: Header=BB2_1753 Depth=2
	s_andn2_saveexec_b64 s[20:21], s[88:89]
; %bb.2157:                             ;   in Loop: Header=BB2_1753 Depth=2
	v_or_b32_sdwa v21, v23, s51 dst_sel:DWORD dst_unused:UNUSED_PAD src0_sel:BYTE_3 src1_sel:DWORD
; %bb.2158:                             ;   in Loop: Header=BB2_1753 Depth=2
	s_or_b64 exec, exec, s[20:21]
	v_and_b32_e32 v30, 0xff, v20
	v_cmp_ne_u16_e32 vcc, 0, v30
	v_mov_b32_e32 v22, 0
	v_mov_b32_e32 v23, 0
	s_and_saveexec_b64 s[20:21], vcc
	s_cbranch_execz .LBB2_2164
; %bb.2159:                             ;   in Loop: Header=BB2_1753 Depth=2
	v_cmp_ne_u16_e32 vcc, s53, v30
	v_bfrev_b32_e32 v23, 1
	s_and_saveexec_b64 s[88:89], vcc
	s_cbranch_execz .LBB2_2163
; %bb.2160:                             ;   in Loop: Header=BB2_1753 Depth=2
	v_and_b32_e32 v6, 0x7f, v20
	v_cmp_ne_u32_e32 vcc, s51, v6
	v_mov_b32_e32 v23, 0x7f800001
	s_and_saveexec_b64 s[90:91], vcc
	s_cbranch_execz .LBB2_2162
; %bb.2161:                             ;   in Loop: Header=BB2_1753 Depth=2
	v_and_b32_e32 v8, 7, v30
	v_lshrrev_b32_e32 v9, 3, v6
	v_cmp_gt_u32_e32 vcc, 8, v6
	v_ffbh_u32_e32 v6, v8
	v_min_u32_e32 v23, 32, v6
	v_subrev_u32_e32 v6, 28, v23
	v_lshlrev_b64 v[6:7], v6, v[30:31]
	v_sub_u32_e32 v7, 29, v23
	v_and_b32_e32 v6, 7, v6
	v_cndmask_b32_e32 v7, v9, v7, vcc
	v_cndmask_b32_e32 v6, v8, v6, vcc
	v_lshlrev_b32_e32 v8, 24, v20
	v_lshlrev_b32_e32 v6, 20, v6
	v_and_b32_e32 v8, 0x80000000, v8
	v_lshl_add_u32 v7, v7, 23, v3
	v_or3_b32 v23, v8, v7, v6
.LBB2_2162:                             ;   in Loop: Header=BB2_1753 Depth=2
	s_or_b64 exec, exec, s[90:91]
.LBB2_2163:                             ;   in Loop: Header=BB2_1753 Depth=2
	s_or_b64 exec, exec, s[88:89]
.LBB2_2164:                             ;   in Loop: Header=BB2_1753 Depth=2
	s_or_b64 exec, exec, s[20:21]
	v_and_b32_e32 v30, 0xff, v51
	v_cmp_ne_u16_e32 vcc, 0, v30
	s_and_saveexec_b64 s[20:21], vcc
	s_cbranch_execz .LBB2_2170
; %bb.2165:                             ;   in Loop: Header=BB2_1753 Depth=2
	v_cmp_ne_u16_e32 vcc, s53, v30
	v_bfrev_b32_e32 v22, 1
	s_and_saveexec_b64 s[88:89], vcc
	s_cbranch_execz .LBB2_2169
; %bb.2166:                             ;   in Loop: Header=BB2_1753 Depth=2
	v_and_b32_e32 v6, 0x7f, v51
	v_cmp_ne_u32_e32 vcc, s51, v6
	v_mov_b32_e32 v22, 0x7f800001
	s_and_saveexec_b64 s[90:91], vcc
	s_cbranch_execz .LBB2_2168
; %bb.2167:                             ;   in Loop: Header=BB2_1753 Depth=2
	v_and_b32_e32 v8, 7, v30
	v_lshrrev_b32_e32 v9, 3, v6
	v_cmp_gt_u32_e32 vcc, 8, v6
	v_ffbh_u32_e32 v6, v8
	v_min_u32_e32 v20, 32, v6
	v_subrev_u32_e32 v6, 28, v20
	v_lshlrev_b64 v[6:7], v6, v[30:31]
	v_sub_u32_e32 v7, 29, v20
	v_and_b32_e32 v6, 7, v6
	v_cndmask_b32_e32 v7, v9, v7, vcc
	v_cndmask_b32_e32 v6, v8, v6, vcc
	v_lshlrev_b32_e32 v8, 24, v51
	v_lshlrev_b32_e32 v6, 20, v6
	v_and_b32_e32 v8, 0x80000000, v8
	v_lshl_add_u32 v7, v7, 23, v3
	v_or3_b32 v22, v8, v7, v6
.LBB2_2168:                             ;   in Loop: Header=BB2_1753 Depth=2
	s_or_b64 exec, exec, s[90:91]
.LBB2_2169:                             ;   in Loop: Header=BB2_1753 Depth=2
	s_or_b64 exec, exec, s[88:89]
.LBB2_2170:                             ;   in Loop: Header=BB2_1753 Depth=2
	s_or_b64 exec, exec, s[20:21]
	v_add_f32_e32 v23, v23, v22
	v_and_b32_e32 v32, 0x7f800000, v23
	v_cmp_ne_u64_e32 vcc, s[56:57], v[32:33]
                                        ; implicit-def: $vgpr20
	s_and_saveexec_b64 s[20:21], vcc
	s_xor_b64 s[88:89], exec, s[20:21]
	s_cbranch_execz .LBB2_2188
; %bb.2171:                             ;   in Loop: Header=BB2_1753 Depth=2
	v_and_b32_e32 v32, 0x7fffffff, v23
	v_cmp_gt_u64_e32 vcc, s[58:59], v[32:33]
	v_and_b32_sdwa v22, v23, s53 dst_sel:DWORD dst_unused:UNUSED_PAD src0_sel:BYTE_3 src1_sel:DWORD
                                        ; implicit-def: $vgpr20
	s_and_saveexec_b64 s[20:21], vcc
	s_xor_b64 s[90:91], exec, s[20:21]
	s_cbranch_execz .LBB2_2185
; %bb.2172:                             ;   in Loop: Header=BB2_1753 Depth=2
	v_cmp_ne_u32_e32 vcc, 0, v23
	v_mov_b32_e32 v20, 0
	s_and_saveexec_b64 s[92:93], vcc
	s_cbranch_execz .LBB2_2184
; %bb.2173:                             ;   in Loop: Header=BB2_1753 Depth=2
	v_bfe_u32 v20, v23, 23, 8
	v_cmp_gt_u32_e64 s[20:21], s54, v20
	v_sub_u32_e32 v6, 0x79, v20
	v_and_b32_e32 v7, 0x7fffff, v23
	v_cmp_eq_u32_e32 vcc, 0, v20
	v_cndmask_b32_e64 v6, 0, v6, s[20:21]
	v_or_b32_e32 v8, 0x800000, v7
	v_cndmask_b32_e32 v6, v6, v47, vcc
	v_cndmask_b32_e32 v32, v8, v7, vcc
	v_add_u32_e32 v7, 20, v6
	v_lshlrev_b64 v[7:8], v7, -1
	v_add_u32_e32 v9, 19, v6
	v_lshlrev_b64 v[26:27], v9, 1
	v_lshrrev_b64 v[48:49], v6, v[32:33]
	v_bfi_b32 v8, v8, 0, 0
	v_bfi_b32 v7, v7, 0, v32
	v_cmp_eq_u64_e64 s[20:21], v[7:8], v[26:27]
	v_mov_b32_e32 v50, v49
	v_mov_b32_e32 v49, v48
	s_and_saveexec_b64 s[94:95], s[20:21]
; %bb.2174:                             ;   in Loop: Header=BB2_1753 Depth=2
	v_bfe_u32 v7, v48, 20, 1
	v_add_co_u32_e64 v7, s[20:21], v48, v7
	v_add_co_u32_e64 v49, s[20:21], -1, v7
; %bb.2175:                             ;   in Loop: Header=BB2_1753 Depth=2
	s_or_b64 exec, exec, s[94:95]
	v_add_u32_e32 v7, 0xffffff81, v20
	v_cndmask_b32_e32 v7, v7, v44, vcc
	v_lshrrev_b32_e32 v8, 23, v48
	v_add3_u32 v7, v6, v7, v8
	v_add_u32_e32 v6, 6, v7
	v_and_b32_e32 v8, 0xfffff, v49
	v_add_u32_e32 v32, v8, v48
	v_cmp_ne_u32_e32 vcc, 0, v6
                                        ; implicit-def: $vgpr48_vgpr49
                                        ; implicit-def: $vgpr23
	s_and_saveexec_b64 s[20:21], vcc
	s_xor_b64 s[20:21], exec, s[20:21]
; %bb.2176:                             ;   in Loop: Header=BB2_1753 Depth=2
	v_cmp_lt_u64_e32 vcc, s[60:61], v[32:33]
	v_add_u32_e32 v7, 7, v7
	v_cndmask_b32_e32 v23, v6, v7, vcc
	v_cndmask_b32_e64 v6, 0, 1, vcc
	v_lshrrev_b64 v[48:49], v6, v[32:33]
; %bb.2177:                             ;   in Loop: Header=BB2_1753 Depth=2
	s_andn2_saveexec_b64 s[20:21], s[20:21]
; %bb.2178:                             ;   in Loop: Header=BB2_1753 Depth=2
	v_mov_b32_e32 v49, v33
	v_bfe_u32 v23, v32, 23, 1
	v_mov_b32_e32 v48, v32
; %bb.2179:                             ;   in Loop: Header=BB2_1753 Depth=2
	s_or_b64 exec, exec, s[20:21]
	v_lshrrev_b64 v[6:7], 20, v[48:49]
	v_cmp_gt_i32_e32 vcc, 16, v23
	v_cndmask_b32_e32 v49, 0, v7, vcc
	v_cndmask_b32_e32 v48, 7, v6, vcc
	v_cmp_ne_u64_e32 vcc, 0, v[48:49]
	v_cmp_ne_u32_e64 s[20:21], 0, v23
	s_or_b64 s[20:21], s[20:21], vcc
                                        ; implicit-def: $vgpr20
	s_and_saveexec_b64 s[94:95], s[20:21]
	s_xor_b64 s[20:21], exec, s[94:95]
; %bb.2180:                             ;   in Loop: Header=BB2_1753 Depth=2
	v_min_i32_e32 v6, 15, v23
	v_lshl_or_b32 v6, v6, 3, v22
	v_and_or_b32 v20, v48, 7, v6
                                        ; implicit-def: $vgpr22
; %bb.2181:                             ;   in Loop: Header=BB2_1753 Depth=2
	s_andn2_saveexec_b64 s[20:21], s[20:21]
; %bb.2182:                             ;   in Loop: Header=BB2_1753 Depth=2
	v_mov_b32_e32 v20, v22
; %bb.2183:                             ;   in Loop: Header=BB2_1753 Depth=2
	s_or_b64 exec, exec, s[20:21]
.LBB2_2184:                             ;   in Loop: Header=BB2_1753 Depth=2
	s_or_b64 exec, exec, s[92:93]
                                        ; implicit-def: $vgpr22
.LBB2_2185:                             ;   in Loop: Header=BB2_1753 Depth=2
	s_andn2_saveexec_b64 s[20:21], s[90:91]
; %bb.2186:                             ;   in Loop: Header=BB2_1753 Depth=2
	v_or_b32_e32 v20, 0x7e, v22
; %bb.2187:                             ;   in Loop: Header=BB2_1753 Depth=2
	s_or_b64 exec, exec, s[20:21]
                                        ; implicit-def: $vgpr23
.LBB2_2188:                             ;   in Loop: Header=BB2_1753 Depth=2
	s_andn2_saveexec_b64 s[20:21], s[88:89]
; %bb.2189:                             ;   in Loop: Header=BB2_1753 Depth=2
	v_or_b32_sdwa v20, v23, s51 dst_sel:DWORD dst_unused:UNUSED_PAD src0_sel:BYTE_3 src1_sel:DWORD
; %bb.2190:                             ;   in Loop: Header=BB2_1753 Depth=2
	s_or_b64 exec, exec, s[20:21]
	v_and_b32_e32 v30, 0xff, v0
	v_cmp_ne_u16_e32 vcc, 0, v30
	v_mov_b32_e32 v22, 0
	v_mov_b32_e32 v23, 0
	s_and_saveexec_b64 s[20:21], vcc
	s_cbranch_execz .LBB2_2196
; %bb.2191:                             ;   in Loop: Header=BB2_1753 Depth=2
	v_cmp_ne_u16_e32 vcc, s53, v30
	v_bfrev_b32_e32 v23, 1
	s_and_saveexec_b64 s[88:89], vcc
	s_cbranch_execz .LBB2_2195
; %bb.2192:                             ;   in Loop: Header=BB2_1753 Depth=2
	v_and_b32_e32 v6, 0x7f, v0
	v_cmp_ne_u32_e32 vcc, s51, v6
	v_mov_b32_e32 v23, 0x7f800001
	s_and_saveexec_b64 s[90:91], vcc
	s_cbranch_execz .LBB2_2194
; %bb.2193:                             ;   in Loop: Header=BB2_1753 Depth=2
	v_and_b32_e32 v8, 7, v30
	v_lshrrev_b32_e32 v9, 3, v6
	v_cmp_gt_u32_e32 vcc, 8, v6
	v_ffbh_u32_e32 v6, v8
	v_min_u32_e32 v23, 32, v6
	v_subrev_u32_e32 v6, 28, v23
	v_lshlrev_b64 v[6:7], v6, v[30:31]
	v_sub_u32_e32 v7, 29, v23
	v_and_b32_e32 v6, 7, v6
	v_cndmask_b32_e32 v7, v9, v7, vcc
	v_cndmask_b32_e32 v6, v8, v6, vcc
	v_lshlrev_b32_e32 v0, 24, v0
	v_lshlrev_b32_e32 v6, 20, v6
	v_and_b32_e32 v0, 0x80000000, v0
	v_lshl_add_u32 v7, v7, 23, v3
	v_or3_b32 v23, v0, v7, v6
.LBB2_2194:                             ;   in Loop: Header=BB2_1753 Depth=2
	s_or_b64 exec, exec, s[90:91]
.LBB2_2195:                             ;   in Loop: Header=BB2_1753 Depth=2
	s_or_b64 exec, exec, s[88:89]
.LBB2_2196:                             ;   in Loop: Header=BB2_1753 Depth=2
	s_or_b64 exec, exec, s[20:21]
	v_and_b32_e32 v30, 0xff, v1
	v_cmp_ne_u16_e32 vcc, 0, v30
	s_and_saveexec_b64 s[20:21], vcc
	s_cbranch_execz .LBB2_2202
; %bb.2197:                             ;   in Loop: Header=BB2_1753 Depth=2
	v_cmp_ne_u16_e32 vcc, s53, v30
	v_bfrev_b32_e32 v22, 1
	s_and_saveexec_b64 s[88:89], vcc
	s_cbranch_execz .LBB2_2201
; %bb.2198:                             ;   in Loop: Header=BB2_1753 Depth=2
	v_and_b32_e32 v0, 0x7f, v1
	v_cmp_ne_u32_e32 vcc, s51, v0
	v_mov_b32_e32 v22, 0x7f800001
	s_and_saveexec_b64 s[90:91], vcc
	s_cbranch_execz .LBB2_2200
; %bb.2199:                             ;   in Loop: Header=BB2_1753 Depth=2
	v_and_b32_e32 v8, 7, v30
	v_lshrrev_b32_e32 v9, 3, v0
	v_cmp_gt_u32_e32 vcc, 8, v0
	v_ffbh_u32_e32 v0, v8
	v_min_u32_e32 v0, 32, v0
	v_subrev_u32_e32 v6, 28, v0
	v_lshlrev_b64 v[6:7], v6, v[30:31]
	v_sub_u32_e32 v0, 29, v0
	v_and_b32_e32 v6, 7, v6
	v_cndmask_b32_e32 v0, v9, v0, vcc
	v_cndmask_b32_e32 v6, v8, v6, vcc
	v_lshlrev_b32_e32 v1, 24, v1
	v_lshlrev_b32_e32 v6, 20, v6
	v_and_b32_e32 v1, 0x80000000, v1
	v_lshl_add_u32 v0, v0, 23, v3
	v_or3_b32 v22, v1, v0, v6
.LBB2_2200:                             ;   in Loop: Header=BB2_1753 Depth=2
	s_or_b64 exec, exec, s[90:91]
.LBB2_2201:                             ;   in Loop: Header=BB2_1753 Depth=2
	s_or_b64 exec, exec, s[88:89]
.LBB2_2202:                             ;   in Loop: Header=BB2_1753 Depth=2
	s_or_b64 exec, exec, s[20:21]
	v_add_f32_e32 v22, v23, v22
	v_and_b32_e32 v32, 0x7f800000, v22
	v_cmp_ne_u64_e32 vcc, s[56:57], v[32:33]
                                        ; implicit-def: $vgpr1
	s_and_saveexec_b64 s[20:21], vcc
	s_xor_b64 s[88:89], exec, s[20:21]
	s_cbranch_execz .LBB2_2220
; %bb.2203:                             ;   in Loop: Header=BB2_1753 Depth=2
	v_and_b32_e32 v32, 0x7fffffff, v22
	v_cmp_gt_u64_e32 vcc, s[58:59], v[32:33]
	v_and_b32_sdwa v0, v22, s53 dst_sel:DWORD dst_unused:UNUSED_PAD src0_sel:BYTE_3 src1_sel:DWORD
                                        ; implicit-def: $vgpr1
	s_and_saveexec_b64 s[20:21], vcc
	s_xor_b64 s[90:91], exec, s[20:21]
	s_cbranch_execz .LBB2_2217
; %bb.2204:                             ;   in Loop: Header=BB2_1753 Depth=2
	v_cmp_ne_u32_e32 vcc, 0, v22
	v_mov_b32_e32 v1, 0
	s_and_saveexec_b64 s[92:93], vcc
	s_cbranch_execz .LBB2_2216
; %bb.2205:                             ;   in Loop: Header=BB2_1753 Depth=2
	v_bfe_u32 v1, v22, 23, 8
	v_cmp_gt_u32_e64 s[20:21], s54, v1
	v_sub_u32_e32 v6, 0x79, v1
	v_and_b32_e32 v7, 0x7fffff, v22
	v_cmp_eq_u32_e32 vcc, 0, v1
	v_cndmask_b32_e64 v6, 0, v6, s[20:21]
	v_or_b32_e32 v8, 0x800000, v7
	v_cndmask_b32_e32 v6, v6, v47, vcc
	v_cndmask_b32_e32 v32, v8, v7, vcc
	v_add_u32_e32 v7, 20, v6
	v_lshlrev_b64 v[7:8], v7, -1
	v_add_u32_e32 v9, 19, v6
	v_lshlrev_b64 v[22:23], v9, 1
	v_lshrrev_b64 v[48:49], v6, v[32:33]
	v_bfi_b32 v8, v8, 0, 0
	v_bfi_b32 v7, v7, 0, v32
	v_cmp_eq_u64_e64 s[20:21], v[7:8], v[22:23]
	v_mov_b32_e32 v50, v49
	v_mov_b32_e32 v49, v48
	s_and_saveexec_b64 s[94:95], s[20:21]
; %bb.2206:                             ;   in Loop: Header=BB2_1753 Depth=2
	v_bfe_u32 v7, v48, 20, 1
	v_add_co_u32_e64 v7, s[20:21], v48, v7
	v_add_co_u32_e64 v49, s[20:21], -1, v7
; %bb.2207:                             ;   in Loop: Header=BB2_1753 Depth=2
	s_or_b64 exec, exec, s[94:95]
	v_add_u32_e32 v1, 0xffffff81, v1
	v_cndmask_b32_e32 v1, v1, v44, vcc
	v_lshrrev_b32_e32 v7, 23, v48
	v_add3_u32 v6, v6, v1, v7
	v_add_u32_e32 v1, 6, v6
	v_and_b32_e32 v7, 0xfffff, v49
	v_add_u32_e32 v32, v7, v48
	v_cmp_ne_u32_e32 vcc, 0, v1
                                        ; implicit-def: $vgpr48_vgpr49
                                        ; implicit-def: $vgpr22
	s_and_saveexec_b64 s[20:21], vcc
	s_xor_b64 s[20:21], exec, s[20:21]
; %bb.2208:                             ;   in Loop: Header=BB2_1753 Depth=2
	v_cmp_lt_u64_e32 vcc, s[60:61], v[32:33]
	v_add_u32_e32 v6, 7, v6
	v_cndmask_b32_e32 v22, v1, v6, vcc
	v_cndmask_b32_e64 v1, 0, 1, vcc
	v_lshrrev_b64 v[48:49], v1, v[32:33]
; %bb.2209:                             ;   in Loop: Header=BB2_1753 Depth=2
	s_andn2_saveexec_b64 s[20:21], s[20:21]
; %bb.2210:                             ;   in Loop: Header=BB2_1753 Depth=2
	v_mov_b32_e32 v49, v33
	v_bfe_u32 v22, v32, 23, 1
	v_mov_b32_e32 v48, v32
; %bb.2211:                             ;   in Loop: Header=BB2_1753 Depth=2
	s_or_b64 exec, exec, s[20:21]
	v_lshrrev_b64 v[6:7], 20, v[48:49]
	v_cmp_gt_i32_e32 vcc, 16, v22
	v_cndmask_b32_e32 v49, 0, v7, vcc
	v_cndmask_b32_e32 v48, 7, v6, vcc
	v_cmp_ne_u64_e32 vcc, 0, v[48:49]
	v_cmp_ne_u32_e64 s[20:21], 0, v22
	s_or_b64 s[20:21], s[20:21], vcc
                                        ; implicit-def: $vgpr1
	s_and_saveexec_b64 s[94:95], s[20:21]
	s_xor_b64 s[20:21], exec, s[94:95]
; %bb.2212:                             ;   in Loop: Header=BB2_1753 Depth=2
	v_min_i32_e32 v1, 15, v22
	v_lshl_or_b32 v0, v1, 3, v0
	v_and_or_b32 v1, v48, 7, v0
                                        ; implicit-def: $vgpr0
; %bb.2213:                             ;   in Loop: Header=BB2_1753 Depth=2
	s_andn2_saveexec_b64 s[20:21], s[20:21]
; %bb.2214:                             ;   in Loop: Header=BB2_1753 Depth=2
	v_mov_b32_e32 v1, v0
; %bb.2215:                             ;   in Loop: Header=BB2_1753 Depth=2
	s_or_b64 exec, exec, s[20:21]
.LBB2_2216:                             ;   in Loop: Header=BB2_1753 Depth=2
	s_or_b64 exec, exec, s[92:93]
                                        ; implicit-def: $vgpr0
.LBB2_2217:                             ;   in Loop: Header=BB2_1753 Depth=2
	s_andn2_saveexec_b64 s[20:21], s[90:91]
; %bb.2218:                             ;   in Loop: Header=BB2_1753 Depth=2
	v_or_b32_e32 v1, 0x7e, v0
; %bb.2219:                             ;   in Loop: Header=BB2_1753 Depth=2
	s_or_b64 exec, exec, s[20:21]
                                        ; implicit-def: $vgpr22
.LBB2_2220:                             ;   in Loop: Header=BB2_1753 Depth=2
	s_andn2_saveexec_b64 s[20:21], s[88:89]
	s_cbranch_execz .LBB2_1752
; %bb.2221:                             ;   in Loop: Header=BB2_1753 Depth=2
	v_or_b32_sdwa v1, v22, s51 dst_sel:DWORD dst_unused:UNUSED_PAD src0_sel:BYTE_3 src1_sel:DWORD
	s_branch .LBB2_1752
.LBB2_2222:                             ;   in Loop: Header=BB2_49 Depth=1
	s_or_b64 exec, exec, s[78:79]
	v_mov_b32_e32 v5, v40
	v_mov_b32_e32 v4, v41
.LBB2_2223:                             ;   in Loop: Header=BB2_49 Depth=1
	s_or_b64 exec, exec, s[76:77]
	v_and_b32_e32 v1, 0x7ffffe00, v4
	v_cmp_ne_u32_e32 vcc, v4, v1
	s_and_b64 exec, exec, vcc
	s_cbranch_execz .LBB2_2290
; %bb.2224:                             ;   in Loop: Header=BB2_49 Depth=1
	v_lshlrev_b32_e32 v0, 6, v15
	v_sub_u32_e32 v0, v14, v0
	v_mov_b32_e32 v6, v4
	v_lshlrev_b32_e32 v4, 6, v16
	v_sub_u32_e32 v4, v0, v4
	v_and_b32_e32 v0, 0x1ff, v6
	v_sub_u32_e32 v0, v0, v4
	v_cmp_lt_i32_e32 vcc, 0, v0
	s_and_b64 exec, exec, vcc
	s_cbranch_execz .LBB2_2290
; %bb.2225:                             ;   in Loop: Header=BB2_49 Depth=1
	s_trap 2
	v_mov_b32_e32 v9, v5
	ds_read_b128 v[5:8], v0
	ds_read_b64 v[14:15], v0
	v_add3_u32 v1, v1, v9, v4
	v_ashrrev_i32_e32 v4, 31, v1
	s_mov_b64 s[76:77], 0
	s_waitcnt lgkmcnt(0)
	v_add_co_u32_e32 v10, vcc, v5, v1
	v_addc_co_u32_e32 v11, vcc, v6, v4, vcc
	v_add_co_u32_e32 v12, vcc, v7, v1
	v_addc_co_u32_e32 v13, vcc, v8, v4, vcc
	;; [unrolled: 2-line block ×3, first 2 shown]
	s_branch .LBB2_2227
.LBB2_2226:                             ;   in Loop: Header=BB2_2227 Depth=2
	s_or_b64 exec, exec, s[20:21]
	v_add_co_u32_e32 v10, vcc, v10, v53
	v_addc_co_u32_e32 v11, vcc, 0, v11, vcc
	v_add_co_u32_e32 v12, vcc, v12, v53
	v_addc_co_u32_e32 v13, vcc, 0, v13, vcc
	v_sub_u32_e32 v0, v0, v53
	v_cmp_gt_i32_e32 vcc, 1, v0
	flat_store_byte v[38:39], v4 glc slc
	s_or_b64 s[76:77], vcc, s[76:77]
	v_add_co_u32_e32 v38, vcc, v38, v53
	v_addc_co_u32_e32 v39, vcc, 0, v39, vcc
	s_andn2_b64 exec, exec, s[76:77]
	s_cbranch_execz .LBB2_2290
.LBB2_2227:                             ;   Parent Loop BB2_49 Depth=1
                                        ; =>  This Inner Loop Header: Depth=2
	s_trap 2
	ds_read_b64 v[48:49], v0
	s_waitcnt lgkmcnt(0)
	v_cmp_eq_u32_sdwa s[78:79], v48, v33 src0_sel:BYTE_0 src1_sel:DWORD
	v_readfirstlane_b32 s20, v48
	s_and_b64 vcc, exec, s[78:79]
	v_readfirstlane_b32 s21, v49
	s_cbranch_vccnz .LBB2_2231
; %bb.2228:                             ;   in Loop: Header=BB2_2227 Depth=2
	v_cmp_eq_u32_sdwa s[78:79], v48, s53 src0_sel:BYTE_0 src1_sel:DWORD
	s_and_b64 vcc, exec, s[78:79]
	s_brev_b32 s90, 1
	s_cbranch_vccnz .LBB2_2232
; %bb.2229:                             ;   in Loop: Header=BB2_2227 Depth=2
	s_and_b32 s78, s20, 0x7f
	s_cmpk_eq_i32 s78, 0x7f
	s_mov_b32 s90, 0x7f800001
	s_cbranch_scc1 .LBB2_2232
; %bb.2230:                             ;   in Loop: Header=BB2_2227 Depth=2
	s_and_b32 s79, s20, 7
	s_flbit_i32_b32 s79, s79
	s_min_u32 s79, s79, 32
	s_lshr_b32 s88, s78, 3
	s_sub_i32 s89, s79, 28
	s_sub_i32 s79, 29, s79
	s_cmp_lt_u32 s78, 8
	s_cselect_b32 s78, s89, 0
	s_cselect_b32 s88, s79, s88
	s_lshl_b64 s[78:79], s[20:21], s78
	s_lshl_b32 s21, s78, 20
	s_lshl_b32 s20, s20, 24
	;; [unrolled: 1-line block ×3, first 2 shown]
	s_and_b32 s20, s20, 0x80000000
	s_add_i32 s78, s78, 0x3c000000
	s_and_b32 s21, s21, 0x700000
	s_or_b32 s20, s20, s78
	s_or_b32 s90, s20, s21
	s_branch .LBB2_2232
.LBB2_2231:                             ;   in Loop: Header=BB2_2227 Depth=2
	s_mov_b32 s90, 0
.LBB2_2232:                             ;   in Loop: Header=BB2_2227 Depth=2
	flat_load_ubyte v1, v[10:11] glc slc
	v_mov_b32_e32 v4, 0
	s_waitcnt vmcnt(0) lgkmcnt(0)
	v_cmp_ne_u16_e32 vcc, 0, v1
	s_and_saveexec_b64 s[20:21], vcc
	s_cbranch_execz .LBB2_2238
; %bb.2233:                             ;   in Loop: Header=BB2_2227 Depth=2
	v_cmp_ne_u16_e32 vcc, s53, v1
	v_bfrev_b32_e32 v4, 1
	s_and_saveexec_b64 s[78:79], vcc
	s_cbranch_execz .LBB2_2237
; %bb.2234:                             ;   in Loop: Header=BB2_2227 Depth=2
	v_and_b32_e32 v30, 0xffff, v1
	v_and_b32_e32 v5, 0x7f, v30
	v_cmp_ne_u32_e32 vcc, s51, v5
	v_mov_b32_e32 v4, 0x7f800001
	s_and_saveexec_b64 s[88:89], vcc
	s_cbranch_execz .LBB2_2236
; %bb.2235:                             ;   in Loop: Header=BB2_2227 Depth=2
	v_and_b32_e32 v6, 7, v30
	v_ffbh_u32_e32 v4, v6
	v_min_u32_e32 v8, 32, v4
	v_subrev_u32_e32 v4, 28, v8
	v_lshrrev_b32_e32 v7, 3, v5
	v_cmp_gt_u32_e32 vcc, 8, v5
	v_lshlrev_b64 v[4:5], v4, v[30:31]
	v_sub_u32_e32 v5, 29, v8
	v_and_b32_e32 v4, 7, v4
	v_cndmask_b32_e32 v5, v7, v5, vcc
	v_cndmask_b32_e32 v4, v6, v4, vcc
	v_lshlrev_b32_e32 v1, 24, v1
	v_lshlrev_b32_e32 v4, 20, v4
	v_and_b32_e32 v1, 0x80000000, v1
	v_lshl_add_u32 v5, v5, 23, v3
	v_or3_b32 v4, v1, v5, v4
.LBB2_2236:                             ;   in Loop: Header=BB2_2227 Depth=2
	s_or_b64 exec, exec, s[88:89]
.LBB2_2237:                             ;   in Loop: Header=BB2_2227 Depth=2
	s_or_b64 exec, exec, s[78:79]
.LBB2_2238:                             ;   in Loop: Header=BB2_2227 Depth=2
	s_or_b64 exec, exec, s[20:21]
	v_mul_f32_e32 v5, s90, v4
	v_and_b32_e32 v32, 0x7f800000, v5
	v_cmp_ne_u64_e32 vcc, s[56:57], v[32:33]
                                        ; implicit-def: $vgpr4
	s_and_saveexec_b64 s[20:21], vcc
	s_xor_b64 s[78:79], exec, s[20:21]
	s_cbranch_execz .LBB2_2256
; %bb.2239:                             ;   in Loop: Header=BB2_2227 Depth=2
	v_and_b32_e32 v32, 0x7fffffff, v5
	v_cmp_gt_u64_e32 vcc, s[58:59], v[32:33]
	v_and_b32_sdwa v1, v5, s53 dst_sel:DWORD dst_unused:UNUSED_PAD src0_sel:BYTE_3 src1_sel:DWORD
                                        ; implicit-def: $vgpr4
	s_and_saveexec_b64 s[20:21], vcc
	s_xor_b64 s[88:89], exec, s[20:21]
	s_cbranch_execz .LBB2_2253
; %bb.2240:                             ;   in Loop: Header=BB2_2227 Depth=2
	v_cmp_ne_u32_e32 vcc, 0, v5
	v_mov_b32_e32 v4, 0
	s_and_saveexec_b64 s[90:91], vcc
	s_cbranch_execz .LBB2_2252
; %bb.2241:                             ;   in Loop: Header=BB2_2227 Depth=2
	v_bfe_u32 v4, v5, 23, 8
	v_and_b32_e32 v6, 0x7fffff, v5
	v_cmp_gt_u32_e64 s[20:21], s54, v4
	v_sub_u32_e32 v5, 0x79, v4
	v_cmp_eq_u32_e32 vcc, 0, v4
	v_cndmask_b32_e64 v5, 0, v5, s[20:21]
	v_or_b32_e32 v7, 0x800000, v6
	v_cndmask_b32_e32 v5, v5, v47, vcc
	v_cndmask_b32_e32 v32, v7, v6, vcc
	v_add_u32_e32 v6, 20, v5
	v_lshlrev_b64 v[6:7], v6, -1
	v_add_u32_e32 v8, 19, v5
	v_lshlrev_b64 v[8:9], v8, 1
	v_lshrrev_b64 v[48:49], v5, v[32:33]
	v_bfi_b32 v7, v7, 0, 0
	v_bfi_b32 v6, v6, 0, v32
	v_cmp_eq_u64_e64 s[20:21], v[6:7], v[8:9]
	v_mov_b32_e32 v50, v49
	v_mov_b32_e32 v49, v48
	s_and_saveexec_b64 s[92:93], s[20:21]
; %bb.2242:                             ;   in Loop: Header=BB2_2227 Depth=2
	v_bfe_u32 v6, v48, 20, 1
	v_add_co_u32_e64 v6, s[20:21], v48, v6
	v_add_co_u32_e64 v49, s[20:21], -1, v6
; %bb.2243:                             ;   in Loop: Header=BB2_2227 Depth=2
	s_or_b64 exec, exec, s[92:93]
	v_add_u32_e32 v4, 0xffffff81, v4
	v_cndmask_b32_e32 v4, v4, v44, vcc
	v_lshrrev_b32_e32 v6, 23, v48
	v_add3_u32 v6, v5, v4, v6
	v_add_u32_e32 v4, 6, v6
	v_and_b32_e32 v5, 0xfffff, v49
	v_add_u32_e32 v32, v5, v48
	v_cmp_ne_u32_e32 vcc, 0, v4
                                        ; implicit-def: $vgpr48_vgpr49
                                        ; implicit-def: $vgpr5
	s_and_saveexec_b64 s[20:21], vcc
	s_xor_b64 s[20:21], exec, s[20:21]
; %bb.2244:                             ;   in Loop: Header=BB2_2227 Depth=2
	v_cmp_lt_u64_e32 vcc, s[60:61], v[32:33]
	v_add_u32_e32 v5, 7, v6
	v_cndmask_b32_e32 v5, v4, v5, vcc
	v_cndmask_b32_e64 v4, 0, 1, vcc
	v_lshrrev_b64 v[48:49], v4, v[32:33]
; %bb.2245:                             ;   in Loop: Header=BB2_2227 Depth=2
	s_andn2_saveexec_b64 s[20:21], s[20:21]
; %bb.2246:                             ;   in Loop: Header=BB2_2227 Depth=2
	v_mov_b32_e32 v49, v33
	v_bfe_u32 v5, v32, 23, 1
	v_mov_b32_e32 v48, v32
; %bb.2247:                             ;   in Loop: Header=BB2_2227 Depth=2
	s_or_b64 exec, exec, s[20:21]
	v_lshrrev_b64 v[6:7], 20, v[48:49]
	v_cmp_gt_i32_e32 vcc, 16, v5
	v_cndmask_b32_e32 v49, 0, v7, vcc
	v_cndmask_b32_e32 v48, 7, v6, vcc
	v_cmp_ne_u64_e32 vcc, 0, v[48:49]
	v_cmp_ne_u32_e64 s[20:21], 0, v5
	s_or_b64 s[20:21], s[20:21], vcc
                                        ; implicit-def: $vgpr4
	s_and_saveexec_b64 s[92:93], s[20:21]
	s_xor_b64 s[20:21], exec, s[92:93]
; %bb.2248:                             ;   in Loop: Header=BB2_2227 Depth=2
	v_min_i32_e32 v4, 15, v5
	v_lshl_or_b32 v1, v4, 3, v1
	v_and_or_b32 v4, v48, 7, v1
                                        ; implicit-def: $vgpr1
; %bb.2249:                             ;   in Loop: Header=BB2_2227 Depth=2
	s_andn2_saveexec_b64 s[20:21], s[20:21]
; %bb.2250:                             ;   in Loop: Header=BB2_2227 Depth=2
	v_mov_b32_e32 v4, v1
; %bb.2251:                             ;   in Loop: Header=BB2_2227 Depth=2
	s_or_b64 exec, exec, s[20:21]
.LBB2_2252:                             ;   in Loop: Header=BB2_2227 Depth=2
	s_or_b64 exec, exec, s[90:91]
                                        ; implicit-def: $vgpr1
.LBB2_2253:                             ;   in Loop: Header=BB2_2227 Depth=2
	s_andn2_saveexec_b64 s[20:21], s[88:89]
; %bb.2254:                             ;   in Loop: Header=BB2_2227 Depth=2
	v_or_b32_e32 v4, 0x7e, v1
; %bb.2255:                             ;   in Loop: Header=BB2_2227 Depth=2
	s_or_b64 exec, exec, s[20:21]
                                        ; implicit-def: $vgpr5
.LBB2_2256:                             ;   in Loop: Header=BB2_2227 Depth=2
	s_andn2_saveexec_b64 s[20:21], s[78:79]
; %bb.2257:                             ;   in Loop: Header=BB2_2227 Depth=2
	v_or_b32_sdwa v4, v5, s51 dst_sel:DWORD dst_unused:UNUSED_PAD src0_sel:BYTE_3 src1_sel:DWORD
; %bb.2258:                             ;   in Loop: Header=BB2_2227 Depth=2
	s_or_b64 exec, exec, s[20:21]
	flat_load_ubyte v5, v[12:13] glc slc
	v_and_b32_e32 v30, 0xff, v4
	v_cmp_ne_u16_e32 vcc, 0, v30
	v_mov_b32_e32 v1, 0
	v_mov_b32_e32 v14, 0
	s_and_saveexec_b64 s[20:21], vcc
	s_cbranch_execz .LBB2_2264
; %bb.2259:                             ;   in Loop: Header=BB2_2227 Depth=2
	v_cmp_ne_u16_e32 vcc, s53, v30
	v_bfrev_b32_e32 v14, 1
	s_and_saveexec_b64 s[78:79], vcc
	s_cbranch_execz .LBB2_2263
; %bb.2260:                             ;   in Loop: Header=BB2_2227 Depth=2
	v_and_b32_e32 v6, 0x7f, v4
	v_cmp_ne_u32_e32 vcc, s51, v6
	v_mov_b32_e32 v14, 0x7f800001
	s_and_saveexec_b64 s[88:89], vcc
	s_cbranch_execz .LBB2_2262
; %bb.2261:                             ;   in Loop: Header=BB2_2227 Depth=2
	v_and_b32_e32 v8, 7, v30
	v_lshrrev_b32_e32 v9, 3, v6
	v_cmp_gt_u32_e32 vcc, 8, v6
	v_ffbh_u32_e32 v6, v8
	v_min_u32_e32 v14, 32, v6
	v_subrev_u32_e32 v6, 28, v14
	v_lshlrev_b64 v[6:7], v6, v[30:31]
	v_sub_u32_e32 v7, 29, v14
	v_and_b32_e32 v6, 7, v6
	v_cndmask_b32_e32 v7, v9, v7, vcc
	v_cndmask_b32_e32 v6, v8, v6, vcc
	v_lshlrev_b32_e32 v4, 24, v4
	v_lshlrev_b32_e32 v6, 20, v6
	v_and_b32_e32 v4, 0x80000000, v4
	v_lshl_add_u32 v7, v7, 23, v3
	v_or3_b32 v14, v4, v7, v6
.LBB2_2262:                             ;   in Loop: Header=BB2_2227 Depth=2
	s_or_b64 exec, exec, s[88:89]
.LBB2_2263:                             ;   in Loop: Header=BB2_2227 Depth=2
	s_or_b64 exec, exec, s[78:79]
.LBB2_2264:                             ;   in Loop: Header=BB2_2227 Depth=2
	s_or_b64 exec, exec, s[20:21]
	s_waitcnt vmcnt(0) lgkmcnt(0)
	v_and_b32_e32 v30, 0xff, v5
	v_cmp_ne_u16_e32 vcc, 0, v30
	s_and_saveexec_b64 s[20:21], vcc
	s_cbranch_execz .LBB2_2270
; %bb.2265:                             ;   in Loop: Header=BB2_2227 Depth=2
	v_cmp_ne_u16_e32 vcc, s53, v30
	v_bfrev_b32_e32 v1, 1
	s_and_saveexec_b64 s[78:79], vcc
	s_cbranch_execz .LBB2_2269
; %bb.2266:                             ;   in Loop: Header=BB2_2227 Depth=2
	v_and_b32_e32 v4, 0x7f, v5
	v_cmp_ne_u32_e32 vcc, s51, v4
	v_mov_b32_e32 v1, 0x7f800001
	s_and_saveexec_b64 s[88:89], vcc
	s_cbranch_execz .LBB2_2268
; %bb.2267:                             ;   in Loop: Header=BB2_2227 Depth=2
	v_and_b32_e32 v1, 7, v30
	v_lshrrev_b32_e32 v6, 3, v4
	v_cmp_gt_u32_e32 vcc, 8, v4
	v_ffbh_u32_e32 v4, v1
	v_min_u32_e32 v8, 32, v4
	v_lshlrev_b32_e32 v5, 24, v5
	v_subrev_u32_e32 v4, 28, v8
	v_and_b32_e32 v7, 0x80000000, v5
	v_lshlrev_b64 v[4:5], v4, v[30:31]
	v_sub_u32_e32 v5, 29, v8
	v_and_b32_e32 v4, 7, v4
	v_cndmask_b32_e32 v5, v6, v5, vcc
	v_cndmask_b32_e32 v1, v1, v4, vcc
	v_lshlrev_b32_e32 v1, 20, v1
	v_lshl_add_u32 v4, v5, 23, v3
	v_or3_b32 v1, v7, v4, v1
.LBB2_2268:                             ;   in Loop: Header=BB2_2227 Depth=2
	s_or_b64 exec, exec, s[88:89]
.LBB2_2269:                             ;   in Loop: Header=BB2_2227 Depth=2
	s_or_b64 exec, exec, s[78:79]
.LBB2_2270:                             ;   in Loop: Header=BB2_2227 Depth=2
	s_or_b64 exec, exec, s[20:21]
	v_add_f32_e32 v5, v14, v1
	v_and_b32_e32 v32, 0x7f800000, v5
	v_cmp_ne_u64_e32 vcc, s[56:57], v[32:33]
                                        ; implicit-def: $vgpr4
	s_and_saveexec_b64 s[20:21], vcc
	s_xor_b64 s[78:79], exec, s[20:21]
	s_cbranch_execz .LBB2_2288
; %bb.2271:                             ;   in Loop: Header=BB2_2227 Depth=2
	v_and_b32_e32 v32, 0x7fffffff, v5
	v_cmp_gt_u64_e32 vcc, s[58:59], v[32:33]
	v_and_b32_sdwa v1, v5, s53 dst_sel:DWORD dst_unused:UNUSED_PAD src0_sel:BYTE_3 src1_sel:DWORD
                                        ; implicit-def: $vgpr4
	s_and_saveexec_b64 s[20:21], vcc
	s_xor_b64 s[88:89], exec, s[20:21]
	s_cbranch_execz .LBB2_2285
; %bb.2272:                             ;   in Loop: Header=BB2_2227 Depth=2
	v_cmp_ne_u32_e32 vcc, 0, v5
	v_mov_b32_e32 v4, 0
	s_and_saveexec_b64 s[90:91], vcc
	s_cbranch_execz .LBB2_2284
; %bb.2273:                             ;   in Loop: Header=BB2_2227 Depth=2
	v_bfe_u32 v4, v5, 23, 8
	v_and_b32_e32 v6, 0x7fffff, v5
	v_cmp_gt_u32_e64 s[20:21], s54, v4
	v_sub_u32_e32 v5, 0x79, v4
	v_cmp_eq_u32_e32 vcc, 0, v4
	v_cndmask_b32_e64 v5, 0, v5, s[20:21]
	v_or_b32_e32 v7, 0x800000, v6
	v_cndmask_b32_e32 v5, v5, v47, vcc
	v_cndmask_b32_e32 v32, v7, v6, vcc
	v_add_u32_e32 v6, 20, v5
	v_lshlrev_b64 v[6:7], v6, -1
	v_add_u32_e32 v8, 19, v5
	v_lshlrev_b64 v[8:9], v8, 1
	v_lshrrev_b64 v[48:49], v5, v[32:33]
	v_bfi_b32 v7, v7, 0, 0
	v_bfi_b32 v6, v6, 0, v32
	v_cmp_eq_u64_e64 s[20:21], v[6:7], v[8:9]
	v_mov_b32_e32 v50, v49
	v_mov_b32_e32 v49, v48
	s_and_saveexec_b64 s[92:93], s[20:21]
; %bb.2274:                             ;   in Loop: Header=BB2_2227 Depth=2
	v_bfe_u32 v6, v48, 20, 1
	v_add_co_u32_e64 v6, s[20:21], v48, v6
	v_add_co_u32_e64 v49, s[20:21], -1, v6
; %bb.2275:                             ;   in Loop: Header=BB2_2227 Depth=2
	s_or_b64 exec, exec, s[92:93]
	v_add_u32_e32 v4, 0xffffff81, v4
	v_cndmask_b32_e32 v4, v4, v44, vcc
	v_lshrrev_b32_e32 v6, 23, v48
	v_add3_u32 v6, v5, v4, v6
	v_add_u32_e32 v4, 6, v6
	v_and_b32_e32 v5, 0xfffff, v49
	v_add_u32_e32 v32, v5, v48
	v_cmp_ne_u32_e32 vcc, 0, v4
                                        ; implicit-def: $vgpr48_vgpr49
                                        ; implicit-def: $vgpr5
	s_and_saveexec_b64 s[20:21], vcc
	s_xor_b64 s[20:21], exec, s[20:21]
; %bb.2276:                             ;   in Loop: Header=BB2_2227 Depth=2
	v_cmp_lt_u64_e32 vcc, s[60:61], v[32:33]
	v_add_u32_e32 v5, 7, v6
	v_cndmask_b32_e32 v5, v4, v5, vcc
	v_cndmask_b32_e64 v4, 0, 1, vcc
	v_lshrrev_b64 v[48:49], v4, v[32:33]
; %bb.2277:                             ;   in Loop: Header=BB2_2227 Depth=2
	s_andn2_saveexec_b64 s[20:21], s[20:21]
; %bb.2278:                             ;   in Loop: Header=BB2_2227 Depth=2
	v_mov_b32_e32 v49, v33
	v_bfe_u32 v5, v32, 23, 1
	v_mov_b32_e32 v48, v32
; %bb.2279:                             ;   in Loop: Header=BB2_2227 Depth=2
	s_or_b64 exec, exec, s[20:21]
	v_lshrrev_b64 v[6:7], 20, v[48:49]
	v_cmp_gt_i32_e32 vcc, 16, v5
	v_cndmask_b32_e32 v49, 0, v7, vcc
	v_cndmask_b32_e32 v48, 7, v6, vcc
	v_cmp_ne_u64_e32 vcc, 0, v[48:49]
	v_cmp_ne_u32_e64 s[20:21], 0, v5
	s_or_b64 s[20:21], s[20:21], vcc
                                        ; implicit-def: $vgpr4
	s_and_saveexec_b64 s[92:93], s[20:21]
	s_xor_b64 s[20:21], exec, s[92:93]
; %bb.2280:                             ;   in Loop: Header=BB2_2227 Depth=2
	v_min_i32_e32 v4, 15, v5
	v_lshl_or_b32 v1, v4, 3, v1
	v_and_or_b32 v4, v48, 7, v1
                                        ; implicit-def: $vgpr1
; %bb.2281:                             ;   in Loop: Header=BB2_2227 Depth=2
	s_andn2_saveexec_b64 s[20:21], s[20:21]
; %bb.2282:                             ;   in Loop: Header=BB2_2227 Depth=2
	v_mov_b32_e32 v4, v1
; %bb.2283:                             ;   in Loop: Header=BB2_2227 Depth=2
	s_or_b64 exec, exec, s[20:21]
.LBB2_2284:                             ;   in Loop: Header=BB2_2227 Depth=2
	s_or_b64 exec, exec, s[90:91]
                                        ; implicit-def: $vgpr1
.LBB2_2285:                             ;   in Loop: Header=BB2_2227 Depth=2
	s_andn2_saveexec_b64 s[20:21], s[88:89]
; %bb.2286:                             ;   in Loop: Header=BB2_2227 Depth=2
	v_or_b32_e32 v4, 0x7e, v1
; %bb.2287:                             ;   in Loop: Header=BB2_2227 Depth=2
	s_or_b64 exec, exec, s[20:21]
                                        ; implicit-def: $vgpr5
.LBB2_2288:                             ;   in Loop: Header=BB2_2227 Depth=2
	s_andn2_saveexec_b64 s[20:21], s[78:79]
	s_cbranch_execz .LBB2_2226
; %bb.2289:                             ;   in Loop: Header=BB2_2227 Depth=2
	v_or_b32_sdwa v4, v5, s51 dst_sel:DWORD dst_unused:UNUSED_PAD src0_sel:BYTE_3 src1_sel:DWORD
	s_branch .LBB2_2226
.LBB2_2290:                             ;   in Loop: Header=BB2_49 Depth=1
	s_or_b64 exec, exec, s[22:23]
	v_cmp_ne_u32_e64 s[20:21], 0, v45
	buffer_load_dword v45, off, s[0:3], s33 offset:176 ; 4-byte Folded Reload
	buffer_load_dword v16, off, s[0:3], s33 offset:168 ; 4-byte Folded Reload
	;; [unrolled: 1-line block ×3, first 2 shown]
	s_and_saveexec_b64 s[22:23], s[10:11]
	s_cbranch_execz .LBB2_2309
.LBB2_2291:                             ;   in Loop: Header=BB2_49 Depth=1
	s_and_saveexec_b64 s[76:77], s[42:43]
	s_xor_b64 s[76:77], exec, s[76:77]
	s_cbranch_execz .LBB2_2306
; %bb.2292:                             ;   in Loop: Header=BB2_49 Depth=1
	s_and_saveexec_b64 s[78:79], s[12:13]
	s_cbranch_execz .LBB2_2305
; %bb.2293:                             ;   in Loop: Header=BB2_49 Depth=1
	s_mov_b64 s[90:91], exec
	v_mbcnt_lo_u32_b32 v0, s90, 0
	v_mbcnt_hi_u32_b32 v0, s91, v0
	v_cmp_eq_u32_e32 vcc, 0, v0
	s_waitcnt vmcnt(0) lgkmcnt(0)
	buffer_wbinvl1_vol
	s_and_saveexec_b64 s[88:89], vcc
	s_cbranch_execz .LBB2_2295
; %bb.2294:                             ;   in Loop: Header=BB2_49 Depth=1
	s_bcnt1_i32_b64 s90, s[90:91]
	v_mov_b32_e32 v32, s90
	ds_add_u64 v0, v[32:33]
	s_trap 2
.LBB2_2295:                             ;   in Loop: Header=BB2_49 Depth=1
	s_or_b64 exec, exec, s[88:89]
	s_trap 2
	ds_read_b64 v[0:1], v0
	s_waitcnt lgkmcnt(0)
	buffer_load_dword v4, off, s[0:3], s33 offset:76 ; 4-byte Folded Reload
	buffer_load_dword v5, off, s[0:3], s33 offset:80 ; 4-byte Folded Reload
	s_waitcnt vmcnt(1)
	v_add_co_u32_e32 v4, vcc, v4, v56
	s_waitcnt vmcnt(0)
	v_addc_co_u32_e32 v5, vcc, 0, v5, vcc
	buffer_store_dword v4, off, s[0:3], s33 offset:76 ; 4-byte Folded Spill
	s_nop 0
	buffer_store_dword v5, off, s[0:3], s33 offset:80 ; 4-byte Folded Spill
	v_cmp_lt_u64_e32 vcc, v[0:1], v[4:5]
	s_and_saveexec_b64 s[88:89], vcc
	s_cbranch_execz .LBB2_2304
; %bb.2296:                             ;   in Loop: Header=BB2_49 Depth=1
	s_mov_b32 s36, 0
	s_mov_b64 s[90:91], 0
                                        ; implicit-def: $sgpr92_sgpr93
                                        ; implicit-def: $sgpr94_sgpr95
	s_branch .LBB2_2298
.LBB2_2297:                             ;   in Loop: Header=BB2_2298 Depth=2
	s_or_b64 exec, exec, s[34:35]
	s_and_b64 vcc, exec, vcc
	s_or_b64 s[90:91], vcc, s[90:91]
	s_andn2_b64 s[92:93], s[92:93], exec
	s_and_b64 vcc, s[94:95], exec
	s_or_b64 s[92:93], s[92:93], vcc
	s_andn2_b64 exec, exec, s[90:91]
	s_cbranch_execz .LBB2_2302
.LBB2_2298:                             ;   Parent Loop BB2_49 Depth=1
                                        ; =>  This Inner Loop Header: Depth=2
	s_add_i32 s36, s36, 1
	s_cmpk_lg_i32 s36, 0x2710
	s_cselect_b64 s[30:31], -1, 0
	s_and_b64 vcc, exec, s[30:31]
	s_cbranch_vccz .LBB2_2300
; %bb.2299:                             ;   in Loop: Header=BB2_2298 Depth=2
	s_mov_b64 vcc, -1
	s_or_b64 s[94:95], s[94:95], exec
	s_and_saveexec_b64 s[34:35], s[30:31]
	s_cbranch_execz .LBB2_2297
	s_branch .LBB2_2301
.LBB2_2300:                             ;   in Loop: Header=BB2_2298 Depth=2
	s_trap 2
	ds_read_b64 v[0:1], v0
	s_andn2_b64 s[30:31], s[30:31], exec
	s_mov_b32 s36, 0
	s_waitcnt vmcnt(0) lgkmcnt(0)
	flat_load_dword v0, v[0:1] glc
	s_waitcnt vmcnt(0) lgkmcnt(0)
	buffer_wbinvl1_vol
	v_cmp_eq_u32_e32 vcc, 0, v0
	s_and_b64 vcc, vcc, exec
	s_or_b64 s[30:31], s[30:31], vcc
	s_mov_b64 vcc, -1
	s_or_b64 s[94:95], s[94:95], exec
	s_and_saveexec_b64 s[34:35], s[30:31]
	s_cbranch_execz .LBB2_2297
.LBB2_2301:                             ;   in Loop: Header=BB2_2298 Depth=2
	s_sleep 1
	s_trap 2
	ds_read_b64 v[0:1], v0
	s_waitcnt lgkmcnt(0)
	buffer_load_dword v4, off, s[0:3], s33 offset:76 ; 4-byte Folded Reload
	buffer_load_dword v5, off, s[0:3], s33 offset:80 ; 4-byte Folded Reload
	s_andn2_b64 s[94:95], s[94:95], exec
	s_waitcnt vmcnt(0)
	v_cmp_ge_u64_e32 vcc, v[0:1], v[4:5]
	s_orn2_b64 vcc, vcc, exec
	s_branch .LBB2_2297
.LBB2_2302:                             ;   in Loop: Header=BB2_49 Depth=1
	s_or_b64 exec, exec, s[90:91]
	s_and_saveexec_b64 s[90:91], s[92:93]
	s_xor_b64 s[90:91], exec, s[90:91]
	s_cbranch_execz .LBB2_2304
; %bb.2303:                             ;   in Loop: Header=BB2_49 Depth=1
	ds_write_b32 v0, v55
	s_trap 2
.LBB2_2304:                             ;   in Loop: Header=BB2_49 Depth=1
	s_or_b64 exec, exec, s[88:89]
	;;#ASMSTART
	s_wakeup
	;;#ASMEND
.LBB2_2305:                             ;   in Loop: Header=BB2_49 Depth=1
	s_or_b64 exec, exec, s[78:79]
.LBB2_2306:                             ;   in Loop: Header=BB2_49 Depth=1
	s_andn2_saveexec_b64 s[76:77], s[76:77]
	s_cbranch_execz .LBB2_2308
; %bb.2307:                             ;   in Loop: Header=BB2_49 Depth=1
	s_waitcnt vmcnt(0) lgkmcnt(0)
	buffer_wbinvl1_vol
	s_barrier
.LBB2_2308:                             ;   in Loop: Header=BB2_49 Depth=1
	s_or_b64 exec, exec, s[76:77]
.LBB2_2309:                             ;   in Loop: Header=BB2_49 Depth=1
	s_or_b64 exec, exec, s[22:23]
	s_waitcnt vmcnt(0)
	v_and_b32_e32 v0, 16, v45
	v_cmp_ne_u32_e32 vcc, 0, v0
	s_and_b64 s[22:23], vcc, s[20:21]
	s_and_saveexec_b64 s[20:21], s[22:23]
	s_cbranch_execz .LBB2_2311
; %bb.2310:                             ;   in Loop: Header=BB2_49 Depth=1
	s_waitcnt lgkmcnt(0)
	buffer_wbinvl1_vol
.LBB2_2311:                             ;   in Loop: Header=BB2_49 Depth=1
	s_or_b64 exec, exec, s[20:21]
	v_cmp_ne_u32_e32 vcc, 0, v0
	s_xor_b64 s[20:21], s[18:19], -1
	s_and_b64 s[22:23], vcc, s[20:21]
	s_and_saveexec_b64 s[20:21], s[22:23]
	s_cbranch_execz .LBB2_2313
; %bb.2312:                             ;   in Loop: Header=BB2_49 Depth=1
	buffer_load_dword v0, off, s[0:3], s33 offset:156 ; 4-byte Folded Reload
	buffer_load_dword v1, off, s[0:3], s33 offset:160 ; 4-byte Folded Reload
	s_waitcnt vmcnt(0)
	flat_store_dword v[0:1], v55
.LBB2_2313:                             ;   in Loop: Header=BB2_49 Depth=1
	s_or_b64 exec, exec, s[20:21]
	v_and_b32_e32 v0, 48, v45
	v_cmp_ne_u32_e32 vcc, 0, v0
	s_and_saveexec_b64 s[20:21], vcc
	s_cbranch_execz .LBB2_2315
; %bb.2314:                             ;   in Loop: Header=BB2_49 Depth=1
	buffer_load_dword v4, off, s[0:3], s33 offset:60 ; 4-byte Folded Reload
	buffer_load_dword v5, off, s[0:3], s33 offset:64 ; 4-byte Folded Reload
	;; [unrolled: 1-line block ×4, first 2 shown]
	s_waitcnt vmcnt(0)
	v_add_co_u32_e32 v6, vcc, 1, v6
	v_addc_co_u32_e32 v7, vcc, 0, v7, vcc
	buffer_store_dword v4, off, s[0:3], s33 offset:60 ; 4-byte Folded Spill
	s_nop 0
	buffer_store_dword v5, off, s[0:3], s33 offset:64 ; 4-byte Folded Spill
	buffer_store_dword v6, off, s[0:3], s33 offset:68 ; 4-byte Folded Spill
	;; [unrolled: 1-line block ×3, first 2 shown]
	flat_store_dwordx2 v[18:19], v[6:7]
.LBB2_2315:                             ;   in Loop: Header=BB2_49 Depth=1
	s_or_b64 exec, exec, s[20:21]
	v_mov_b32_e32 v0, v37
.LBB2_2316:                             ;   in Loop: Header=BB2_49 Depth=1
	s_or_b64 exec, exec, s[74:75]
	s_and_saveexec_b64 s[22:23], s[72:73]
	s_cbranch_execz .LBB2_48
; %bb.2317:                             ;   in Loop: Header=BB2_49 Depth=1
	v_sub_u32_e32 v0, v36, v0
	v_min_i32_e32 v10, v37, v0
	v_and_b32_e32 v0, 12, v45
	v_cmp_ne_u32_e32 vcc, 0, v0
	s_and_saveexec_b64 s[72:73], vcc
	s_cbranch_execz .LBB2_2341
; %bb.2318:                             ;   in Loop: Header=BB2_49 Depth=1
	buffer_load_dword v6, off, s[0:3], s33 offset:60 ; 4-byte Folded Reload
	buffer_load_dword v7, off, s[0:3], s33 offset:64 ; 4-byte Folded Reload
	;; [unrolled: 1-line block ×4, first 2 shown]
	v_and_b32_e32 v0, 8, v45
	v_add_co_u32_e32 v4, vcc, v24, v0
	v_addc_co_u32_e32 v5, vcc, 0, v25, vcc
	s_waitcnt vmcnt(0)
	v_add_co_u32_e32 v12, vcc, 1, v8
	v_addc_co_u32_e32 v13, vcc, 0, v9, vcc
	v_cmp_lt_u64_e32 vcc, v[4:5], v[12:13]
	s_and_saveexec_b64 s[74:75], vcc
	s_cbranch_execz .LBB2_2330
; %bb.2319:                             ;   in Loop: Header=BB2_49 Depth=1
	v_and_b32_e32 v1, 64, v45
	s_mov_b32 s38, 0
	v_cmp_eq_u32_e32 vcc, 0, v1
	s_mov_b64 s[76:77], 0
                                        ; implicit-def: $sgpr78_sgpr79
                                        ; implicit-def: $sgpr88_sgpr89
                                        ; implicit-def: $sgpr90_sgpr91
	s_branch .LBB2_2322
.LBB2_2320:                             ;   in Loop: Header=BB2_2322 Depth=2
	s_or_b64 exec, exec, s[36:37]
	s_andn2_b64 s[20:21], s[90:91], exec
	s_and_b64 s[90:91], s[30:31], exec
	s_or_b64 s[90:91], s[20:21], s[90:91]
	s_andn2_b64 s[20:21], s[88:89], exec
	s_and_b64 s[88:89], s[94:95], exec
	s_or_b64 s[88:89], s[20:21], s[88:89]
.LBB2_2321:                             ;   in Loop: Header=BB2_2322 Depth=2
	s_or_b64 exec, exec, s[92:93]
	s_and_b64 s[20:21], exec, s[88:89]
	s_or_b64 s[76:77], s[20:21], s[76:77]
	s_andn2_b64 s[20:21], s[78:79], exec
	s_and_b64 s[78:79], s[90:91], exec
	s_or_b64 s[78:79], s[20:21], s[78:79]
	s_andn2_b64 exec, exec, s[76:77]
	s_cbranch_execz .LBB2_2327
.LBB2_2322:                             ;   Parent Loop BB2_49 Depth=1
                                        ; =>  This Inner Loop Header: Depth=2
	s_sleep 1
	s_waitcnt vmcnt(0) lgkmcnt(0)
	flat_load_dwordx2 v[24:25], v[18:19] glc
	s_or_b64 s[90:91], s[90:91], exec
	s_or_b64 s[88:89], s[88:89], exec
                                        ; implicit-def: $vgpr1
	s_and_saveexec_b64 s[92:93], vcc
	s_cbranch_execz .LBB2_2321
; %bb.2323:                             ;   in Loop: Header=BB2_2322 Depth=2
	s_cmpk_lt_i32 s38, 0x270f
	s_cselect_b64 s[34:35], -1, 0
	s_cmpk_gt_i32 s38, 0x270e
	s_mov_b64 s[94:95], -1
	s_cbranch_scc0 .LBB2_2325
; %bb.2324:                             ;   in Loop: Header=BB2_2322 Depth=2
	s_trap 2
	ds_read_b64 v[4:5], v0
	s_andn2_b64 s[34:35], s[34:35], exec
	s_mov_b32 s38, 0
	s_mov_b64 s[30:31], 0
	s_waitcnt vmcnt(0) lgkmcnt(0)
	flat_load_dword v1, v[4:5] glc
	s_waitcnt vmcnt(0) lgkmcnt(0)
	buffer_wbinvl1_vol
	v_cmp_eq_u32_e64 s[20:21], 0, v1
	s_and_b64 s[20:21], s[20:21], exec
	s_or_b64 s[34:35], s[34:35], s[20:21]
	s_and_saveexec_b64 s[36:37], s[34:35]
	s_cbranch_execz .LBB2_2320
	s_branch .LBB2_2326
.LBB2_2325:                             ;   in Loop: Header=BB2_2322 Depth=2
	s_add_i32 s38, s38, 1
	s_mov_b64 s[30:31], -1
                                        ; implicit-def: $vgpr1
	s_and_saveexec_b64 s[36:37], s[34:35]
	s_cbranch_execz .LBB2_2320
.LBB2_2326:                             ;   in Loop: Header=BB2_2322 Depth=2
	s_waitcnt vmcnt(0) lgkmcnt(0)
	v_add_co_u32_e64 v4, s[20:21], v24, v0
	v_addc_co_u32_e64 v5, s[20:21], 0, v25, s[20:21]
	v_cmp_ge_u64_e64 s[20:21], v[4:5], v[12:13]
	s_or_b64 s[30:31], s[30:31], exec
	s_orn2_b64 s[94:95], s[20:21], exec
	s_branch .LBB2_2320
.LBB2_2327:                             ;   in Loop: Header=BB2_49 Depth=1
	s_or_b64 exec, exec, s[76:77]
	s_xor_b64 s[20:21], s[78:79], -1
	s_and_saveexec_b64 s[76:77], s[20:21]
	s_xor_b64 s[20:21], exec, s[76:77]
	s_cbranch_execz .LBB2_2329
; %bb.2328:                             ;   in Loop: Header=BB2_49 Depth=1
	v_or_b32_e32 v45, 64, v45
	s_waitcnt lgkmcnt(0)
	ds_write_b32 v0, v1
	s_trap 2
.LBB2_2329:                             ;   in Loop: Header=BB2_49 Depth=1
	s_or_b64 exec, exec, s[20:21]
.LBB2_2330:                             ;   in Loop: Header=BB2_49 Depth=1
	s_or_b64 exec, exec, s[74:75]
	;;#ASMSTART
	s_wakeup
	;;#ASMEND
	buffer_load_dword v4, off, s[0:3], s33 offset:60 ; 4-byte Folded Reload
	buffer_load_dword v5, off, s[0:3], s33 offset:64 ; 4-byte Folded Reload
	;; [unrolled: 1-line block ×4, first 2 shown]
	v_and_b32_e32 v1, 0x108, v45
	v_cmp_ne_u32_e32 vcc, s50, v1
	s_waitcnt vmcnt(0)
	v_and_b32_e32 v1, 7, v6
	s_and_saveexec_b64 s[20:21], vcc
	s_xor_b64 s[20:21], exec, s[20:21]
	s_andn2_saveexec_b64 s[20:21], s[20:21]
	s_cbranch_execz .LBB2_2332
; %bb.2331:                             ;   in Loop: Header=BB2_49 Depth=1
	buffer_load_dword v4, off, s[0:3], s33 offset:60 ; 4-byte Folded Reload
	buffer_load_dword v5, off, s[0:3], s33 offset:64 ; 4-byte Folded Reload
	;; [unrolled: 1-line block ×4, first 2 shown]
	v_ashrrev_i32_e32 v11, 31, v10
	s_waitcnt vmcnt(0)
	v_mad_u64_u32 v[4:5], s[74:75], v1, 24, v[4:5]
	flat_store_dwordx2 v[4:5], v[10:11] offset:8
.LBB2_2332:                             ;   in Loop: Header=BB2_49 Depth=1
	s_or_b64 exec, exec, s[20:21]
	v_and_b32_e32 v4, 0x100, v45
	v_cmp_ne_u32_e32 vcc, 0, v4
	s_mov_b64 s[20:21], -1
                                        ; implicit-def: $vgpr8_vgpr9
	s_and_saveexec_b64 s[74:75], vcc
	s_cbranch_execz .LBB2_2336
; %bb.2333:                             ;   in Loop: Header=BB2_49 Depth=1
	buffer_load_dword v4, off, s[0:3], s33 offset:60 ; 4-byte Folded Reload
	buffer_load_dword v5, off, s[0:3], s33 offset:64 ; 4-byte Folded Reload
	;; [unrolled: 1-line block ×4, first 2 shown]
                                        ; implicit-def: $vgpr8_vgpr9
	s_waitcnt vmcnt(0)
	v_mad_u64_u32 v[36:37], s[20:21], v1, 24, v[4:5]
	v_mov_b32_e32 v4, v37
	v_mad_u64_u32 v[4:5], s[20:21], v33, 24, v[4:5]
	v_mov_b32_e32 v37, v4
	flat_load_dword v4, v[36:37]
	s_waitcnt vmcnt(0) lgkmcnt(0)
	v_cmp_ne_u32_e32 vcc, 1, v4
	v_cmp_eq_u32_e64 s[20:21], 1, v4
	s_and_saveexec_b64 s[76:77], s[20:21]
	s_cbranch_execz .LBB2_2335
; %bb.2334:                             ;   in Loop: Header=BB2_49 Depth=1
	flat_load_dword v8, v[36:37] offset:4 glc
	s_waitcnt vmcnt(0) lgkmcnt(0)
	v_ashrrev_i32_e32 v9, 31, v8
.LBB2_2335:                             ;   in Loop: Header=BB2_49 Depth=1
	s_or_b64 exec, exec, s[76:77]
	s_orn2_b64 s[20:21], vcc, exec
.LBB2_2336:                             ;   in Loop: Header=BB2_49 Depth=1
	s_or_b64 exec, exec, s[74:75]
	s_and_saveexec_b64 s[74:75], s[20:21]
	s_cbranch_execz .LBB2_2338
; %bb.2337:                             ;   in Loop: Header=BB2_49 Depth=1
	buffer_load_dword v6, off, s[0:3], s33 offset:152 ; 4-byte Folded Reload
	v_mul_lo_u32 v5, v1, v61
	s_waitcnt vmcnt(0)
	v_mul_lo_u32 v4, v33, v6
	v_mad_u64_u32 v[8:9], s[20:21], v1, v6, 0
	v_add3_u32 v9, v9, v5, v4
.LBB2_2338:                             ;   in Loop: Header=BB2_49 Depth=1
	s_or_b64 exec, exec, s[74:75]
	v_cmp_eq_u32_e32 vcc, 0, v0
	v_mov_b32_e32 v0, 0xc8
	v_mov_b32_e32 v1, 0x90
	v_cndmask_b32_e32 v4, v0, v1, vcc
	buffer_load_dword v0, off, s[0:3], s33 offset:120 ; 4-byte Folded Reload
	buffer_load_dword v1, off, s[0:3], s33 offset:124 ; 4-byte Folded Reload
	s_waitcnt vmcnt(0)
	v_add_co_u32_e32 v0, vcc, v0, v8
	v_addc_co_u32_e32 v1, vcc, v1, v9, vcc
	v_add_u32_e32 v4, v0, v4
	ds_write_b64 v4, v[0:1] offset:584
	v_and_b32_e32 v0, 0x2000, v45
	v_cmp_ne_u32_e32 vcc, 0, v0
	s_and_saveexec_b64 s[20:21], vcc
	s_cbranch_execz .LBB2_2340
; %bb.2339:                             ;   in Loop: Header=BB2_49 Depth=1
	ds_read_b64 v[0:1], v0 offset:872
	s_waitcnt lgkmcnt(0)
	v_add_co_u32_e32 v0, vcc, 1, v0
	v_addc_co_u32_e32 v1, vcc, 0, v1, vcc
	ds_write_b64 v0, v[0:1] offset:872
.LBB2_2340:                             ;   in Loop: Header=BB2_49 Depth=1
	s_or_b64 exec, exec, s[20:21]
	buffer_load_dword v4, off, s[0:3], s33 offset:60 ; 4-byte Folded Reload
	buffer_load_dword v5, off, s[0:3], s33 offset:64 ; 4-byte Folded Reload
	;; [unrolled: 1-line block ×4, first 2 shown]
	s_waitcnt vmcnt(0)
	v_mov_b32_e32 v6, v12
	v_mov_b32_e32 v7, v13
	buffer_store_dword v4, off, s[0:3], s33 offset:60 ; 4-byte Folded Spill
	s_nop 0
	buffer_store_dword v5, off, s[0:3], s33 offset:64 ; 4-byte Folded Spill
	buffer_store_dword v6, off, s[0:3], s33 offset:68 ; 4-byte Folded Spill
	;; [unrolled: 1-line block ×3, first 2 shown]
.LBB2_2341:                             ;   in Loop: Header=BB2_49 Depth=1
	s_or_b64 exec, exec, s[72:73]
	s_and_saveexec_b64 s[20:21], s[10:11]
	s_cbranch_execz .LBB2_2360
; %bb.2342:                             ;   in Loop: Header=BB2_49 Depth=1
	s_and_saveexec_b64 s[72:73], s[42:43]
	s_xor_b64 s[72:73], exec, s[72:73]
	s_cbranch_execz .LBB2_2357
; %bb.2343:                             ;   in Loop: Header=BB2_49 Depth=1
	s_and_saveexec_b64 s[74:75], s[12:13]
	s_cbranch_execz .LBB2_2356
; %bb.2344:                             ;   in Loop: Header=BB2_49 Depth=1
	s_mov_b64 s[78:79], exec
	v_mbcnt_lo_u32_b32 v0, s78, 0
	v_mbcnt_hi_u32_b32 v0, s79, v0
	v_cmp_eq_u32_e32 vcc, 0, v0
	s_waitcnt vmcnt(0) lgkmcnt(0)
	buffer_wbinvl1_vol
	s_and_saveexec_b64 s[76:77], vcc
	s_cbranch_execz .LBB2_2346
; %bb.2345:                             ;   in Loop: Header=BB2_49 Depth=1
	s_bcnt1_i32_b64 s78, s[78:79]
	v_mov_b32_e32 v32, s78
	ds_add_u64 v0, v[32:33]
	s_trap 2
.LBB2_2346:                             ;   in Loop: Header=BB2_49 Depth=1
	s_or_b64 exec, exec, s[76:77]
	s_trap 2
	ds_read_b64 v[0:1], v0
	s_waitcnt lgkmcnt(0)
	buffer_load_dword v4, off, s[0:3], s33 offset:76 ; 4-byte Folded Reload
	buffer_load_dword v5, off, s[0:3], s33 offset:80 ; 4-byte Folded Reload
	s_waitcnt vmcnt(1)
	v_add_co_u32_e32 v4, vcc, v4, v56
	s_waitcnt vmcnt(0)
	v_addc_co_u32_e32 v5, vcc, 0, v5, vcc
	buffer_store_dword v4, off, s[0:3], s33 offset:76 ; 4-byte Folded Spill
	s_nop 0
	buffer_store_dword v5, off, s[0:3], s33 offset:80 ; 4-byte Folded Spill
	v_cmp_lt_u64_e32 vcc, v[0:1], v[4:5]
	s_and_saveexec_b64 s[76:77], vcc
	s_cbranch_execz .LBB2_2355
; %bb.2347:                             ;   in Loop: Header=BB2_49 Depth=1
	s_mov_b32 s30, 0
	s_mov_b64 s[78:79], 0
                                        ; implicit-def: $sgpr88_sgpr89
                                        ; implicit-def: $sgpr90_sgpr91
	s_branch .LBB2_2349
.LBB2_2348:                             ;   in Loop: Header=BB2_2349 Depth=2
	s_or_b64 exec, exec, s[94:95]
	s_and_b64 s[92:93], exec, vcc
	s_or_b64 s[78:79], s[92:93], s[78:79]
	s_andn2_b64 s[88:89], s[88:89], exec
	s_and_b64 s[92:93], s[90:91], exec
	s_or_b64 s[88:89], s[88:89], s[92:93]
	s_andn2_b64 exec, exec, s[78:79]
	s_cbranch_execz .LBB2_2353
.LBB2_2349:                             ;   Parent Loop BB2_49 Depth=1
                                        ; =>  This Inner Loop Header: Depth=2
	s_add_i32 s30, s30, 1
	s_cmpk_lg_i32 s30, 0x2710
	s_cselect_b64 s[92:93], -1, 0
	s_and_b64 vcc, exec, s[92:93]
	s_cbranch_vccz .LBB2_2351
; %bb.2350:                             ;   in Loop: Header=BB2_2349 Depth=2
	s_mov_b64 vcc, -1
	s_or_b64 s[90:91], s[90:91], exec
	s_and_saveexec_b64 s[94:95], s[92:93]
	s_cbranch_execz .LBB2_2348
	s_branch .LBB2_2352
.LBB2_2351:                             ;   in Loop: Header=BB2_2349 Depth=2
	s_trap 2
	ds_read_b64 v[0:1], v0
	s_andn2_b64 s[92:93], s[92:93], exec
	s_mov_b32 s30, 0
	s_waitcnt vmcnt(0) lgkmcnt(0)
	flat_load_dword v0, v[0:1] glc
	s_waitcnt vmcnt(0) lgkmcnt(0)
	buffer_wbinvl1_vol
	v_cmp_eq_u32_e32 vcc, 0, v0
	s_and_b64 s[94:95], vcc, exec
	s_or_b64 s[92:93], s[92:93], s[94:95]
	s_mov_b64 vcc, -1
	s_or_b64 s[90:91], s[90:91], exec
	s_and_saveexec_b64 s[94:95], s[92:93]
	s_cbranch_execz .LBB2_2348
.LBB2_2352:                             ;   in Loop: Header=BB2_2349 Depth=2
	s_sleep 1
	s_trap 2
	ds_read_b64 v[0:1], v0
	s_waitcnt lgkmcnt(0)
	buffer_load_dword v4, off, s[0:3], s33 offset:76 ; 4-byte Folded Reload
	buffer_load_dword v5, off, s[0:3], s33 offset:80 ; 4-byte Folded Reload
	s_andn2_b64 s[90:91], s[90:91], exec
	s_waitcnt vmcnt(0)
	v_cmp_ge_u64_e32 vcc, v[0:1], v[4:5]
	s_orn2_b64 vcc, vcc, exec
	s_branch .LBB2_2348
.LBB2_2353:                             ;   in Loop: Header=BB2_49 Depth=1
	s_or_b64 exec, exec, s[78:79]
	s_and_saveexec_b64 s[78:79], s[88:89]
	s_xor_b64 s[78:79], exec, s[78:79]
	s_cbranch_execz .LBB2_2355
; %bb.2354:                             ;   in Loop: Header=BB2_49 Depth=1
	ds_write_b32 v0, v55
	s_trap 2
.LBB2_2355:                             ;   in Loop: Header=BB2_49 Depth=1
	s_or_b64 exec, exec, s[76:77]
	;;#ASMSTART
	s_wakeup
	;;#ASMEND
.LBB2_2356:                             ;   in Loop: Header=BB2_49 Depth=1
	s_or_b64 exec, exec, s[74:75]
.LBB2_2357:                             ;   in Loop: Header=BB2_49 Depth=1
	s_andn2_saveexec_b64 s[72:73], s[72:73]
	s_cbranch_execz .LBB2_2359
; %bb.2358:                             ;   in Loop: Header=BB2_49 Depth=1
	s_waitcnt vmcnt(0) lgkmcnt(0)
	buffer_wbinvl1_vol
	s_barrier
.LBB2_2359:                             ;   in Loop: Header=BB2_49 Depth=1
	s_or_b64 exec, exec, s[72:73]
.LBB2_2360:                             ;   in Loop: Header=BB2_49 Depth=1
	s_or_b64 exec, exec, s[20:21]
	s_trap 2
	ds_read_b32 v1, v0
	v_cmp_lt_i32_e32 vcc, 0, v10
	v_and_b32_e32 v0, 16, v45
	s_waitcnt lgkmcnt(0)
	v_readfirstlane_b32 s20, v1
	s_cmp_eq_u32 s20, 0
	s_cselect_b64 s[20:21], -1, 0
	s_and_b64 s[20:21], vcc, s[20:21]
	v_cmp_ne_u32_e32 vcc, 0, v0
	s_and_b64 s[72:73], vcc, s[20:21]
	s_and_saveexec_b64 s[20:21], s[72:73]
	s_cbranch_execz .LBB2_2362
; %bb.2361:                             ;   in Loop: Header=BB2_49 Depth=1
	s_waitcnt vmcnt(0)
	buffer_wbinvl1_vol
.LBB2_2362:                             ;   in Loop: Header=BB2_49 Depth=1
	s_or_b64 exec, exec, s[20:21]
	v_cmp_ne_u32_e32 vcc, 0, v0
	s_xor_b64 s[20:21], s[18:19], -1
	s_and_b64 s[72:73], vcc, s[20:21]
	s_and_saveexec_b64 s[20:21], s[72:73]
	s_cbranch_execz .LBB2_2364
; %bb.2363:                             ;   in Loop: Header=BB2_49 Depth=1
	buffer_load_dword v0, off, s[0:3], s33 offset:156 ; 4-byte Folded Reload
	buffer_load_dword v1, off, s[0:3], s33 offset:160 ; 4-byte Folded Reload
	s_waitcnt vmcnt(0)
	flat_store_dword v[0:1], v55
.LBB2_2364:                             ;   in Loop: Header=BB2_49 Depth=1
	s_or_b64 exec, exec, s[20:21]
	v_and_b32_e32 v0, 48, v45
	v_cmp_ne_u32_e32 vcc, 0, v0
	s_and_saveexec_b64 s[20:21], vcc
	s_cbranch_execz .LBB2_47
; %bb.2365:                             ;   in Loop: Header=BB2_49 Depth=1
	buffer_load_dword v4, off, s[0:3], s33 offset:60 ; 4-byte Folded Reload
	buffer_load_dword v5, off, s[0:3], s33 offset:64 ; 4-byte Folded Reload
	;; [unrolled: 1-line block ×4, first 2 shown]
	s_waitcnt vmcnt(0)
	v_add_co_u32_e32 v6, vcc, 1, v6
	v_addc_co_u32_e32 v7, vcc, 0, v7, vcc
	buffer_store_dword v4, off, s[0:3], s33 offset:60 ; 4-byte Folded Spill
	s_nop 0
	buffer_store_dword v5, off, s[0:3], s33 offset:64 ; 4-byte Folded Spill
	buffer_store_dword v6, off, s[0:3], s33 offset:68 ; 4-byte Folded Spill
	;; [unrolled: 1-line block ×3, first 2 shown]
	flat_store_dwordx2 v[18:19], v[6:7]
	s_branch .LBB2_47
.LBB2_2366:
	s_or_b64 exec, exec, s[44:45]
	buffer_load_dword v14, off, s[0:3], s33 offset:180 ; 4-byte Folded Reload
	buffer_load_dword v31, off, s[0:3], s33 offset:184 ; 4-byte Folded Reload
	;; [unrolled: 1-line block ×9, first 2 shown]
.LBB2_2367:
	s_or_b64 exec, exec, s[40:41]
                                        ; implicit-def: $vgpr0
                                        ; kill: killed $vgpr0
                                        ; implicit-def: $vgpr16_vgpr17
                                        ; implicit-def: $vgpr3_vgpr4
                                        ; implicit-def: $vgpr24_vgpr25
                                        ; implicit-def: $vgpr18_vgpr19
                                        ; implicit-def: $vgpr15
                                        ; implicit-def: $vgpr20
                                        ; implicit-def: $vgpr0_vgpr1
                                        ; kill: killed $vgpr0_vgpr1
                                        ; implicit-def: $vgpr0
.LBB2_2368:
	s_andn2_saveexec_b64 s[22:23], s[28:29]
	s_cbranch_execz .LBB2_4684
; %bb.2369:
	v_mov_b32_e32 v1, 0
	s_waitcnt vmcnt(0)
	v_cmp_ne_u64_e32 vcc, 0, v[3:4]
	v_mov_b32_e32 v2, 0
	buffer_store_dword v1, off, s[0:3], s33 offset:76 ; 4-byte Folded Spill
	s_nop 0
	buffer_store_dword v2, off, s[0:3], s33 offset:80 ; 4-byte Folded Spill
	s_and_saveexec_b64 s[28:29], vcc
	s_cbranch_execz .LBB2_4683
; %bb.2370:
	s_ashr_i32 s6, s48, 31
	v_and_b32_e32 v1, 63, v31
	s_lshr_b32 s6, s6, 24
	v_cmp_eq_u32_e64 s[12:13], 0, v1
	v_and_b32_e32 v1, 63, v15
	buffer_store_dword v8, off, s[0:3], s33 offset:192 ; 4-byte Folded Spill
	s_nop 0
	buffer_store_dword v9, off, s[0:3], s33 offset:196 ; 4-byte Folded Spill
	buffer_store_dword v48, off, s[0:3], s33 offset:60 ; 4-byte Folded Spill
	s_nop 0
	buffer_store_dword v49, off, s[0:3], s33 offset:64 ; 4-byte Folded Spill
	s_waitcnt lgkmcnt(0)
	buffer_store_dword v50, off, s[0:3], s33 offset:68 ; 4-byte Folded Spill
	buffer_store_dword v51, off, s[0:3], s33 offset:72 ; 4-byte Folded Spill
	s_add_i32 s6, s48, s6
	s_trap 2
	v_cmp_eq_u32_e32 vcc, 64, v14
	v_lshrrev_b32_e32 v2, 6, v14
	v_cmp_le_u32_e64 s[14:15], v1, v0
	buffer_store_dword v1, off, s[0:3], s33 offset:176 ; 4-byte Folded Spill
	v_cmp_eq_u32_e64 s[16:17], 0, v1
	v_mov_b32_e32 v32, 0
	v_mov_b32_e32 v0, 0
	s_mov_b32 s60, -1
	s_ashr_i32 s38, s6, 8
	v_cmp_ge_u32_e64 s[6:7], v15, v14
	v_cmp_ne_u32_e64 s[10:11], 64, v14
	v_cmp_ne_u32_sdwa s[40:41], v14, v7 src0_sel:DWORD src1_sel:WORD_0
	v_mov_b32_e32 v29, 0
	v_lshlrev_b32_e32 v52, 4, v15
	v_lshlrev_b32_e32 v42, 10, v2
	;; [unrolled: 1-line block ×3, first 2 shown]
	v_and_b32_e32 v50, 0x3fc0, v14
	s_mov_b64 s[42:43], 0
	v_mov_b32_e32 v33, 0
	v_mov_b32_e32 v1, 0
	s_xor_b64 s[44:45], vcc, -1
	s_movk_i32 s39, 0x7f
	s_movk_i32 s49, 0xff
	;; [unrolled: 1-line block ×3, first 2 shown]
	s_mov_b64 s[46:47], 0x7f800000
	s_mov_b64 s[56:57], 0x43e00001
	s_movk_i32 s51, 0x7a
	s_mov_b64 s[58:59], 0xffffff
	s_mov_b32 s61, 0xffffff
	s_mov_b32 s52, 0x3ffffc00
	s_movk_i32 s53, 0xffc0
	v_mov_b32_e32 v56, 0x7f800001
	v_bfrev_b32_e32 v57, 60
	v_mov_b32_e32 v58, 0x78
	v_mov_b32_e32 v59, 0xffffff82
	v_bfrev_b32_e32 v61, 1
	buffer_store_dword v7, off, s[0:3], s33 offset:188 ; 4-byte Folded Spill
	buffer_store_dword v31, off, s[0:3], s33 offset:184 ; 4-byte Folded Spill
	;; [unrolled: 1-line block ×5, first 2 shown]
	s_nop 0
	buffer_store_dword v1, off, s[0:3], s33 offset:80 ; 4-byte Folded Spill
	buffer_store_dword v3, off, s[0:3], s33 offset:88 ; 4-byte Folded Spill
	s_nop 0
	buffer_store_dword v4, off, s[0:3], s33 offset:92 ; 4-byte Folded Spill
	buffer_store_dword v5, off, s[0:3], s33 offset:96 ; 4-byte Folded Spill
	;; [unrolled: 1-line block ×4, first 2 shown]
	s_nop 0
	buffer_store_dword v17, off, s[0:3], s33 offset:172 ; 4-byte Folded Spill
	buffer_store_dword v20, off, s[0:3], s33 offset:104 ; 4-byte Folded Spill
	s_nop 0
	buffer_store_dword v21, off, s[0:3], s33 offset:108 ; 4-byte Folded Spill
	buffer_store_dword v52, off, s[0:3], s33 offset:144 ; 4-byte Folded Spill
	;; [unrolled: 1-line block ×3, first 2 shown]
	s_branch .LBB2_2373
.LBB2_2371:                             ;   in Loop: Header=BB2_2373 Depth=1
	s_or_b64 exec, exec, s[18:19]
.LBB2_2372:                             ;   in Loop: Header=BB2_2373 Depth=1
	s_or_b64 exec, exec, s[20:21]
	buffer_load_dword v3, off, s[0:3], s33 offset:88 ; 4-byte Folded Reload
	buffer_load_dword v4, off, s[0:3], s33 offset:92 ; 4-byte Folded Reload
	buffer_load_dword v5, off, s[0:3], s33 offset:96 ; 4-byte Folded Reload
	buffer_load_dword v6, off, s[0:3], s33 offset:100 ; 4-byte Folded Reload
	s_waitcnt vmcnt(0)
	v_add_co_u32_e32 v32, vcc, v32, v20
	v_addc_co_u32_e32 v33, vcc, 0, v33, vcc
	v_cmp_ge_u64_e32 vcc, v[32:33], v[3:4]
	s_or_b64 s[42:43], vcc, s[42:43]
	s_andn2_b64 exec, exec, s[42:43]
	s_cbranch_execz .LBB2_4682
.LBB2_2373:                             ; =>This Loop Header: Depth=1
                                        ;     Child Loop BB2_2381 Depth 2
                                        ;     Child Loop BB2_2406 Depth 2
	;; [unrolled: 1-line block ×10, first 2 shown]
	v_sub_co_u32_e32 v0, vcc, v3, v32
	v_subb_co_u32_e32 v1, vcc, v4, v33, vcc
	v_cmp_lt_u64_e32 vcc, v[20:21], v[0:1]
	v_cndmask_b32_e64 v35, v1, 0, vcc
	v_cndmask_b32_e32 v34, v0, v20, vcc
	v_cmp_eq_u64_e32 vcc, 0, v[34:35]
	v_add_u32_e32 v0, 15, v34
	v_and_b32_e32 v0, 0x7ffffff0, v0
	s_or_b64 s[62:63], s[6:7], vcc
	v_max_i32_e32 v62, s38, v0
	s_xor_b64 s[18:19], s[62:63], -1
	v_mov_b32_e32 v0, v29
	s_and_saveexec_b64 s[72:73], s[18:19]
	s_cbranch_execz .LBB2_4636
; %bb.2374:                             ;   in Loop: Header=BB2_2373 Depth=1
	s_and_saveexec_b64 s[18:19], s[4:5]
	s_cbranch_execz .LBB2_2376
; %bb.2375:                             ;   in Loop: Header=BB2_2373 Depth=1
	s_trap 2
	ds_read2_b64 v[3:6], v0 offset1:1
	ds_read_b64 v[0:1], v0
	v_add_co_u32_e32 v7, vcc, v32, v16
	v_addc_co_u32_e32 v8, vcc, v33, v17, vcc
	s_waitcnt lgkmcnt(0)
	v_add_co_u32_e32 v3, vcc, v3, v7
	v_addc_co_u32_e32 v4, vcc, v4, v8, vcc
	s_waitcnt lgkmcnt(0)
	ds_write_b64 v0, v[3:4]
	v_add_co_u32_e32 v3, vcc, v5, v7
	v_addc_co_u32_e32 v4, vcc, v6, v8, vcc
	ds_write_b64 v0, v[3:4]
	v_add_co_u32_e32 v3, vcc, v0, v7
	v_addc_co_u32_e32 v4, vcc, v1, v8, vcc
	v_cmp_ne_u64_e32 vcc, 0, v[0:1]
	v_cndmask_b32_e32 v1, 0, v4, vcc
	v_cndmask_b32_e32 v0, 0, v3, vcc
	ds_write_b64 v0, v[0:1]
.LBB2_2376:                             ;   in Loop: Header=BB2_2373 Depth=1
	s_or_b64 exec, exec, s[18:19]
	v_and_b32_e32 v0, 4, v45
	v_cmp_ne_u32_e32 vcc, 0, v0
	s_and_saveexec_b64 s[20:21], vcc
	s_cbranch_execz .LBB2_2398
; %bb.2377:                             ;   in Loop: Header=BB2_2373 Depth=1
	buffer_load_dword v3, off, s[0:3], s33 offset:60 ; 4-byte Folded Reload
	buffer_load_dword v4, off, s[0:3], s33 offset:64 ; 4-byte Folded Reload
	;; [unrolled: 1-line block ×4, first 2 shown]
	s_waitcnt vmcnt(0)
	v_add_co_u32_e32 v10, vcc, 1, v5
	s_waitcnt vmcnt(0)
	v_addc_co_u32_e32 v11, vcc, 0, v6, vcc
	v_cmp_lt_u64_e32 vcc, v[24:25], v[10:11]
	s_and_saveexec_b64 s[74:75], vcc
	s_cbranch_execz .LBB2_2389
; %bb.2378:                             ;   in Loop: Header=BB2_2373 Depth=1
	v_and_b32_e32 v0, 64, v45
	s_mov_b32 s54, 0
	v_cmp_eq_u32_e32 vcc, 0, v0
	s_mov_b64 s[76:77], 0
                                        ; implicit-def: $sgpr78_sgpr79
                                        ; implicit-def: $sgpr88_sgpr89
                                        ; implicit-def: $sgpr90_sgpr91
	s_branch .LBB2_2381
.LBB2_2379:                             ;   in Loop: Header=BB2_2381 Depth=2
	s_or_b64 exec, exec, s[36:37]
	s_andn2_b64 s[18:19], s[90:91], exec
	s_and_b64 s[90:91], s[30:31], exec
	s_or_b64 s[90:91], s[18:19], s[90:91]
	s_andn2_b64 s[18:19], s[88:89], exec
	s_and_b64 s[88:89], s[94:95], exec
	s_or_b64 s[88:89], s[18:19], s[88:89]
.LBB2_2380:                             ;   in Loop: Header=BB2_2381 Depth=2
	s_or_b64 exec, exec, s[92:93]
	s_and_b64 s[18:19], exec, s[88:89]
	s_or_b64 s[76:77], s[18:19], s[76:77]
	s_andn2_b64 s[18:19], s[78:79], exec
	s_and_b64 s[78:79], s[90:91], exec
	s_or_b64 s[78:79], s[18:19], s[78:79]
	s_andn2_b64 exec, exec, s[76:77]
	s_cbranch_execz .LBB2_2386
.LBB2_2381:                             ;   Parent Loop BB2_2373 Depth=1
                                        ; =>  This Inner Loop Header: Depth=2
	s_sleep 1
	s_waitcnt vmcnt(0) lgkmcnt(0)
	flat_load_dwordx2 v[24:25], v[18:19] glc
	s_or_b64 s[90:91], s[90:91], exec
	s_or_b64 s[88:89], s[88:89], exec
                                        ; implicit-def: $vgpr0
	s_and_saveexec_b64 s[92:93], vcc
	s_cbranch_execz .LBB2_2380
; %bb.2382:                             ;   in Loop: Header=BB2_2381 Depth=2
	s_cmpk_lt_i32 s54, 0x270f
	s_cselect_b64 s[34:35], -1, 0
	s_cmpk_gt_i32 s54, 0x270e
	s_mov_b64 s[94:95], -1
	s_cbranch_scc0 .LBB2_2384
; %bb.2383:                             ;   in Loop: Header=BB2_2381 Depth=2
	s_trap 2
	ds_read_b64 v[0:1], v0
	s_andn2_b64 s[34:35], s[34:35], exec
	s_mov_b32 s54, 0
	s_mov_b64 s[30:31], 0
	s_waitcnt vmcnt(0) lgkmcnt(0)
	flat_load_dword v0, v[0:1] glc
	s_waitcnt vmcnt(0) lgkmcnt(0)
	buffer_wbinvl1_vol
	v_cmp_eq_u32_e64 s[18:19], 0, v0
	s_and_b64 s[18:19], s[18:19], exec
	s_or_b64 s[34:35], s[34:35], s[18:19]
	s_and_saveexec_b64 s[36:37], s[34:35]
	s_cbranch_execz .LBB2_2379
	s_branch .LBB2_2385
.LBB2_2384:                             ;   in Loop: Header=BB2_2381 Depth=2
	s_add_i32 s54, s54, 1
	s_mov_b64 s[30:31], -1
                                        ; implicit-def: $vgpr0
	s_and_saveexec_b64 s[36:37], s[34:35]
	s_cbranch_execz .LBB2_2379
.LBB2_2385:                             ;   in Loop: Header=BB2_2381 Depth=2
	s_waitcnt vmcnt(0) lgkmcnt(0)
	v_cmp_ge_u64_e64 s[18:19], v[24:25], v[10:11]
	s_or_b64 s[30:31], s[30:31], exec
	s_orn2_b64 s[94:95], s[18:19], exec
	s_branch .LBB2_2379
.LBB2_2386:                             ;   in Loop: Header=BB2_2373 Depth=1
	s_or_b64 exec, exec, s[76:77]
	s_xor_b64 s[18:19], s[78:79], -1
	s_and_saveexec_b64 s[76:77], s[18:19]
	s_xor_b64 s[18:19], exec, s[76:77]
	s_cbranch_execz .LBB2_2388
; %bb.2387:                             ;   in Loop: Header=BB2_2373 Depth=1
	v_or_b32_e32 v45, 64, v45
	s_waitcnt lgkmcnt(0)
	ds_write_b32 v0, v0
	s_trap 2
.LBB2_2388:                             ;   in Loop: Header=BB2_2373 Depth=1
	s_or_b64 exec, exec, s[18:19]
.LBB2_2389:                             ;   in Loop: Header=BB2_2373 Depth=1
	s_or_b64 exec, exec, s[74:75]
	;;#ASMSTART
	s_wakeup
	;;#ASMEND
	buffer_load_dword v3, off, s[0:3], s33 offset:60 ; 4-byte Folded Reload
	buffer_load_dword v4, off, s[0:3], s33 offset:64 ; 4-byte Folded Reload
	;; [unrolled: 1-line block ×4, first 2 shown]
	v_and_b32_e32 v0, 0x100, v45
	v_cmp_ne_u32_e32 vcc, 0, v0
	s_mov_b64 s[18:19], -1
                                        ; implicit-def: $vgpr8_vgpr9
	s_waitcnt vmcnt(0)
	v_and_b32_e32 v0, 7, v5
	s_and_saveexec_b64 s[74:75], vcc
	s_cbranch_execz .LBB2_2393
; %bb.2390:                             ;   in Loop: Header=BB2_2373 Depth=1
	buffer_load_dword v3, off, s[0:3], s33 offset:60 ; 4-byte Folded Reload
	buffer_load_dword v4, off, s[0:3], s33 offset:64 ; 4-byte Folded Reload
	;; [unrolled: 1-line block ×4, first 2 shown]
                                        ; implicit-def: $vgpr8_vgpr9
	s_waitcnt vmcnt(0)
	v_mad_u64_u32 v[12:13], s[18:19], v0, 24, v[3:4]
	flat_load_dword v1, v[12:13]
	s_waitcnt vmcnt(0) lgkmcnt(0)
	v_cmp_ne_u32_e32 vcc, 1, v1
	v_cmp_eq_u32_e64 s[18:19], 1, v1
	s_and_saveexec_b64 s[76:77], s[18:19]
	s_cbranch_execz .LBB2_2392
; %bb.2391:                             ;   in Loop: Header=BB2_2373 Depth=1
	flat_load_dword v8, v[12:13] offset:4 glc
	s_waitcnt vmcnt(0) lgkmcnt(0)
	v_ashrrev_i32_e32 v9, 31, v8
.LBB2_2392:                             ;   in Loop: Header=BB2_2373 Depth=1
	s_or_b64 exec, exec, s[76:77]
	s_orn2_b64 s[18:19], vcc, exec
.LBB2_2393:                             ;   in Loop: Header=BB2_2373 Depth=1
	s_or_b64 exec, exec, s[74:75]
	s_and_saveexec_b64 s[74:75], s[18:19]
	s_cbranch_execz .LBB2_2395
; %bb.2394:                             ;   in Loop: Header=BB2_2373 Depth=1
	buffer_load_dword v1, off, s[0:3], s33 offset:152 ; 4-byte Folded Reload
	s_waitcnt vmcnt(0)
	v_mad_i64_i32 v[8:9], s[18:19], v0, v1, 0
.LBB2_2395:                             ;   in Loop: Header=BB2_2373 Depth=1
	s_or_b64 exec, exec, s[74:75]
	buffer_load_dword v0, off, s[0:3], s33 offset:120 ; 4-byte Folded Reload
	buffer_load_dword v1, off, s[0:3], s33 offset:124 ; 4-byte Folded Reload
	s_waitcnt vmcnt(0)
	v_add_co_u32_e32 v0, vcc, v0, v8
	v_addc_co_u32_e32 v1, vcc, v1, v9, vcc
	ds_write_b64 v0, v[0:1] offset:728
	v_and_b32_e32 v0, 0x2000, v45
	v_cmp_ne_u32_e32 vcc, 0, v0
	s_and_saveexec_b64 s[18:19], vcc
	s_cbranch_execz .LBB2_2397
; %bb.2396:                             ;   in Loop: Header=BB2_2373 Depth=1
	ds_read_b64 v[0:1], v0 offset:872
	s_waitcnt lgkmcnt(0)
	v_add_co_u32_e32 v0, vcc, 1, v0
	v_addc_co_u32_e32 v1, vcc, 0, v1, vcc
	ds_write_b64 v0, v[0:1] offset:872
.LBB2_2397:                             ;   in Loop: Header=BB2_2373 Depth=1
	s_or_b64 exec, exec, s[18:19]
	buffer_load_dword v3, off, s[0:3], s33 offset:60 ; 4-byte Folded Reload
	buffer_load_dword v4, off, s[0:3], s33 offset:64 ; 4-byte Folded Reload
	;; [unrolled: 1-line block ×4, first 2 shown]
	s_waitcnt vmcnt(0)
	v_mov_b32_e32 v5, v10
	v_mov_b32_e32 v6, v11
	buffer_store_dword v3, off, s[0:3], s33 offset:60 ; 4-byte Folded Spill
	s_nop 0
	buffer_store_dword v4, off, s[0:3], s33 offset:64 ; 4-byte Folded Spill
	buffer_store_dword v5, off, s[0:3], s33 offset:68 ; 4-byte Folded Spill
	;; [unrolled: 1-line block ×3, first 2 shown]
.LBB2_2398:                             ;   in Loop: Header=BB2_2373 Depth=1
	s_or_b64 exec, exec, s[20:21]
	s_and_saveexec_b64 s[18:19], s[10:11]
	s_cbranch_execz .LBB2_2417
; %bb.2399:                             ;   in Loop: Header=BB2_2373 Depth=1
	s_and_saveexec_b64 s[20:21], s[40:41]
	s_xor_b64 s[20:21], exec, s[20:21]
	s_cbranch_execz .LBB2_2414
; %bb.2400:                             ;   in Loop: Header=BB2_2373 Depth=1
	s_and_saveexec_b64 s[74:75], s[12:13]
	s_cbranch_execz .LBB2_2413
; %bb.2401:                             ;   in Loop: Header=BB2_2373 Depth=1
	s_mov_b64 s[78:79], exec
	v_mbcnt_lo_u32_b32 v0, s78, 0
	v_mbcnt_hi_u32_b32 v0, s79, v0
	v_cmp_eq_u32_e32 vcc, 0, v0
	s_waitcnt vmcnt(0) lgkmcnt(0)
	buffer_wbinvl1_vol
	s_and_saveexec_b64 s[76:77], vcc
	s_cbranch_execz .LBB2_2403
; %bb.2402:                             ;   in Loop: Header=BB2_2373 Depth=1
	s_bcnt1_i32_b64 s78, s[78:79]
	v_mov_b32_e32 v28, s78
	ds_add_u64 v0, v[28:29]
	s_trap 2
.LBB2_2403:                             ;   in Loop: Header=BB2_2373 Depth=1
	s_or_b64 exec, exec, s[76:77]
	s_trap 2
	ds_read_b64 v[0:1], v0
	s_waitcnt lgkmcnt(0)
	buffer_load_dword v3, off, s[0:3], s33 offset:76 ; 4-byte Folded Reload
	buffer_load_dword v4, off, s[0:3], s33 offset:80 ; 4-byte Folded Reload
	s_waitcnt vmcnt(1)
	v_add_co_u32_e32 v3, vcc, v3, v2
	s_waitcnt vmcnt(0)
	v_addc_co_u32_e32 v4, vcc, 0, v4, vcc
	buffer_store_dword v3, off, s[0:3], s33 offset:76 ; 4-byte Folded Spill
	s_nop 0
	buffer_store_dword v4, off, s[0:3], s33 offset:80 ; 4-byte Folded Spill
	v_cmp_lt_u64_e32 vcc, v[0:1], v[3:4]
	s_and_saveexec_b64 s[76:77], vcc
	s_cbranch_execz .LBB2_2412
; %bb.2404:                             ;   in Loop: Header=BB2_2373 Depth=1
	s_mov_b32 s30, 0
	s_mov_b64 s[78:79], 0
                                        ; implicit-def: $sgpr88_sgpr89
                                        ; implicit-def: $sgpr90_sgpr91
	s_branch .LBB2_2406
.LBB2_2405:                             ;   in Loop: Header=BB2_2406 Depth=2
	s_or_b64 exec, exec, s[94:95]
	s_and_b64 s[92:93], exec, vcc
	s_or_b64 s[78:79], s[92:93], s[78:79]
	s_andn2_b64 s[88:89], s[88:89], exec
	s_and_b64 s[92:93], s[90:91], exec
	s_or_b64 s[88:89], s[88:89], s[92:93]
	s_andn2_b64 exec, exec, s[78:79]
	s_cbranch_execz .LBB2_2410
.LBB2_2406:                             ;   Parent Loop BB2_2373 Depth=1
                                        ; =>  This Inner Loop Header: Depth=2
	s_add_i32 s30, s30, 1
	s_cmpk_lg_i32 s30, 0x2710
	s_cselect_b64 s[92:93], -1, 0
	s_and_b64 vcc, exec, s[92:93]
	s_cbranch_vccz .LBB2_2408
; %bb.2407:                             ;   in Loop: Header=BB2_2406 Depth=2
	s_mov_b64 vcc, -1
	s_or_b64 s[90:91], s[90:91], exec
	s_and_saveexec_b64 s[94:95], s[92:93]
	s_cbranch_execz .LBB2_2405
	s_branch .LBB2_2409
.LBB2_2408:                             ;   in Loop: Header=BB2_2406 Depth=2
	s_trap 2
	ds_read_b64 v[0:1], v0
	s_andn2_b64 s[92:93], s[92:93], exec
	s_mov_b32 s30, 0
	s_waitcnt vmcnt(0) lgkmcnt(0)
	flat_load_dword v0, v[0:1] glc
	s_waitcnt vmcnt(0) lgkmcnt(0)
	buffer_wbinvl1_vol
	v_cmp_eq_u32_e32 vcc, 0, v0
	s_and_b64 s[94:95], vcc, exec
	s_or_b64 s[92:93], s[92:93], s[94:95]
	s_mov_b64 vcc, -1
	s_or_b64 s[90:91], s[90:91], exec
	s_and_saveexec_b64 s[94:95], s[92:93]
	s_cbranch_execz .LBB2_2405
.LBB2_2409:                             ;   in Loop: Header=BB2_2406 Depth=2
	s_sleep 1
	s_trap 2
	ds_read_b64 v[0:1], v0
	s_waitcnt lgkmcnt(0)
	buffer_load_dword v3, off, s[0:3], s33 offset:76 ; 4-byte Folded Reload
	buffer_load_dword v4, off, s[0:3], s33 offset:80 ; 4-byte Folded Reload
	s_andn2_b64 s[90:91], s[90:91], exec
	s_waitcnt vmcnt(0)
	v_cmp_ge_u64_e32 vcc, v[0:1], v[3:4]
	s_orn2_b64 vcc, vcc, exec
	s_branch .LBB2_2405
.LBB2_2410:                             ;   in Loop: Header=BB2_2373 Depth=1
	s_or_b64 exec, exec, s[78:79]
	s_and_saveexec_b64 s[78:79], s[88:89]
	s_xor_b64 s[78:79], exec, s[78:79]
	s_cbranch_execz .LBB2_2412
; %bb.2411:                             ;   in Loop: Header=BB2_2373 Depth=1
	v_mov_b32_e32 v0, 1
	ds_write_b32 v0, v0
	s_trap 2
.LBB2_2412:                             ;   in Loop: Header=BB2_2373 Depth=1
	s_or_b64 exec, exec, s[76:77]
	;;#ASMSTART
	s_wakeup
	;;#ASMEND
.LBB2_2413:                             ;   in Loop: Header=BB2_2373 Depth=1
	s_or_b64 exec, exec, s[74:75]
.LBB2_2414:                             ;   in Loop: Header=BB2_2373 Depth=1
	s_andn2_saveexec_b64 s[20:21], s[20:21]
	s_cbranch_execz .LBB2_2416
; %bb.2415:                             ;   in Loop: Header=BB2_2373 Depth=1
	s_waitcnt vmcnt(0) lgkmcnt(0)
	buffer_wbinvl1_vol
	s_barrier
.LBB2_2416:                             ;   in Loop: Header=BB2_2373 Depth=1
	s_or_b64 exec, exec, s[20:21]
.LBB2_2417:                             ;   in Loop: Header=BB2_2373 Depth=1
	s_or_b64 exec, exec, s[18:19]
	s_trap 2
	ds_read_b32 v0, v0
	v_and_b32_e32 v1, 0x4000, v45
	v_cmp_ne_u32_e32 vcc, 0, v1
	s_and_b64 s[20:21], s[44:45], vcc
	s_and_saveexec_b64 s[18:19], s[20:21]
	s_cbranch_execz .LBB2_2436
; %bb.2418:                             ;   in Loop: Header=BB2_2373 Depth=1
	s_and_saveexec_b64 s[20:21], s[40:41]
	s_xor_b64 s[20:21], exec, s[20:21]
	s_cbranch_execz .LBB2_2433
; %bb.2419:                             ;   in Loop: Header=BB2_2373 Depth=1
	s_and_saveexec_b64 s[74:75], s[12:13]
	s_cbranch_execz .LBB2_2432
; %bb.2420:                             ;   in Loop: Header=BB2_2373 Depth=1
	s_mov_b64 s[78:79], exec
	v_mbcnt_lo_u32_b32 v1, s78, 0
	v_mbcnt_hi_u32_b32 v1, s79, v1
	v_cmp_eq_u32_e32 vcc, 0, v1
	s_waitcnt vmcnt(0) lgkmcnt(0)
	buffer_wbinvl1_vol
	s_and_saveexec_b64 s[76:77], vcc
	s_cbranch_execz .LBB2_2422
; %bb.2421:                             ;   in Loop: Header=BB2_2373 Depth=1
	s_bcnt1_i32_b64 s78, s[78:79]
	v_mov_b32_e32 v28, s78
	ds_add_u64 v0, v[28:29]
	s_trap 2
.LBB2_2422:                             ;   in Loop: Header=BB2_2373 Depth=1
	s_or_b64 exec, exec, s[76:77]
	s_trap 2
	ds_read_b64 v[3:4], v0
	s_waitcnt lgkmcnt(0)
	buffer_load_dword v5, off, s[0:3], s33 offset:76 ; 4-byte Folded Reload
	buffer_load_dword v6, off, s[0:3], s33 offset:80 ; 4-byte Folded Reload
	s_waitcnt vmcnt(1)
	v_add_co_u32_e32 v5, vcc, v5, v2
	s_waitcnt vmcnt(0)
	v_addc_co_u32_e32 v6, vcc, 0, v6, vcc
	buffer_store_dword v5, off, s[0:3], s33 offset:76 ; 4-byte Folded Spill
	s_nop 0
	buffer_store_dword v6, off, s[0:3], s33 offset:80 ; 4-byte Folded Spill
	v_cmp_lt_u64_e32 vcc, v[3:4], v[5:6]
	s_and_saveexec_b64 s[76:77], vcc
	s_cbranch_execz .LBB2_2431
; %bb.2423:                             ;   in Loop: Header=BB2_2373 Depth=1
	s_mov_b32 s30, 0
	s_mov_b64 s[78:79], 0
                                        ; implicit-def: $sgpr88_sgpr89
                                        ; implicit-def: $sgpr90_sgpr91
	s_branch .LBB2_2425
.LBB2_2424:                             ;   in Loop: Header=BB2_2425 Depth=2
	s_or_b64 exec, exec, s[94:95]
	s_and_b64 s[92:93], exec, vcc
	s_or_b64 s[78:79], s[92:93], s[78:79]
	s_andn2_b64 s[88:89], s[88:89], exec
	s_and_b64 s[92:93], s[90:91], exec
	s_or_b64 s[88:89], s[88:89], s[92:93]
	s_andn2_b64 exec, exec, s[78:79]
	s_cbranch_execz .LBB2_2429
.LBB2_2425:                             ;   Parent Loop BB2_2373 Depth=1
                                        ; =>  This Inner Loop Header: Depth=2
	s_add_i32 s30, s30, 1
	s_cmpk_lg_i32 s30, 0x2710
	s_cselect_b64 s[92:93], -1, 0
	s_and_b64 vcc, exec, s[92:93]
	s_cbranch_vccz .LBB2_2427
; %bb.2426:                             ;   in Loop: Header=BB2_2425 Depth=2
	s_mov_b64 vcc, -1
	s_or_b64 s[90:91], s[90:91], exec
	s_and_saveexec_b64 s[94:95], s[92:93]
	s_cbranch_execz .LBB2_2424
	s_branch .LBB2_2428
.LBB2_2427:                             ;   in Loop: Header=BB2_2425 Depth=2
	s_trap 2
	ds_read_b64 v[3:4], v0
	s_andn2_b64 s[92:93], s[92:93], exec
	s_mov_b32 s30, 0
	s_waitcnt vmcnt(0) lgkmcnt(0)
	flat_load_dword v1, v[3:4] glc
	s_waitcnt vmcnt(0) lgkmcnt(0)
	buffer_wbinvl1_vol
	v_cmp_eq_u32_e32 vcc, 0, v1
	s_and_b64 s[94:95], vcc, exec
	s_or_b64 s[92:93], s[92:93], s[94:95]
	s_mov_b64 vcc, -1
	s_or_b64 s[90:91], s[90:91], exec
	s_and_saveexec_b64 s[94:95], s[92:93]
	s_cbranch_execz .LBB2_2424
.LBB2_2428:                             ;   in Loop: Header=BB2_2425 Depth=2
	s_sleep 1
	s_trap 2
	ds_read_b64 v[3:4], v0
	s_waitcnt lgkmcnt(0)
	buffer_load_dword v5, off, s[0:3], s33 offset:76 ; 4-byte Folded Reload
	buffer_load_dword v6, off, s[0:3], s33 offset:80 ; 4-byte Folded Reload
	s_andn2_b64 s[90:91], s[90:91], exec
	s_waitcnt vmcnt(0)
	v_cmp_ge_u64_e32 vcc, v[3:4], v[5:6]
	s_orn2_b64 vcc, vcc, exec
	s_branch .LBB2_2424
.LBB2_2429:                             ;   in Loop: Header=BB2_2373 Depth=1
	s_or_b64 exec, exec, s[78:79]
	s_and_saveexec_b64 s[78:79], s[88:89]
	s_xor_b64 s[78:79], exec, s[78:79]
	s_cbranch_execz .LBB2_2431
; %bb.2430:                             ;   in Loop: Header=BB2_2373 Depth=1
	v_mov_b32_e32 v1, 1
	ds_write_b32 v0, v1
	s_trap 2
.LBB2_2431:                             ;   in Loop: Header=BB2_2373 Depth=1
	s_or_b64 exec, exec, s[76:77]
	;;#ASMSTART
	s_wakeup
	;;#ASMEND
.LBB2_2432:                             ;   in Loop: Header=BB2_2373 Depth=1
	s_or_b64 exec, exec, s[74:75]
.LBB2_2433:                             ;   in Loop: Header=BB2_2373 Depth=1
	s_andn2_saveexec_b64 s[20:21], s[20:21]
	s_cbranch_execz .LBB2_2435
; %bb.2434:                             ;   in Loop: Header=BB2_2373 Depth=1
	s_waitcnt vmcnt(0) lgkmcnt(0)
	buffer_wbinvl1_vol
	s_barrier
.LBB2_2435:                             ;   in Loop: Header=BB2_2373 Depth=1
	s_or_b64 exec, exec, s[20:21]
.LBB2_2436:                             ;   in Loop: Header=BB2_2373 Depth=1
	s_or_b64 exec, exec, s[18:19]
	s_trap 2
	s_waitcnt lgkmcnt(0)
	ds_read_b64 v[7:8], v0
	v_min_u32_e32 v62, v62, v34
	s_waitcnt lgkmcnt(0)
	v_cmp_eq_u64_e32 vcc, 0, v[7:8]
	s_cbranch_vccnz .LBB2_2444
; %bb.2437:                             ;   in Loop: Header=BB2_2373 Depth=1
	s_trap 2
	ds_read_b64 v[5:6], v0
	s_waitcnt lgkmcnt(0)
	v_cmp_eq_u64_e32 vcc, 0, v[5:6]
	s_cbranch_vccnz .LBB2_2444
; %bb.2438:                             ;   in Loop: Header=BB2_2373 Depth=1
	s_mov_b64 s[18:19], -1
	s_and_saveexec_b64 s[20:21], s[14:15]
	s_cbranch_execz .LBB2_2440
; %bb.2439:                             ;   in Loop: Header=BB2_2373 Depth=1
	ds_read_b32 v1, v0 offset:720
	s_waitcnt lgkmcnt(0)
	v_and_b32_e32 v1, 15, v1
	v_cmp_eq_u32_e32 vcc, 0, v1
	s_orn2_b64 s[18:19], vcc, exec
.LBB2_2440:                             ;   in Loop: Header=BB2_2373 Depth=1
	s_or_b64 exec, exec, s[20:21]
	s_and_saveexec_b64 s[20:21], s[16:17]
	s_cbranch_execz .LBB2_2442
; %bb.2441:                             ;   in Loop: Header=BB2_2373 Depth=1
	ds_read_b32 v1, v0 offset:784
	s_waitcnt lgkmcnt(0)
	v_and_b32_e32 v1, 15, v1
	v_cmp_eq_u32_e32 vcc, 0, v1
	s_and_b64 s[74:75], s[18:19], vcc
	s_andn2_b64 s[18:19], s[18:19], exec
	s_and_b64 s[74:75], s[74:75], exec
	s_or_b64 s[18:19], s[18:19], s[74:75]
.LBB2_2442:                             ;   in Loop: Header=BB2_2373 Depth=1
	s_or_b64 exec, exec, s[20:21]
	buffer_load_dword v14, off, s[0:3], s33 offset:164 ; 4-byte Folded Reload
	v_cmp_eq_u32_e32 vcc, 0, v0
	s_xor_b64 s[18:19], s[18:19], -1
	v_cndmask_b32_e32 v51, 0, v62, vcc
	v_cndmask_b32_e64 v0, 0, 1, s[18:19]
	s_mov_b64 s[74:75], -1
	v_cmp_ne_u32_e32 vcc, 0, v0
	v_mov_b32_e32 v53, 0
	v_mov_b32_e32 v4, v51
	s_cbranch_vccz .LBB2_2445
; %bb.2443:                             ;   in Loop: Header=BB2_2373 Depth=1
	s_and_saveexec_b64 s[20:21], s[74:75]
	s_cbranch_execnz .LBB2_4072
	s_branch .LBB2_4612
.LBB2_2444:                             ;   in Loop: Header=BB2_2373 Depth=1
	s_mov_b64 s[18:19], 0
	s_and_saveexec_b64 s[20:21], s[10:11]
	s_cbranch_execnz .LBB2_4613
	s_branch .LBB2_4631
.LBB2_2445:                             ;   in Loop: Header=BB2_2373 Depth=1
	buffer_load_dword v1, off, s[0:3], s33 offset:164 ; 4-byte Folded Reload
	v_lshrrev_b32_e32 v0, 10, v51
	v_and_b32_e32 v3, 0x3ff, v51
	v_cmp_lt_u32_e64 s[18:19], 15, v3
	v_sub_u32_e32 v17, v51, v52
	s_waitcnt vmcnt(0)
	v_lshrrev_b32_e32 v1, 6, v1
	v_sub_u32_e32 v0, v0, v1
	v_addc_co_u32_e64 v16, vcc, 0, v0, s[18:19]
	v_cmp_lt_i32_e32 vcc, 15, v17
	s_and_saveexec_b64 s[74:75], vcc
	s_cbranch_execz .LBB2_3257
; %bb.2446:                             ;   in Loop: Header=BB2_2373 Depth=1
	buffer_store_dword v3, off, s[0:3], s33 offset:156 ; 4-byte Folded Spill
	buffer_store_dword v51, off, s[0:3], s33 offset:112 ; 4-byte Folded Spill
	s_trap 2
	ds_read_b64 v[0:1], v0
	v_add_co_u32_e32 v48, vcc, v7, v52
	buffer_store_dword v7, off, s[0:3], s33 offset:136 ; 4-byte Folded Spill
	s_nop 0
	buffer_store_dword v8, off, s[0:3], s33 offset:140 ; 4-byte Folded Spill
	s_waitcnt lgkmcnt(0)
	v_readfirstlane_b32 s20, v0
	s_and_b32 s21, s20, 7
	s_flbit_i32_b32 s21, s21
	s_min_u32 s21, s21, 32
	s_and_b32 s76, s20, 0x7f
	s_bfe_u32 s77, s20, 0x40003
	s_sub_i32 s78, s21, 28
	s_sub_i32 s21, 29, s21
	s_cmp_lt_u32 s76, 8
	s_cselect_b32 s78, s78, 0
	s_cselect_b32 s21, s21, s77
	s_lshl_b32 s77, s20, 24
	s_lshl_b32 s21, s21, 23
	s_and_b32 s77, s77, 0x80000000
	s_add_i32 s21, s21, 0x3c000000
	s_or_b32 s21, s77, s21
	s_cmpk_lg_i32 s76, 0x7f
	s_mov_b64 s[76:77], 0
	v_addc_co_u32_e32 v49, vcc, 0, v8, vcc
	v_add_co_u32_e32 v50, vcc, v0, v52
	v_addc_co_u32_e32 v51, vcc, 0, v1, vcc
	v_add_co_u32_e32 v52, vcc, v5, v52
	buffer_store_dword v5, off, s[0:3], s33 offset:128 ; 4-byte Folded Spill
	s_nop 0
	buffer_store_dword v6, off, s[0:3], s33 offset:132 ; 4-byte Folded Spill
	v_lshlrev_b64 v[0:1], s78, v[0:1]
	v_lshlrev_b32_e32 v0, 20, v0
	v_and_b32_e32 v0, 0x700000, v0
	v_or_b32_e32 v0, s21, v0
	v_addc_co_u32_e32 v53, vcc, 0, v6, vcc
	s_cselect_b64 vcc, -1, 0
	v_cndmask_b32_e32 v0, v56, v0, vcc
	s_and_b32 s94, s20, 0xff
	buffer_store_dword v0, off, s[0:3], s33 offset:84 ; 4-byte Folded Spill
	s_branch .LBB2_2448
.LBB2_2447:                             ;   in Loop: Header=BB2_2448 Depth=2
	s_or_b64 exec, exec, s[20:21]
	v_lshl_or_b32 v6, v37, 8, v35
	v_lshlrev_b32_e32 v7, 16, v38
	v_lshlrev_b32_e32 v8, 24, v30
	v_or3_b32 v7, v6, v7, v8
	v_lshl_or_b32 v0, v14, 8, v0
	v_lshlrev_b32_e32 v3, 16, v3
	v_lshlrev_b32_e32 v6, 24, v36
	v_add_co_u32_e32 v48, vcc, v48, v42
	v_or3_b32 v6, v0, v3, v6
	v_lshl_or_b32 v0, v21, 8, v15
	v_lshlrev_b32_e32 v3, 16, v26
	v_lshlrev_b32_e32 v4, 24, v4
	v_addc_co_u32_e32 v49, vcc, 0, v49, vcc
	v_or3_b32 v8, v0, v3, v4
	v_lshlrev_b32_e32 v0, 24, v10
	v_lshlrev_b32_e32 v3, 16, v20
	v_lshl_or_b32 v1, v5, 8, v1
	v_add_co_u32_e32 v50, vcc, v50, v42
	v_or3_b32 v9, v1, v3, v0
	v_addc_co_u32_e32 v51, vcc, 0, v51, vcc
	global_store_dwordx4 v[52:53], v[6:9], off glc slc
	v_add_co_u32_e32 v52, vcc, v52, v42
	v_addc_co_u32_e32 v53, vcc, 0, v53, vcc
	v_sub_u32_e32 v17, v17, v42
	v_cmp_gt_i32_e32 vcc, 16, v17
	s_or_b64 s[76:77], vcc, s[76:77]
	v_sub_u32_e32 v16, v16, v2
	s_andn2_b64 exec, exec, s[76:77]
	s_cbranch_execz .LBB2_3256
.LBB2_2448:                             ;   Parent Loop BB2_2373 Depth=1
                                        ; =>  This Inner Loop Header: Depth=2
	s_cmpk_lt_i32 s94, 0x80
	s_cbranch_scc1 .LBB2_2452
; %bb.2449:                             ;   in Loop: Header=BB2_2448 Depth=2
	s_and_b32 s20, 0xffff, s94
	s_cmpk_eq_i32 s20, 0x80
	s_mov_b64 s[20:21], -1
	s_cbranch_scc0 .LBB2_2451
; %bb.2450:                             ;   in Loop: Header=BB2_2448 Depth=2
	s_mov_b64 s[20:21], 0
.LBB2_2451:                             ;   in Loop: Header=BB2_2448 Depth=2
	s_brev_b32 s88, 1
	s_branch .LBB2_2454
.LBB2_2452:                             ;   in Loop: Header=BB2_2448 Depth=2
	s_mov_b64 s[20:21], 0
	s_brev_b32 s88, 1
	s_cbranch_execz .LBB2_2454
; %bb.2453:                             ;   in Loop: Header=BB2_2448 Depth=2
	s_and_b32 s20, 0xffff, s94
	s_cmp_lg_u32 s20, 0
	s_mov_b32 s88, 0
	s_cselect_b64 s[20:21], -1, 0
.LBB2_2454:                             ;   in Loop: Header=BB2_2448 Depth=2
	s_andn2_b64 vcc, exec, s[20:21]
	v_mov_b32_e32 v3, s88
	s_cbranch_vccnz .LBB2_2456
; %bb.2455:                             ;   in Loop: Header=BB2_2448 Depth=2
	buffer_load_dword v3, off, s[0:3], s33 offset:84 ; 4-byte Folded Reload
.LBB2_2456:                             ;   in Loop: Header=BB2_2448 Depth=2
	global_load_dwordx4 v[10:13], v[48:49], off glc slc
	v_mov_b32_e32 v0, 0
	s_waitcnt vmcnt(0)
	v_cmp_ne_u16_sdwa s[78:79], v10, v29 src0_sel:BYTE_0 src1_sel:DWORD
	s_and_saveexec_b64 s[20:21], s[78:79]
	s_cbranch_execz .LBB2_2462
; %bb.2457:                             ;   in Loop: Header=BB2_2448 Depth=2
	v_cmp_ne_u16_sdwa s[88:89], v10, s50 src0_sel:BYTE_0 src1_sel:DWORD
	v_bfrev_b32_e32 v0, 1
	s_and_saveexec_b64 s[78:79], s[88:89]
	s_cbranch_execz .LBB2_2461
; %bb.2458:                             ;   in Loop: Header=BB2_2448 Depth=2
	v_and_b32_e32 v1, 0x7f, v10
	v_cmp_ne_u32_e32 vcc, s39, v1
	v_mov_b32_e32 v0, 0x7f800001
	s_and_saveexec_b64 s[88:89], vcc
	s_cbranch_execz .LBB2_2460
; %bb.2459:                             ;   in Loop: Header=BB2_2448 Depth=2
	v_and_b32_e32 v0, 7, v10
	v_ffbh_u32_e32 v0, v0
	v_min_u32_e32 v0, 32, v0
	v_lshrrev_b32_e32 v4, 3, v1
	v_cmp_gt_u32_e32 vcc, 8, v1
	v_subrev_u32_e32 v1, 28, v0
	v_sub_u32_e32 v0, 29, v0
	v_cndmask_b32_e32 v4, v4, v0, vcc
	v_cndmask_b32_e32 v0, 0, v1, vcc
	v_lshlrev_b64 v[0:1], v0, v[10:11]
	v_lshlrev_b32_e32 v1, 24, v10
	v_lshlrev_b32_e32 v0, 20, v0
	v_and_b32_e32 v0, 0x700000, v0
	v_and_b32_e32 v1, 0x80000000, v1
	v_lshl_add_u32 v4, v4, 23, v57
	v_or3_b32 v0, v1, v4, v0
.LBB2_2460:                             ;   in Loop: Header=BB2_2448 Depth=2
	s_or_b64 exec, exec, s[88:89]
.LBB2_2461:                             ;   in Loop: Header=BB2_2448 Depth=2
	s_or_b64 exec, exec, s[78:79]
.LBB2_2462:                             ;   in Loop: Header=BB2_2448 Depth=2
	s_or_b64 exec, exec, s[20:21]
	v_mul_f32_e32 v4, v3, v0
	v_and_b32_e32 v28, 0x7f800000, v4
	v_cmp_ne_u64_e32 vcc, s[46:47], v[28:29]
                                        ; implicit-def: $vgpr0
	s_and_saveexec_b64 s[20:21], vcc
	s_xor_b64 s[78:79], exec, s[20:21]
	s_cbranch_execz .LBB2_2476
; %bb.2463:                             ;   in Loop: Header=BB2_2448 Depth=2
	v_and_b32_e32 v28, 0x7fffffff, v4
	v_cmp_gt_u64_e32 vcc, s[56:57], v[28:29]
	v_and_b32_sdwa v1, v4, s50 dst_sel:DWORD dst_unused:UNUSED_PAD src0_sel:BYTE_3 src1_sel:DWORD
                                        ; implicit-def: $vgpr0
	s_and_saveexec_b64 s[20:21], vcc
	s_xor_b64 s[88:89], exec, s[20:21]
	s_cbranch_execz .LBB2_2473
; %bb.2464:                             ;   in Loop: Header=BB2_2448 Depth=2
	v_mov_b32_e32 v0, 0
	v_cmp_ne_u32_e32 vcc, 0, v4
	s_and_saveexec_b64 s[90:91], vcc
	s_cbranch_execz .LBB2_2472
; %bb.2465:                             ;   in Loop: Header=BB2_2448 Depth=2
	v_bfe_u32 v0, v4, 23, 8
	v_and_b32_e32 v5, 0x7fffff, v4
	v_cmp_gt_u32_e64 s[20:21], s51, v0
	v_sub_u32_e32 v4, 0x79, v0
	v_cmp_eq_u32_e32 vcc, 0, v0
	v_cndmask_b32_e64 v4, 0, v4, s[20:21]
	v_or_b32_e32 v6, 0x800000, v5
	v_cndmask_b32_e32 v4, v4, v58, vcc
	v_cndmask_b32_e32 v28, v6, v5, vcc
	v_add_u32_e32 v5, 20, v4
	v_lshlrev_b64 v[5:6], v5, -1
	v_add_u32_e32 v7, 19, v4
	v_lshlrev_b64 v[7:8], v7, 1
	v_bfi_b32 v6, v6, 0, 0
	v_bfi_b32 v5, v5, 0, v28
	v_lshrrev_b64 v[54:55], v4, v[28:29]
	v_cmp_eq_u64_e64 s[20:21], v[5:6], v[7:8]
	v_mov_b32_e32 v39, v54
	v_mov_b32_e32 v40, v55
	s_and_saveexec_b64 s[92:93], s[20:21]
; %bb.2466:                             ;   in Loop: Header=BB2_2448 Depth=2
	v_bfe_u32 v5, v54, 20, 1
	v_add_co_u32_e64 v5, s[20:21], v54, v5
	v_add_co_u32_e64 v39, s[20:21], -1, v5
; %bb.2467:                             ;   in Loop: Header=BB2_2448 Depth=2
	s_or_b64 exec, exec, s[92:93]
	v_add_u32_e32 v0, 0xffffff81, v0
	v_cndmask_b32_e32 v0, v0, v59, vcc
	v_lshrrev_b32_e32 v5, 23, v54
	v_add3_u32 v5, v4, v0, v5
	v_add_u32_e32 v4, 6, v5
	v_and_b32_e32 v0, 0xfffff, v39
	v_add_u32_e32 v28, v0, v54
	v_cmp_ne_u32_e32 vcc, 0, v4
                                        ; implicit-def: $vgpr54_vgpr55
                                        ; implicit-def: $vgpr0
	s_and_saveexec_b64 s[20:21], vcc
	s_xor_b64 s[20:21], exec, s[20:21]
; %bb.2468:                             ;   in Loop: Header=BB2_2448 Depth=2
	v_cmp_lt_u64_e32 vcc, s[58:59], v[28:29]
	v_add_u32_e32 v0, 7, v5
	v_cndmask_b32_e32 v0, v4, v0, vcc
	v_cndmask_b32_e64 v4, 0, 1, vcc
	v_lshrrev_b64 v[54:55], v4, v[28:29]
; %bb.2469:                             ;   in Loop: Header=BB2_2448 Depth=2
	s_andn2_saveexec_b64 s[20:21], s[20:21]
; %bb.2470:                             ;   in Loop: Header=BB2_2448 Depth=2
	v_mov_b32_e32 v55, v29
	v_bfe_u32 v0, v28, 23, 1
	v_mov_b32_e32 v54, v28
; %bb.2471:                             ;   in Loop: Header=BB2_2448 Depth=2
	s_or_b64 exec, exec, s[20:21]
	v_lshrrev_b64 v[4:5], 20, v[54:55]
	v_cmp_gt_i32_e32 vcc, 16, v0
	v_cndmask_b32_e32 v5, 0, v5, vcc
	v_cndmask_b32_e32 v4, 7, v4, vcc
	v_cmp_eq_u32_e32 vcc, 0, v0
	v_min_i32_e32 v0, 15, v0
	v_cmp_eq_u64_e64 s[20:21], 0, v[4:5]
	v_lshlrev_b32_e32 v0, 3, v0
	v_and_b32_e32 v0, 0xf8, v0
	v_and_or_b32 v0, v4, 7, v0
	s_and_b64 s[20:21], vcc, s[20:21]
	v_cndmask_b32_e64 v0, v0, 0, s[20:21]
	v_or_b32_e32 v0, v0, v1
.LBB2_2472:                             ;   in Loop: Header=BB2_2448 Depth=2
	s_or_b64 exec, exec, s[90:91]
                                        ; implicit-def: $vgpr1
.LBB2_2473:                             ;   in Loop: Header=BB2_2448 Depth=2
	s_andn2_saveexec_b64 s[20:21], s[88:89]
; %bb.2474:                             ;   in Loop: Header=BB2_2448 Depth=2
	v_or_b32_e32 v0, 0x7e, v1
; %bb.2475:                             ;   in Loop: Header=BB2_2448 Depth=2
	s_or_b64 exec, exec, s[20:21]
                                        ; implicit-def: $vgpr4
.LBB2_2476:                             ;   in Loop: Header=BB2_2448 Depth=2
	s_andn2_saveexec_b64 s[20:21], s[78:79]
; %bb.2477:                             ;   in Loop: Header=BB2_2448 Depth=2
	v_or_b32_sdwa v0, v4, s39 dst_sel:DWORD dst_unused:UNUSED_PAD src0_sel:BYTE_3 src1_sel:DWORD
; %bb.2478:                             ;   in Loop: Header=BB2_2448 Depth=2
	s_or_b64 exec, exec, s[20:21]
	v_lshrrev_b16_e32 v28, 8, v10
	v_cmp_ne_u16_e32 vcc, 0, v28
	v_mov_b32_e32 v1, 0
	s_and_saveexec_b64 s[20:21], vcc
	s_cbranch_execz .LBB2_2484
; %bb.2479:                             ;   in Loop: Header=BB2_2448 Depth=2
	v_cmp_ne_u16_e32 vcc, s50, v28
	v_bfrev_b32_e32 v1, 1
	s_and_saveexec_b64 s[78:79], vcc
	s_cbranch_execz .LBB2_2483
; %bb.2480:                             ;   in Loop: Header=BB2_2448 Depth=2
	v_and_b32_e32 v4, 0x7f, v28
	v_cmp_ne_u32_e32 vcc, s39, v4
	v_mov_b32_e32 v1, 0x7f800001
	s_and_saveexec_b64 s[88:89], vcc
	s_cbranch_execz .LBB2_2482
; %bb.2481:                             ;   in Loop: Header=BB2_2448 Depth=2
	v_and_b32_e32 v1, 7, v28
	v_lshrrev_b32_e32 v6, 3, v4
	v_cmp_gt_u32_e32 vcc, 8, v4
	v_ffbh_u32_e32 v4, v1
	v_min_u32_e32 v7, 32, v4
	v_subrev_u32_e32 v4, 28, v7
	v_lshlrev_b64 v[4:5], v4, v[28:29]
	v_sub_u32_e32 v5, 29, v7
	v_and_b32_e32 v4, 7, v4
	v_cndmask_b32_e32 v5, v6, v5, vcc
	v_cndmask_b32_e32 v1, v1, v4, vcc
	v_lshlrev_b32_e32 v4, 16, v10
	v_lshlrev_b32_e32 v1, 20, v1
	v_and_b32_e32 v4, 0x80000000, v4
	v_lshl_add_u32 v5, v5, 23, v57
	v_or3_b32 v1, v4, v5, v1
.LBB2_2482:                             ;   in Loop: Header=BB2_2448 Depth=2
	s_or_b64 exec, exec, s[88:89]
.LBB2_2483:                             ;   in Loop: Header=BB2_2448 Depth=2
	s_or_b64 exec, exec, s[78:79]
.LBB2_2484:                             ;   in Loop: Header=BB2_2448 Depth=2
	s_or_b64 exec, exec, s[20:21]
	v_mul_f32_e32 v4, v3, v1
	v_and_b32_e32 v28, 0x7f800000, v4
	v_cmp_ne_u64_e32 vcc, s[46:47], v[28:29]
                                        ; implicit-def: $vgpr14
	s_and_saveexec_b64 s[20:21], vcc
	s_xor_b64 s[78:79], exec, s[20:21]
	s_cbranch_execz .LBB2_2498
; %bb.2485:                             ;   in Loop: Header=BB2_2448 Depth=2
	v_and_b32_e32 v28, 0x7fffffff, v4
	v_cmp_gt_u64_e32 vcc, s[56:57], v[28:29]
	v_and_b32_sdwa v1, v4, s50 dst_sel:DWORD dst_unused:UNUSED_PAD src0_sel:BYTE_3 src1_sel:DWORD
                                        ; implicit-def: $vgpr14
	s_and_saveexec_b64 s[20:21], vcc
	s_xor_b64 s[88:89], exec, s[20:21]
	s_cbranch_execz .LBB2_2495
; %bb.2486:                             ;   in Loop: Header=BB2_2448 Depth=2
	v_mov_b32_e32 v14, 0
	v_cmp_ne_u32_e32 vcc, 0, v4
	s_and_saveexec_b64 s[90:91], vcc
	s_cbranch_execz .LBB2_2494
; %bb.2487:                             ;   in Loop: Header=BB2_2448 Depth=2
	v_and_b32_e32 v6, 0x7fffff, v4
	v_bfe_u32 v4, v4, 23, 8
	v_cmp_gt_u32_e64 s[20:21], s51, v4
	v_sub_u32_e32 v5, 0x79, v4
	v_cmp_eq_u32_e32 vcc, 0, v4
	v_cndmask_b32_e64 v5, 0, v5, s[20:21]
	v_or_b32_e32 v7, 0x800000, v6
	v_cndmask_b32_e32 v5, v5, v58, vcc
	v_cndmask_b32_e32 v28, v7, v6, vcc
	v_add_u32_e32 v6, 20, v5
	v_lshlrev_b64 v[6:7], v6, -1
	v_add_u32_e32 v8, 19, v5
	v_lshlrev_b64 v[8:9], v8, 1
	v_bfi_b32 v7, v7, 0, 0
	v_bfi_b32 v6, v6, 0, v28
	v_lshrrev_b64 v[54:55], v5, v[28:29]
	v_cmp_eq_u64_e64 s[20:21], v[6:7], v[8:9]
	v_mov_b32_e32 v39, v54
	v_mov_b32_e32 v40, v55
	s_and_saveexec_b64 s[92:93], s[20:21]
; %bb.2488:                             ;   in Loop: Header=BB2_2448 Depth=2
	v_bfe_u32 v6, v54, 20, 1
	v_add_co_u32_e64 v6, s[20:21], v54, v6
	v_add_co_u32_e64 v39, s[20:21], -1, v6
; %bb.2489:                             ;   in Loop: Header=BB2_2448 Depth=2
	s_or_b64 exec, exec, s[92:93]
	v_add_u32_e32 v4, 0xffffff81, v4
	v_cndmask_b32_e32 v4, v4, v59, vcc
	v_lshrrev_b32_e32 v6, 23, v54
	v_add3_u32 v6, v5, v4, v6
	v_add_u32_e32 v5, 6, v6
	v_and_b32_e32 v4, 0xfffff, v39
	v_add_u32_e32 v28, v4, v54
	v_cmp_ne_u32_e32 vcc, 0, v5
                                        ; implicit-def: $vgpr54_vgpr55
                                        ; implicit-def: $vgpr4
	s_and_saveexec_b64 s[20:21], vcc
	s_xor_b64 s[20:21], exec, s[20:21]
; %bb.2490:                             ;   in Loop: Header=BB2_2448 Depth=2
	v_cmp_lt_u64_e32 vcc, s[58:59], v[28:29]
	v_add_u32_e32 v4, 7, v6
	v_cndmask_b32_e32 v4, v5, v4, vcc
	v_cndmask_b32_e64 v5, 0, 1, vcc
	v_lshrrev_b64 v[54:55], v5, v[28:29]
; %bb.2491:                             ;   in Loop: Header=BB2_2448 Depth=2
	s_andn2_saveexec_b64 s[20:21], s[20:21]
; %bb.2492:                             ;   in Loop: Header=BB2_2448 Depth=2
	v_mov_b32_e32 v55, v29
	v_bfe_u32 v4, v28, 23, 1
	v_mov_b32_e32 v54, v28
; %bb.2493:                             ;   in Loop: Header=BB2_2448 Depth=2
	s_or_b64 exec, exec, s[20:21]
	v_lshrrev_b64 v[5:6], 20, v[54:55]
	v_cmp_gt_i32_e32 vcc, 16, v4
	v_cndmask_b32_e32 v6, 0, v6, vcc
	v_cndmask_b32_e32 v5, 7, v5, vcc
	v_cmp_eq_u32_e32 vcc, 0, v4
	v_min_i32_e32 v4, 15, v4
	v_cmp_eq_u64_e64 s[20:21], 0, v[5:6]
	v_lshlrev_b32_e32 v4, 3, v4
	v_and_b32_e32 v4, 0xf8, v4
	v_and_or_b32 v4, v5, 7, v4
	s_and_b64 s[20:21], vcc, s[20:21]
	v_cndmask_b32_e64 v4, v4, 0, s[20:21]
	v_or_b32_e32 v14, v4, v1
.LBB2_2494:                             ;   in Loop: Header=BB2_2448 Depth=2
	s_or_b64 exec, exec, s[90:91]
                                        ; implicit-def: $vgpr1
.LBB2_2495:                             ;   in Loop: Header=BB2_2448 Depth=2
	s_andn2_saveexec_b64 s[20:21], s[88:89]
; %bb.2496:                             ;   in Loop: Header=BB2_2448 Depth=2
	v_or_b32_e32 v14, 0x7e, v1
; %bb.2497:                             ;   in Loop: Header=BB2_2448 Depth=2
	s_or_b64 exec, exec, s[20:21]
                                        ; implicit-def: $vgpr4
.LBB2_2498:                             ;   in Loop: Header=BB2_2448 Depth=2
	s_andn2_saveexec_b64 s[20:21], s[78:79]
; %bb.2499:                             ;   in Loop: Header=BB2_2448 Depth=2
	v_or_b32_sdwa v14, v4, s39 dst_sel:DWORD dst_unused:UNUSED_PAD src0_sel:BYTE_3 src1_sel:DWORD
; %bb.2500:                             ;   in Loop: Header=BB2_2448 Depth=2
	s_or_b64 exec, exec, s[20:21]
	v_lshrrev_b32_e32 v28, 16, v10
	v_cmp_ne_u16_sdwa s[78:79], v28, v29 src0_sel:BYTE_0 src1_sel:DWORD
	v_mov_b32_e32 v1, 0
	s_and_saveexec_b64 s[20:21], s[78:79]
	s_cbranch_execz .LBB2_2506
; %bb.2501:                             ;   in Loop: Header=BB2_2448 Depth=2
	v_cmp_ne_u16_sdwa s[88:89], v28, s50 src0_sel:BYTE_0 src1_sel:DWORD
	v_bfrev_b32_e32 v1, 1
	s_and_saveexec_b64 s[78:79], s[88:89]
	s_cbranch_execz .LBB2_2505
; %bb.2502:                             ;   in Loop: Header=BB2_2448 Depth=2
	v_bfe_u32 v4, v10, 16, 7
	v_cmp_ne_u32_e32 vcc, s39, v4
	v_mov_b32_e32 v1, 0x7f800001
	s_and_saveexec_b64 s[88:89], vcc
	s_cbranch_execz .LBB2_2504
; %bb.2503:                             ;   in Loop: Header=BB2_2448 Depth=2
	v_and_b32_e32 v1, 7, v28
	v_lshrrev_b32_e32 v6, 3, v4
	v_cmp_gt_u32_e32 vcc, 8, v4
	v_ffbh_u32_e32 v4, v1
	v_min_u32_e32 v7, 32, v4
	v_subrev_u32_e32 v4, 28, v7
	v_lshlrev_b64 v[4:5], v4, v[28:29]
	v_sub_u32_e32 v5, 29, v7
	v_and_b32_e32 v4, 7, v4
	v_cndmask_b32_e32 v5, v6, v5, vcc
	v_cndmask_b32_e32 v1, v1, v4, vcc
	v_lshlrev_b32_e32 v4, 24, v28
	v_lshlrev_b32_e32 v1, 20, v1
	v_and_b32_e32 v4, 0x80000000, v4
	v_lshl_add_u32 v5, v5, 23, v57
	v_or3_b32 v1, v4, v5, v1
.LBB2_2504:                             ;   in Loop: Header=BB2_2448 Depth=2
	s_or_b64 exec, exec, s[88:89]
.LBB2_2505:                             ;   in Loop: Header=BB2_2448 Depth=2
	s_or_b64 exec, exec, s[78:79]
.LBB2_2506:                             ;   in Loop: Header=BB2_2448 Depth=2
	s_or_b64 exec, exec, s[20:21]
	v_mul_f32_e32 v4, v3, v1
	v_and_b32_e32 v28, 0x7f800000, v4
	v_cmp_ne_u64_e32 vcc, s[46:47], v[28:29]
                                        ; implicit-def: $vgpr36
	s_and_saveexec_b64 s[20:21], vcc
	s_xor_b64 s[78:79], exec, s[20:21]
	s_cbranch_execz .LBB2_2520
; %bb.2507:                             ;   in Loop: Header=BB2_2448 Depth=2
	v_and_b32_e32 v28, 0x7fffffff, v4
	v_cmp_gt_u64_e32 vcc, s[56:57], v[28:29]
	v_and_b32_sdwa v1, v4, s50 dst_sel:DWORD dst_unused:UNUSED_PAD src0_sel:BYTE_3 src1_sel:DWORD
                                        ; implicit-def: $vgpr36
	s_and_saveexec_b64 s[20:21], vcc
	s_xor_b64 s[88:89], exec, s[20:21]
	s_cbranch_execz .LBB2_2517
; %bb.2508:                             ;   in Loop: Header=BB2_2448 Depth=2
	v_mov_b32_e32 v36, 0
	v_cmp_ne_u32_e32 vcc, 0, v4
	s_and_saveexec_b64 s[90:91], vcc
	s_cbranch_execz .LBB2_2516
; %bb.2509:                             ;   in Loop: Header=BB2_2448 Depth=2
	v_and_b32_e32 v6, 0x7fffff, v4
	v_bfe_u32 v4, v4, 23, 8
	v_cmp_gt_u32_e64 s[20:21], s51, v4
	v_sub_u32_e32 v5, 0x79, v4
	v_cmp_eq_u32_e32 vcc, 0, v4
	v_cndmask_b32_e64 v5, 0, v5, s[20:21]
	v_or_b32_e32 v7, 0x800000, v6
	v_cndmask_b32_e32 v5, v5, v58, vcc
	v_cndmask_b32_e32 v28, v7, v6, vcc
	v_add_u32_e32 v6, 20, v5
	v_lshlrev_b64 v[6:7], v6, -1
	v_add_u32_e32 v8, 19, v5
	v_lshlrev_b64 v[8:9], v8, 1
	v_bfi_b32 v7, v7, 0, 0
	v_bfi_b32 v6, v6, 0, v28
	v_lshrrev_b64 v[54:55], v5, v[28:29]
	v_cmp_eq_u64_e64 s[20:21], v[6:7], v[8:9]
	v_mov_b32_e32 v39, v54
	v_mov_b32_e32 v40, v55
	s_and_saveexec_b64 s[92:93], s[20:21]
; %bb.2510:                             ;   in Loop: Header=BB2_2448 Depth=2
	v_bfe_u32 v6, v54, 20, 1
	v_add_co_u32_e64 v6, s[20:21], v54, v6
	v_add_co_u32_e64 v39, s[20:21], -1, v6
; %bb.2511:                             ;   in Loop: Header=BB2_2448 Depth=2
	s_or_b64 exec, exec, s[92:93]
	v_add_u32_e32 v4, 0xffffff81, v4
	v_cndmask_b32_e32 v4, v4, v59, vcc
	v_lshrrev_b32_e32 v6, 23, v54
	v_add3_u32 v6, v5, v4, v6
	v_add_u32_e32 v5, 6, v6
	v_and_b32_e32 v4, 0xfffff, v39
	v_add_u32_e32 v28, v4, v54
	v_cmp_ne_u32_e32 vcc, 0, v5
                                        ; implicit-def: $vgpr54_vgpr55
                                        ; implicit-def: $vgpr4
	s_and_saveexec_b64 s[20:21], vcc
	s_xor_b64 s[20:21], exec, s[20:21]
; %bb.2512:                             ;   in Loop: Header=BB2_2448 Depth=2
	v_cmp_lt_u64_e32 vcc, s[58:59], v[28:29]
	v_add_u32_e32 v4, 7, v6
	v_cndmask_b32_e32 v4, v5, v4, vcc
	v_cndmask_b32_e64 v5, 0, 1, vcc
	v_lshrrev_b64 v[54:55], v5, v[28:29]
; %bb.2513:                             ;   in Loop: Header=BB2_2448 Depth=2
	s_andn2_saveexec_b64 s[20:21], s[20:21]
; %bb.2514:                             ;   in Loop: Header=BB2_2448 Depth=2
	v_mov_b32_e32 v55, v29
	v_bfe_u32 v4, v28, 23, 1
	v_mov_b32_e32 v54, v28
; %bb.2515:                             ;   in Loop: Header=BB2_2448 Depth=2
	s_or_b64 exec, exec, s[20:21]
	v_lshrrev_b64 v[5:6], 20, v[54:55]
	v_cmp_gt_i32_e32 vcc, 16, v4
	v_cndmask_b32_e32 v6, 0, v6, vcc
	v_cndmask_b32_e32 v5, 7, v5, vcc
	v_cmp_eq_u32_e32 vcc, 0, v4
	v_min_i32_e32 v4, 15, v4
	v_cmp_eq_u64_e64 s[20:21], 0, v[5:6]
	v_lshlrev_b32_e32 v4, 3, v4
	v_and_b32_e32 v4, 0xf8, v4
	v_and_or_b32 v4, v5, 7, v4
	s_and_b64 s[20:21], vcc, s[20:21]
	v_cndmask_b32_e64 v4, v4, 0, s[20:21]
	v_or_b32_e32 v36, v4, v1
.LBB2_2516:                             ;   in Loop: Header=BB2_2448 Depth=2
	s_or_b64 exec, exec, s[90:91]
                                        ; implicit-def: $vgpr1
.LBB2_2517:                             ;   in Loop: Header=BB2_2448 Depth=2
	s_andn2_saveexec_b64 s[20:21], s[88:89]
; %bb.2518:                             ;   in Loop: Header=BB2_2448 Depth=2
	v_or_b32_e32 v36, 0x7e, v1
; %bb.2519:                             ;   in Loop: Header=BB2_2448 Depth=2
	s_or_b64 exec, exec, s[20:21]
                                        ; implicit-def: $vgpr4
.LBB2_2520:                             ;   in Loop: Header=BB2_2448 Depth=2
	s_andn2_saveexec_b64 s[20:21], s[78:79]
; %bb.2521:                             ;   in Loop: Header=BB2_2448 Depth=2
	v_or_b32_sdwa v36, v4, s39 dst_sel:DWORD dst_unused:UNUSED_PAD src0_sel:BYTE_3 src1_sel:DWORD
; %bb.2522:                             ;   in Loop: Header=BB2_2448 Depth=2
	s_or_b64 exec, exec, s[20:21]
	v_cmp_lt_u32_e32 vcc, s61, v10
	v_mov_b32_e32 v1, 0
	s_and_saveexec_b64 s[20:21], vcc
	s_cbranch_execz .LBB2_2528
; %bb.2523:                             ;   in Loop: Header=BB2_2448 Depth=2
	v_lshrrev_b32_e32 v28, 24, v10
	v_cmp_ne_u32_e32 vcc, s50, v28
	v_bfrev_b32_e32 v1, 1
	s_and_saveexec_b64 s[78:79], vcc
	s_cbranch_execz .LBB2_2527
; %bb.2524:                             ;   in Loop: Header=BB2_2448 Depth=2
	v_bfe_u32 v4, v10, 24, 7
	v_cmp_ne_u32_e32 vcc, s39, v4
	v_mov_b32_e32 v1, 0x7f800001
	s_and_saveexec_b64 s[88:89], vcc
	s_cbranch_execz .LBB2_2526
; %bb.2525:                             ;   in Loop: Header=BB2_2448 Depth=2
	v_and_b32_e32 v1, 7, v28
	v_lshrrev_b32_e32 v6, 3, v4
	v_cmp_gt_u32_e32 vcc, 8, v4
	v_ffbh_u32_e32 v4, v1
	v_min_u32_e32 v7, 32, v4
	v_subrev_u32_e32 v4, 28, v7
	v_lshlrev_b64 v[4:5], v4, v[28:29]
	v_sub_u32_e32 v5, 29, v7
	v_and_b32_e32 v4, 7, v4
	v_cndmask_b32_e32 v5, v6, v5, vcc
	v_cndmask_b32_e32 v1, v1, v4, vcc
	v_lshlrev_b32_e32 v4, 24, v28
	v_lshlrev_b32_e32 v1, 20, v1
	v_and_b32_e32 v4, 0x80000000, v4
	v_lshl_add_u32 v5, v5, 23, v57
	v_or3_b32 v1, v4, v5, v1
.LBB2_2526:                             ;   in Loop: Header=BB2_2448 Depth=2
	s_or_b64 exec, exec, s[88:89]
.LBB2_2527:                             ;   in Loop: Header=BB2_2448 Depth=2
	s_or_b64 exec, exec, s[78:79]
.LBB2_2528:                             ;   in Loop: Header=BB2_2448 Depth=2
	s_or_b64 exec, exec, s[20:21]
	v_mul_f32_e32 v4, v3, v1
	v_and_b32_e32 v28, 0x7f800000, v4
	v_cmp_ne_u64_e32 vcc, s[46:47], v[28:29]
                                        ; implicit-def: $vgpr46
	s_and_saveexec_b64 s[20:21], vcc
	s_xor_b64 s[78:79], exec, s[20:21]
	s_cbranch_execz .LBB2_2542
; %bb.2529:                             ;   in Loop: Header=BB2_2448 Depth=2
	v_and_b32_e32 v28, 0x7fffffff, v4
	v_cmp_gt_u64_e32 vcc, s[56:57], v[28:29]
	v_and_b32_sdwa v1, v4, s50 dst_sel:DWORD dst_unused:UNUSED_PAD src0_sel:BYTE_3 src1_sel:DWORD
                                        ; implicit-def: $vgpr46
	s_and_saveexec_b64 s[20:21], vcc
	s_xor_b64 s[88:89], exec, s[20:21]
	s_cbranch_execz .LBB2_2539
; %bb.2530:                             ;   in Loop: Header=BB2_2448 Depth=2
	v_mov_b32_e32 v46, 0
	v_cmp_ne_u32_e32 vcc, 0, v4
	s_and_saveexec_b64 s[90:91], vcc
	s_cbranch_execz .LBB2_2538
; %bb.2531:                             ;   in Loop: Header=BB2_2448 Depth=2
	v_and_b32_e32 v6, 0x7fffff, v4
	v_bfe_u32 v4, v4, 23, 8
	v_cmp_gt_u32_e64 s[20:21], s51, v4
	v_sub_u32_e32 v5, 0x79, v4
	v_cmp_eq_u32_e32 vcc, 0, v4
	v_cndmask_b32_e64 v5, 0, v5, s[20:21]
	v_or_b32_e32 v7, 0x800000, v6
	v_cndmask_b32_e32 v5, v5, v58, vcc
	v_cndmask_b32_e32 v28, v7, v6, vcc
	v_add_u32_e32 v6, 20, v5
	v_lshlrev_b64 v[6:7], v6, -1
	v_add_u32_e32 v8, 19, v5
	v_lshlrev_b64 v[8:9], v8, 1
	v_bfi_b32 v7, v7, 0, 0
	v_bfi_b32 v6, v6, 0, v28
	v_lshrrev_b64 v[54:55], v5, v[28:29]
	v_cmp_eq_u64_e64 s[20:21], v[6:7], v[8:9]
	v_mov_b32_e32 v39, v54
	v_mov_b32_e32 v40, v55
	s_and_saveexec_b64 s[92:93], s[20:21]
; %bb.2532:                             ;   in Loop: Header=BB2_2448 Depth=2
	v_bfe_u32 v6, v54, 20, 1
	v_add_co_u32_e64 v6, s[20:21], v54, v6
	v_add_co_u32_e64 v39, s[20:21], -1, v6
; %bb.2533:                             ;   in Loop: Header=BB2_2448 Depth=2
	s_or_b64 exec, exec, s[92:93]
	v_add_u32_e32 v4, 0xffffff81, v4
	v_cndmask_b32_e32 v4, v4, v59, vcc
	v_lshrrev_b32_e32 v6, 23, v54
	v_add3_u32 v6, v5, v4, v6
	v_add_u32_e32 v5, 6, v6
	v_and_b32_e32 v4, 0xfffff, v39
	v_add_u32_e32 v28, v4, v54
	v_cmp_ne_u32_e32 vcc, 0, v5
                                        ; implicit-def: $vgpr54_vgpr55
                                        ; implicit-def: $vgpr4
	s_and_saveexec_b64 s[20:21], vcc
	s_xor_b64 s[20:21], exec, s[20:21]
; %bb.2534:                             ;   in Loop: Header=BB2_2448 Depth=2
	v_cmp_lt_u64_e32 vcc, s[58:59], v[28:29]
	v_add_u32_e32 v4, 7, v6
	v_cndmask_b32_e32 v4, v5, v4, vcc
	v_cndmask_b32_e64 v5, 0, 1, vcc
	v_lshrrev_b64 v[54:55], v5, v[28:29]
; %bb.2535:                             ;   in Loop: Header=BB2_2448 Depth=2
	s_andn2_saveexec_b64 s[20:21], s[20:21]
; %bb.2536:                             ;   in Loop: Header=BB2_2448 Depth=2
	v_mov_b32_e32 v55, v29
	v_bfe_u32 v4, v28, 23, 1
	v_mov_b32_e32 v54, v28
; %bb.2537:                             ;   in Loop: Header=BB2_2448 Depth=2
	s_or_b64 exec, exec, s[20:21]
	v_lshrrev_b64 v[5:6], 20, v[54:55]
	v_cmp_gt_i32_e32 vcc, 16, v4
	v_cndmask_b32_e32 v6, 0, v6, vcc
	v_cndmask_b32_e32 v5, 7, v5, vcc
	v_cmp_eq_u32_e32 vcc, 0, v4
	v_min_i32_e32 v4, 15, v4
	v_cmp_eq_u64_e64 s[20:21], 0, v[5:6]
	v_lshlrev_b32_e32 v4, 3, v4
	v_and_b32_e32 v4, 0xf8, v4
	v_and_or_b32 v4, v5, 7, v4
	s_and_b64 s[20:21], vcc, s[20:21]
	v_cndmask_b32_e64 v4, v4, 0, s[20:21]
	v_or_b32_e32 v46, v4, v1
.LBB2_2538:                             ;   in Loop: Header=BB2_2448 Depth=2
	s_or_b64 exec, exec, s[90:91]
                                        ; implicit-def: $vgpr1
.LBB2_2539:                             ;   in Loop: Header=BB2_2448 Depth=2
	s_andn2_saveexec_b64 s[20:21], s[88:89]
; %bb.2540:                             ;   in Loop: Header=BB2_2448 Depth=2
	v_or_b32_e32 v46, 0x7e, v1
; %bb.2541:                             ;   in Loop: Header=BB2_2448 Depth=2
	s_or_b64 exec, exec, s[20:21]
                                        ; implicit-def: $vgpr4
.LBB2_2542:                             ;   in Loop: Header=BB2_2448 Depth=2
	s_andn2_saveexec_b64 s[20:21], s[78:79]
; %bb.2543:                             ;   in Loop: Header=BB2_2448 Depth=2
	v_or_b32_sdwa v46, v4, s39 dst_sel:DWORD dst_unused:UNUSED_PAD src0_sel:BYTE_3 src1_sel:DWORD
; %bb.2544:                             ;   in Loop: Header=BB2_2448 Depth=2
	s_or_b64 exec, exec, s[20:21]
	v_mov_b32_e32 v28, v11
	v_cmp_ne_u16_sdwa s[78:79], v11, v29 src0_sel:BYTE_0 src1_sel:DWORD
	v_mov_b32_e32 v1, 0
	s_and_saveexec_b64 s[20:21], s[78:79]
	s_cbranch_execz .LBB2_2550
; %bb.2545:                             ;   in Loop: Header=BB2_2448 Depth=2
	v_cmp_ne_u16_sdwa s[88:89], v11, s50 src0_sel:BYTE_0 src1_sel:DWORD
	v_bfrev_b32_e32 v1, 1
	s_and_saveexec_b64 s[78:79], s[88:89]
	s_cbranch_execz .LBB2_2549
; %bb.2546:                             ;   in Loop: Header=BB2_2448 Depth=2
	v_and_b32_e32 v4, 0x7f, v11
	v_cmp_ne_u32_e32 vcc, s39, v4
	v_mov_b32_e32 v1, 0x7f800001
	s_and_saveexec_b64 s[88:89], vcc
	s_cbranch_execz .LBB2_2548
; %bb.2547:                             ;   in Loop: Header=BB2_2448 Depth=2
	v_and_b32_e32 v1, 7, v11
	v_ffbh_u32_e32 v1, v1
	v_min_u32_e32 v1, 32, v1
	v_lshrrev_b32_e32 v5, 3, v4
	v_cmp_gt_u32_e32 vcc, 8, v4
	v_subrev_u32_e32 v4, 28, v1
	v_sub_u32_e32 v1, 29, v1
	v_cndmask_b32_e32 v4, 0, v4, vcc
	v_cndmask_b32_e32 v1, v5, v1, vcc
	v_lshlrev_b64 v[4:5], v4, v[28:29]
	v_lshlrev_b32_e32 v5, 24, v28
	v_lshlrev_b32_e32 v4, 20, v4
	v_and_b32_e32 v4, 0x700000, v4
	v_and_b32_e32 v5, 0x80000000, v5
	v_lshl_add_u32 v1, v1, 23, v57
	v_or3_b32 v1, v5, v1, v4
.LBB2_2548:                             ;   in Loop: Header=BB2_2448 Depth=2
	s_or_b64 exec, exec, s[88:89]
.LBB2_2549:                             ;   in Loop: Header=BB2_2448 Depth=2
	s_or_b64 exec, exec, s[78:79]
.LBB2_2550:                             ;   in Loop: Header=BB2_2448 Depth=2
	s_or_b64 exec, exec, s[20:21]
	v_mul_f32_e32 v4, v3, v1
	v_and_b32_e32 v5, 0x7f800000, v4
	v_mov_b32_e32 v6, v29
	v_cmp_ne_u64_e32 vcc, s[46:47], v[5:6]
                                        ; implicit-def: $vgpr41
	s_and_saveexec_b64 s[20:21], vcc
	s_xor_b64 s[78:79], exec, s[20:21]
	s_cbranch_execz .LBB2_2564
; %bb.2551:                             ;   in Loop: Header=BB2_2448 Depth=2
	v_and_b32_e32 v5, 0x7fffffff, v4
	v_mov_b32_e32 v6, v29
	v_cmp_gt_u64_e32 vcc, s[56:57], v[5:6]
	v_and_b32_sdwa v1, v4, s50 dst_sel:DWORD dst_unused:UNUSED_PAD src0_sel:BYTE_3 src1_sel:DWORD
                                        ; implicit-def: $vgpr41
	s_and_saveexec_b64 s[20:21], vcc
	s_xor_b64 s[88:89], exec, s[20:21]
	s_cbranch_execz .LBB2_2561
; %bb.2552:                             ;   in Loop: Header=BB2_2448 Depth=2
	v_mov_b32_e32 v41, 0
	v_cmp_ne_u32_e32 vcc, 0, v4
	s_and_saveexec_b64 s[90:91], vcc
	s_cbranch_execz .LBB2_2560
; %bb.2553:                             ;   in Loop: Header=BB2_2448 Depth=2
	v_and_b32_e32 v6, 0x7fffff, v4
	v_bfe_u32 v4, v4, 23, 8
	v_cmp_gt_u32_e64 s[20:21], s51, v4
	v_sub_u32_e32 v5, 0x79, v4
	v_cmp_eq_u32_e32 vcc, 0, v4
	v_cndmask_b32_e64 v5, 0, v5, s[20:21]
	v_cndmask_b32_e32 v5, v5, v58, vcc
	v_add_u32_e32 v8, 20, v5
	v_or_b32_e32 v7, 0x800000, v6
	v_lshlrev_b64 v[8:9], v8, -1
	v_add_u32_e32 v15, 19, v5
	v_cndmask_b32_e32 v6, v7, v6, vcc
	v_mov_b32_e32 v7, v29
	v_lshlrev_b64 v[20:21], v15, 1
	v_bfi_b32 v9, v9, 0, 0
	v_bfi_b32 v8, v8, 0, v6
	v_lshrrev_b64 v[54:55], v5, v[6:7]
	v_cmp_eq_u64_e64 s[20:21], v[8:9], v[20:21]
	v_mov_b32_e32 v39, v54
	v_mov_b32_e32 v40, v55
	s_and_saveexec_b64 s[92:93], s[20:21]
; %bb.2554:                             ;   in Loop: Header=BB2_2448 Depth=2
	v_bfe_u32 v6, v54, 20, 1
	v_add_co_u32_e64 v6, s[20:21], v54, v6
	v_add_co_u32_e64 v39, s[20:21], -1, v6
; %bb.2555:                             ;   in Loop: Header=BB2_2448 Depth=2
	s_or_b64 exec, exec, s[92:93]
	v_add_u32_e32 v4, 0xffffff81, v4
	v_cndmask_b32_e32 v4, v4, v59, vcc
	v_lshrrev_b32_e32 v6, 23, v54
	v_add3_u32 v6, v5, v4, v6
	v_add_u32_e32 v5, 6, v6
	v_and_b32_e32 v4, 0xfffff, v39
	v_add_u32_e32 v54, v4, v54
	v_mov_b32_e32 v55, v29
	v_cmp_ne_u32_e32 vcc, 0, v5
                                        ; implicit-def: $vgpr4
	s_and_saveexec_b64 s[20:21], vcc
	s_xor_b64 s[20:21], exec, s[20:21]
; %bb.2556:                             ;   in Loop: Header=BB2_2448 Depth=2
	v_cmp_lt_u64_e32 vcc, s[58:59], v[54:55]
	v_add_u32_e32 v4, 7, v6
	v_cndmask_b32_e32 v4, v5, v4, vcc
	v_cndmask_b32_e64 v5, 0, 1, vcc
	v_lshrrev_b64 v[54:55], v5, v[54:55]
; %bb.2557:                             ;   in Loop: Header=BB2_2448 Depth=2
	s_andn2_saveexec_b64 s[20:21], s[20:21]
; %bb.2558:                             ;   in Loop: Header=BB2_2448 Depth=2
	v_bfe_u32 v4, v54, 23, 1
; %bb.2559:                             ;   in Loop: Header=BB2_2448 Depth=2
	s_or_b64 exec, exec, s[20:21]
	v_lshrrev_b64 v[5:6], 20, v[54:55]
	v_cmp_gt_i32_e32 vcc, 16, v4
	v_cndmask_b32_e32 v6, 0, v6, vcc
	v_cndmask_b32_e32 v5, 7, v5, vcc
	v_cmp_eq_u32_e32 vcc, 0, v4
	v_min_i32_e32 v4, 15, v4
	v_cmp_eq_u64_e64 s[20:21], 0, v[5:6]
	v_lshlrev_b32_e32 v4, 3, v4
	v_and_b32_e32 v4, 0xf8, v4
	v_and_or_b32 v4, v5, 7, v4
	s_and_b64 s[20:21], vcc, s[20:21]
	v_cndmask_b32_e64 v4, v4, 0, s[20:21]
	v_or_b32_e32 v41, v4, v1
.LBB2_2560:                             ;   in Loop: Header=BB2_2448 Depth=2
	s_or_b64 exec, exec, s[90:91]
                                        ; implicit-def: $vgpr1
.LBB2_2561:                             ;   in Loop: Header=BB2_2448 Depth=2
	s_andn2_saveexec_b64 s[20:21], s[88:89]
; %bb.2562:                             ;   in Loop: Header=BB2_2448 Depth=2
	v_or_b32_e32 v41, 0x7e, v1
; %bb.2563:                             ;   in Loop: Header=BB2_2448 Depth=2
	s_or_b64 exec, exec, s[20:21]
                                        ; implicit-def: $vgpr4
.LBB2_2564:                             ;   in Loop: Header=BB2_2448 Depth=2
	s_andn2_saveexec_b64 s[20:21], s[78:79]
; %bb.2565:                             ;   in Loop: Header=BB2_2448 Depth=2
	v_or_b32_sdwa v41, v4, s39 dst_sel:DWORD dst_unused:UNUSED_PAD src0_sel:BYTE_3 src1_sel:DWORD
; %bb.2566:                             ;   in Loop: Header=BB2_2448 Depth=2
	s_or_b64 exec, exec, s[20:21]
	v_lshrrev_b16_e32 v30, 8, v28
	v_cmp_ne_u16_e32 vcc, 0, v30
	v_mov_b32_e32 v1, 0
	s_and_saveexec_b64 s[20:21], vcc
	s_cbranch_execz .LBB2_2572
; %bb.2567:                             ;   in Loop: Header=BB2_2448 Depth=2
	v_cmp_ne_u16_e32 vcc, s50, v30
	v_bfrev_b32_e32 v1, 1
	s_and_saveexec_b64 s[78:79], vcc
	s_cbranch_execz .LBB2_2571
; %bb.2568:                             ;   in Loop: Header=BB2_2448 Depth=2
	v_and_b32_e32 v4, 0x7f, v30
	v_cmp_ne_u32_e32 vcc, s39, v4
	v_mov_b32_e32 v1, 0x7f800001
	s_and_saveexec_b64 s[88:89], vcc
	s_cbranch_execz .LBB2_2570
; %bb.2569:                             ;   in Loop: Header=BB2_2448 Depth=2
	v_and_b32_e32 v1, 7, v30
	v_lshrrev_b32_e32 v6, 3, v4
	v_cmp_gt_u32_e32 vcc, 8, v4
	v_ffbh_u32_e32 v4, v1
	v_min_u32_e32 v7, 32, v4
	v_subrev_u32_e32 v4, 28, v7
	v_lshlrev_b64 v[4:5], v4, v[30:31]
	v_sub_u32_e32 v5, 29, v7
	v_and_b32_e32 v4, 7, v4
	v_cndmask_b32_e32 v5, v6, v5, vcc
	v_cndmask_b32_e32 v1, v1, v4, vcc
	v_lshlrev_b32_e32 v4, 16, v28
	v_lshlrev_b32_e32 v1, 20, v1
	v_and_b32_e32 v4, 0x80000000, v4
	v_lshl_add_u32 v5, v5, 23, v57
	v_or3_b32 v1, v4, v5, v1
.LBB2_2570:                             ;   in Loop: Header=BB2_2448 Depth=2
	s_or_b64 exec, exec, s[88:89]
.LBB2_2571:                             ;   in Loop: Header=BB2_2448 Depth=2
	s_or_b64 exec, exec, s[78:79]
.LBB2_2572:                             ;   in Loop: Header=BB2_2448 Depth=2
	s_or_b64 exec, exec, s[20:21]
	v_mul_f32_e32 v4, v3, v1
	v_and_b32_e32 v28, 0x7f800000, v4
	v_cmp_ne_u64_e32 vcc, s[46:47], v[28:29]
                                        ; implicit-def: $vgpr35
	s_and_saveexec_b64 s[20:21], vcc
	s_xor_b64 s[78:79], exec, s[20:21]
	s_cbranch_execz .LBB2_2586
; %bb.2573:                             ;   in Loop: Header=BB2_2448 Depth=2
	v_and_b32_e32 v28, 0x7fffffff, v4
	v_cmp_gt_u64_e32 vcc, s[56:57], v[28:29]
	v_and_b32_sdwa v1, v4, s50 dst_sel:DWORD dst_unused:UNUSED_PAD src0_sel:BYTE_3 src1_sel:DWORD
                                        ; implicit-def: $vgpr35
	s_and_saveexec_b64 s[20:21], vcc
	s_xor_b64 s[88:89], exec, s[20:21]
	s_cbranch_execz .LBB2_2583
; %bb.2574:                             ;   in Loop: Header=BB2_2448 Depth=2
	v_mov_b32_e32 v35, 0
	v_cmp_ne_u32_e32 vcc, 0, v4
	s_and_saveexec_b64 s[90:91], vcc
	s_cbranch_execz .LBB2_2582
; %bb.2575:                             ;   in Loop: Header=BB2_2448 Depth=2
	v_and_b32_e32 v6, 0x7fffff, v4
	v_bfe_u32 v4, v4, 23, 8
	v_cmp_gt_u32_e64 s[20:21], s51, v4
	v_sub_u32_e32 v5, 0x79, v4
	v_cmp_eq_u32_e32 vcc, 0, v4
	v_cndmask_b32_e64 v5, 0, v5, s[20:21]
	v_or_b32_e32 v7, 0x800000, v6
	v_cndmask_b32_e32 v5, v5, v58, vcc
	v_cndmask_b32_e32 v28, v7, v6, vcc
	v_add_u32_e32 v6, 20, v5
	v_lshlrev_b64 v[6:7], v6, -1
	v_add_u32_e32 v8, 19, v5
	v_lshlrev_b64 v[8:9], v8, 1
	v_bfi_b32 v7, v7, 0, 0
	v_bfi_b32 v6, v6, 0, v28
	v_lshrrev_b64 v[54:55], v5, v[28:29]
	v_cmp_eq_u64_e64 s[20:21], v[6:7], v[8:9]
	v_mov_b32_e32 v39, v54
	v_mov_b32_e32 v40, v55
	s_and_saveexec_b64 s[92:93], s[20:21]
; %bb.2576:                             ;   in Loop: Header=BB2_2448 Depth=2
	v_bfe_u32 v6, v54, 20, 1
	v_add_co_u32_e64 v6, s[20:21], v54, v6
	v_add_co_u32_e64 v39, s[20:21], -1, v6
; %bb.2577:                             ;   in Loop: Header=BB2_2448 Depth=2
	s_or_b64 exec, exec, s[92:93]
	v_add_u32_e32 v4, 0xffffff81, v4
	v_cndmask_b32_e32 v4, v4, v59, vcc
	v_lshrrev_b32_e32 v6, 23, v54
	v_add3_u32 v6, v5, v4, v6
	v_add_u32_e32 v5, 6, v6
	v_and_b32_e32 v4, 0xfffff, v39
	v_add_u32_e32 v28, v4, v54
	v_cmp_ne_u32_e32 vcc, 0, v5
                                        ; implicit-def: $vgpr54_vgpr55
                                        ; implicit-def: $vgpr4
	s_and_saveexec_b64 s[20:21], vcc
	s_xor_b64 s[20:21], exec, s[20:21]
; %bb.2578:                             ;   in Loop: Header=BB2_2448 Depth=2
	v_cmp_lt_u64_e32 vcc, s[58:59], v[28:29]
	v_add_u32_e32 v4, 7, v6
	v_cndmask_b32_e32 v4, v5, v4, vcc
	v_cndmask_b32_e64 v5, 0, 1, vcc
	v_lshrrev_b64 v[54:55], v5, v[28:29]
; %bb.2579:                             ;   in Loop: Header=BB2_2448 Depth=2
	s_andn2_saveexec_b64 s[20:21], s[20:21]
; %bb.2580:                             ;   in Loop: Header=BB2_2448 Depth=2
	v_mov_b32_e32 v55, v29
	v_bfe_u32 v4, v28, 23, 1
	v_mov_b32_e32 v54, v28
; %bb.2581:                             ;   in Loop: Header=BB2_2448 Depth=2
	s_or_b64 exec, exec, s[20:21]
	v_lshrrev_b64 v[5:6], 20, v[54:55]
	v_cmp_gt_i32_e32 vcc, 16, v4
	v_cndmask_b32_e32 v6, 0, v6, vcc
	v_cndmask_b32_e32 v5, 7, v5, vcc
	v_cmp_eq_u32_e32 vcc, 0, v4
	v_min_i32_e32 v4, 15, v4
	v_cmp_eq_u64_e64 s[20:21], 0, v[5:6]
	v_lshlrev_b32_e32 v4, 3, v4
	v_and_b32_e32 v4, 0xf8, v4
	v_and_or_b32 v4, v5, 7, v4
	s_and_b64 s[20:21], vcc, s[20:21]
	v_cndmask_b32_e64 v4, v4, 0, s[20:21]
	v_or_b32_e32 v35, v4, v1
.LBB2_2582:                             ;   in Loop: Header=BB2_2448 Depth=2
	s_or_b64 exec, exec, s[90:91]
                                        ; implicit-def: $vgpr1
.LBB2_2583:                             ;   in Loop: Header=BB2_2448 Depth=2
	s_andn2_saveexec_b64 s[20:21], s[88:89]
; %bb.2584:                             ;   in Loop: Header=BB2_2448 Depth=2
	v_or_b32_e32 v35, 0x7e, v1
; %bb.2585:                             ;   in Loop: Header=BB2_2448 Depth=2
	s_or_b64 exec, exec, s[20:21]
                                        ; implicit-def: $vgpr4
.LBB2_2586:                             ;   in Loop: Header=BB2_2448 Depth=2
	s_andn2_saveexec_b64 s[20:21], s[78:79]
; %bb.2587:                             ;   in Loop: Header=BB2_2448 Depth=2
	v_or_b32_sdwa v35, v4, s39 dst_sel:DWORD dst_unused:UNUSED_PAD src0_sel:BYTE_3 src1_sel:DWORD
; %bb.2588:                             ;   in Loop: Header=BB2_2448 Depth=2
	s_or_b64 exec, exec, s[20:21]
	v_lshrrev_b32_e32 v28, 16, v11
	v_cmp_ne_u16_sdwa s[78:79], v28, v29 src0_sel:BYTE_0 src1_sel:DWORD
	v_mov_b32_e32 v1, 0
	s_and_saveexec_b64 s[20:21], s[78:79]
	s_cbranch_execz .LBB2_2594
; %bb.2589:                             ;   in Loop: Header=BB2_2448 Depth=2
	v_cmp_ne_u16_sdwa s[88:89], v28, s50 src0_sel:BYTE_0 src1_sel:DWORD
	v_bfrev_b32_e32 v1, 1
	s_and_saveexec_b64 s[78:79], s[88:89]
	s_cbranch_execz .LBB2_2593
; %bb.2590:                             ;   in Loop: Header=BB2_2448 Depth=2
	v_bfe_u32 v4, v11, 16, 7
	v_cmp_ne_u32_e32 vcc, s39, v4
	v_mov_b32_e32 v1, 0x7f800001
	s_and_saveexec_b64 s[88:89], vcc
	s_cbranch_execz .LBB2_2592
; %bb.2591:                             ;   in Loop: Header=BB2_2448 Depth=2
	v_and_b32_e32 v1, 7, v28
	v_lshrrev_b32_e32 v6, 3, v4
	v_cmp_gt_u32_e32 vcc, 8, v4
	v_ffbh_u32_e32 v4, v1
	v_min_u32_e32 v7, 32, v4
	v_subrev_u32_e32 v4, 28, v7
	v_lshlrev_b64 v[4:5], v4, v[28:29]
	v_sub_u32_e32 v5, 29, v7
	v_and_b32_e32 v4, 7, v4
	v_cndmask_b32_e32 v5, v6, v5, vcc
	v_cndmask_b32_e32 v1, v1, v4, vcc
	v_lshlrev_b32_e32 v4, 24, v28
	v_lshlrev_b32_e32 v1, 20, v1
	v_and_b32_e32 v4, 0x80000000, v4
	v_lshl_add_u32 v5, v5, 23, v57
	v_or3_b32 v1, v4, v5, v1
.LBB2_2592:                             ;   in Loop: Header=BB2_2448 Depth=2
	s_or_b64 exec, exec, s[88:89]
.LBB2_2593:                             ;   in Loop: Header=BB2_2448 Depth=2
	s_or_b64 exec, exec, s[78:79]
.LBB2_2594:                             ;   in Loop: Header=BB2_2448 Depth=2
	s_or_b64 exec, exec, s[20:21]
	v_mul_f32_e32 v4, v3, v1
	v_and_b32_e32 v28, 0x7f800000, v4
	v_cmp_ne_u64_e32 vcc, s[46:47], v[28:29]
                                        ; implicit-def: $vgpr37
	s_and_saveexec_b64 s[20:21], vcc
	s_xor_b64 s[78:79], exec, s[20:21]
	s_cbranch_execz .LBB2_2608
; %bb.2595:                             ;   in Loop: Header=BB2_2448 Depth=2
	v_and_b32_e32 v28, 0x7fffffff, v4
	v_cmp_gt_u64_e32 vcc, s[56:57], v[28:29]
	v_and_b32_sdwa v1, v4, s50 dst_sel:DWORD dst_unused:UNUSED_PAD src0_sel:BYTE_3 src1_sel:DWORD
                                        ; implicit-def: $vgpr37
	s_and_saveexec_b64 s[20:21], vcc
	s_xor_b64 s[88:89], exec, s[20:21]
	s_cbranch_execz .LBB2_2605
; %bb.2596:                             ;   in Loop: Header=BB2_2448 Depth=2
	v_mov_b32_e32 v37, 0
	v_cmp_ne_u32_e32 vcc, 0, v4
	s_and_saveexec_b64 s[90:91], vcc
	s_cbranch_execz .LBB2_2604
; %bb.2597:                             ;   in Loop: Header=BB2_2448 Depth=2
	v_and_b32_e32 v6, 0x7fffff, v4
	v_bfe_u32 v4, v4, 23, 8
	v_cmp_gt_u32_e64 s[20:21], s51, v4
	v_sub_u32_e32 v5, 0x79, v4
	v_cmp_eq_u32_e32 vcc, 0, v4
	v_cndmask_b32_e64 v5, 0, v5, s[20:21]
	v_or_b32_e32 v7, 0x800000, v6
	v_cndmask_b32_e32 v5, v5, v58, vcc
	v_cndmask_b32_e32 v28, v7, v6, vcc
	v_add_u32_e32 v6, 20, v5
	v_lshlrev_b64 v[6:7], v6, -1
	v_add_u32_e32 v8, 19, v5
	v_lshlrev_b64 v[8:9], v8, 1
	v_bfi_b32 v7, v7, 0, 0
	v_bfi_b32 v6, v6, 0, v28
	v_lshrrev_b64 v[54:55], v5, v[28:29]
	v_cmp_eq_u64_e64 s[20:21], v[6:7], v[8:9]
	v_mov_b32_e32 v39, v54
	v_mov_b32_e32 v40, v55
	s_and_saveexec_b64 s[92:93], s[20:21]
; %bb.2598:                             ;   in Loop: Header=BB2_2448 Depth=2
	v_bfe_u32 v6, v54, 20, 1
	v_add_co_u32_e64 v6, s[20:21], v54, v6
	v_add_co_u32_e64 v39, s[20:21], -1, v6
; %bb.2599:                             ;   in Loop: Header=BB2_2448 Depth=2
	s_or_b64 exec, exec, s[92:93]
	v_add_u32_e32 v4, 0xffffff81, v4
	v_cndmask_b32_e32 v4, v4, v59, vcc
	v_lshrrev_b32_e32 v6, 23, v54
	v_add3_u32 v6, v5, v4, v6
	v_add_u32_e32 v5, 6, v6
	v_and_b32_e32 v4, 0xfffff, v39
	v_add_u32_e32 v28, v4, v54
	v_cmp_ne_u32_e32 vcc, 0, v5
                                        ; implicit-def: $vgpr54_vgpr55
                                        ; implicit-def: $vgpr4
	s_and_saveexec_b64 s[20:21], vcc
	s_xor_b64 s[20:21], exec, s[20:21]
; %bb.2600:                             ;   in Loop: Header=BB2_2448 Depth=2
	v_cmp_lt_u64_e32 vcc, s[58:59], v[28:29]
	v_add_u32_e32 v4, 7, v6
	v_cndmask_b32_e32 v4, v5, v4, vcc
	v_cndmask_b32_e64 v5, 0, 1, vcc
	v_lshrrev_b64 v[54:55], v5, v[28:29]
; %bb.2601:                             ;   in Loop: Header=BB2_2448 Depth=2
	s_andn2_saveexec_b64 s[20:21], s[20:21]
; %bb.2602:                             ;   in Loop: Header=BB2_2448 Depth=2
	v_mov_b32_e32 v55, v29
	v_bfe_u32 v4, v28, 23, 1
	v_mov_b32_e32 v54, v28
; %bb.2603:                             ;   in Loop: Header=BB2_2448 Depth=2
	s_or_b64 exec, exec, s[20:21]
	v_lshrrev_b64 v[5:6], 20, v[54:55]
	v_cmp_gt_i32_e32 vcc, 16, v4
	v_cndmask_b32_e32 v6, 0, v6, vcc
	v_cndmask_b32_e32 v5, 7, v5, vcc
	v_cmp_eq_u32_e32 vcc, 0, v4
	v_min_i32_e32 v4, 15, v4
	v_cmp_eq_u64_e64 s[20:21], 0, v[5:6]
	v_lshlrev_b32_e32 v4, 3, v4
	v_and_b32_e32 v4, 0xf8, v4
	v_and_or_b32 v4, v5, 7, v4
	s_and_b64 s[20:21], vcc, s[20:21]
	v_cndmask_b32_e64 v4, v4, 0, s[20:21]
	v_or_b32_e32 v37, v4, v1
.LBB2_2604:                             ;   in Loop: Header=BB2_2448 Depth=2
	s_or_b64 exec, exec, s[90:91]
                                        ; implicit-def: $vgpr1
.LBB2_2605:                             ;   in Loop: Header=BB2_2448 Depth=2
	s_andn2_saveexec_b64 s[20:21], s[88:89]
; %bb.2606:                             ;   in Loop: Header=BB2_2448 Depth=2
	v_or_b32_e32 v37, 0x7e, v1
; %bb.2607:                             ;   in Loop: Header=BB2_2448 Depth=2
	s_or_b64 exec, exec, s[20:21]
                                        ; implicit-def: $vgpr4
.LBB2_2608:                             ;   in Loop: Header=BB2_2448 Depth=2
	s_andn2_saveexec_b64 s[20:21], s[78:79]
; %bb.2609:                             ;   in Loop: Header=BB2_2448 Depth=2
	v_or_b32_sdwa v37, v4, s39 dst_sel:DWORD dst_unused:UNUSED_PAD src0_sel:BYTE_3 src1_sel:DWORD
; %bb.2610:                             ;   in Loop: Header=BB2_2448 Depth=2
	s_or_b64 exec, exec, s[20:21]
	v_cmp_lt_u64_e32 vcc, s[60:61], v[10:11]
	v_mov_b32_e32 v1, 0
	s_and_saveexec_b64 s[20:21], vcc
	s_cbranch_execz .LBB2_2616
; %bb.2611:                             ;   in Loop: Header=BB2_2448 Depth=2
	v_lshrrev_b32_e32 v10, 24, v11
	v_cmp_ne_u32_e32 vcc, s50, v10
	v_bfrev_b32_e32 v1, 1
	s_and_saveexec_b64 s[78:79], vcc
	s_cbranch_execz .LBB2_2615
; %bb.2612:                             ;   in Loop: Header=BB2_2448 Depth=2
	v_bfe_u32 v4, v11, 24, 7
	v_cmp_ne_u32_e32 vcc, s39, v4
	v_mov_b32_e32 v1, 0x7f800001
	s_and_saveexec_b64 s[88:89], vcc
	s_cbranch_execz .LBB2_2614
; %bb.2613:                             ;   in Loop: Header=BB2_2448 Depth=2
	v_and_b32_e32 v1, 7, v10
	v_lshrrev_b32_e32 v6, 3, v4
	v_cmp_gt_u32_e32 vcc, 8, v4
	v_ffbh_u32_e32 v4, v1
	v_min_u32_e32 v7, 32, v4
	v_subrev_u32_e32 v4, 28, v7
	v_lshlrev_b64 v[4:5], v4, v[10:11]
	v_sub_u32_e32 v5, 29, v7
	v_and_b32_e32 v4, 7, v4
	v_cndmask_b32_e32 v5, v6, v5, vcc
	v_cndmask_b32_e32 v1, v1, v4, vcc
	v_lshlrev_b32_e32 v4, 24, v10
	v_lshlrev_b32_e32 v1, 20, v1
	v_and_b32_e32 v4, 0x80000000, v4
	v_lshl_add_u32 v5, v5, 23, v57
	v_or3_b32 v1, v4, v5, v1
.LBB2_2614:                             ;   in Loop: Header=BB2_2448 Depth=2
	s_or_b64 exec, exec, s[88:89]
.LBB2_2615:                             ;   in Loop: Header=BB2_2448 Depth=2
	s_or_b64 exec, exec, s[78:79]
.LBB2_2616:                             ;   in Loop: Header=BB2_2448 Depth=2
	s_or_b64 exec, exec, s[20:21]
	v_mul_f32_e32 v4, v3, v1
	v_and_b32_e32 v28, 0x7f800000, v4
	v_cmp_ne_u64_e32 vcc, s[46:47], v[28:29]
                                        ; implicit-def: $vgpr38
	s_and_saveexec_b64 s[20:21], vcc
	s_xor_b64 s[78:79], exec, s[20:21]
	s_cbranch_execz .LBB2_2630
; %bb.2617:                             ;   in Loop: Header=BB2_2448 Depth=2
	v_and_b32_e32 v28, 0x7fffffff, v4
	v_cmp_gt_u64_e32 vcc, s[56:57], v[28:29]
	v_and_b32_sdwa v1, v4, s50 dst_sel:DWORD dst_unused:UNUSED_PAD src0_sel:BYTE_3 src1_sel:DWORD
                                        ; implicit-def: $vgpr38
	s_and_saveexec_b64 s[20:21], vcc
	s_xor_b64 s[88:89], exec, s[20:21]
	s_cbranch_execz .LBB2_2627
; %bb.2618:                             ;   in Loop: Header=BB2_2448 Depth=2
	v_mov_b32_e32 v38, 0
	v_cmp_ne_u32_e32 vcc, 0, v4
	s_and_saveexec_b64 s[90:91], vcc
	s_cbranch_execz .LBB2_2626
; %bb.2619:                             ;   in Loop: Header=BB2_2448 Depth=2
	v_and_b32_e32 v6, 0x7fffff, v4
	v_bfe_u32 v4, v4, 23, 8
	v_cmp_gt_u32_e64 s[20:21], s51, v4
	v_sub_u32_e32 v5, 0x79, v4
	v_cmp_eq_u32_e32 vcc, 0, v4
	v_cndmask_b32_e64 v5, 0, v5, s[20:21]
	v_or_b32_e32 v7, 0x800000, v6
	v_cndmask_b32_e32 v5, v5, v58, vcc
	v_cndmask_b32_e32 v28, v7, v6, vcc
	v_add_u32_e32 v6, 20, v5
	v_lshlrev_b64 v[6:7], v6, -1
	v_add_u32_e32 v8, 19, v5
	v_lshlrev_b64 v[8:9], v8, 1
	v_lshrrev_b64 v[10:11], v5, v[28:29]
	v_bfi_b32 v7, v7, 0, 0
	v_bfi_b32 v6, v6, 0, v28
	v_cmp_eq_u64_e64 s[20:21], v[6:7], v[8:9]
	v_mov_b32_e32 v55, v11
	v_mov_b32_e32 v54, v10
	s_and_saveexec_b64 s[92:93], s[20:21]
; %bb.2620:                             ;   in Loop: Header=BB2_2448 Depth=2
	v_bfe_u32 v6, v10, 20, 1
	v_add_co_u32_e64 v6, s[20:21], v10, v6
	v_add_co_u32_e64 v54, s[20:21], -1, v6
; %bb.2621:                             ;   in Loop: Header=BB2_2448 Depth=2
	s_or_b64 exec, exec, s[92:93]
	v_add_u32_e32 v4, 0xffffff81, v4
	v_cndmask_b32_e32 v4, v4, v59, vcc
	v_lshrrev_b32_e32 v6, 23, v10
	v_add3_u32 v6, v5, v4, v6
	v_add_u32_e32 v5, 6, v6
	v_and_b32_e32 v4, 0xfffff, v54
	v_add_u32_e32 v28, v4, v10
	v_cmp_ne_u32_e32 vcc, 0, v5
                                        ; implicit-def: $vgpr10_vgpr11
                                        ; implicit-def: $vgpr4
	s_and_saveexec_b64 s[20:21], vcc
	s_xor_b64 s[20:21], exec, s[20:21]
; %bb.2622:                             ;   in Loop: Header=BB2_2448 Depth=2
	v_cmp_lt_u64_e32 vcc, s[58:59], v[28:29]
	v_add_u32_e32 v4, 7, v6
	v_cndmask_b32_e32 v4, v5, v4, vcc
	v_cndmask_b32_e64 v5, 0, 1, vcc
	v_lshrrev_b64 v[10:11], v5, v[28:29]
; %bb.2623:                             ;   in Loop: Header=BB2_2448 Depth=2
	s_andn2_saveexec_b64 s[20:21], s[20:21]
; %bb.2624:                             ;   in Loop: Header=BB2_2448 Depth=2
	v_mov_b32_e32 v10, v28
	v_bfe_u32 v4, v28, 23, 1
	v_mov_b32_e32 v11, v29
; %bb.2625:                             ;   in Loop: Header=BB2_2448 Depth=2
	s_or_b64 exec, exec, s[20:21]
	v_lshrrev_b64 v[5:6], 20, v[10:11]
	v_cmp_gt_i32_e32 vcc, 16, v4
	v_cndmask_b32_e32 v6, 0, v6, vcc
	v_cndmask_b32_e32 v5, 7, v5, vcc
	v_cmp_eq_u32_e32 vcc, 0, v4
	v_min_i32_e32 v4, 15, v4
	v_cmp_eq_u64_e64 s[20:21], 0, v[5:6]
	v_lshlrev_b32_e32 v4, 3, v4
	v_and_b32_e32 v4, 0xf8, v4
	v_and_or_b32 v4, v5, 7, v4
	s_and_b64 s[20:21], vcc, s[20:21]
	v_cndmask_b32_e64 v4, v4, 0, s[20:21]
	v_or_b32_e32 v38, v4, v1
.LBB2_2626:                             ;   in Loop: Header=BB2_2448 Depth=2
	s_or_b64 exec, exec, s[90:91]
                                        ; implicit-def: $vgpr1
.LBB2_2627:                             ;   in Loop: Header=BB2_2448 Depth=2
	s_andn2_saveexec_b64 s[20:21], s[88:89]
; %bb.2628:                             ;   in Loop: Header=BB2_2448 Depth=2
	v_or_b32_e32 v38, 0x7e, v1
; %bb.2629:                             ;   in Loop: Header=BB2_2448 Depth=2
	s_or_b64 exec, exec, s[20:21]
                                        ; implicit-def: $vgpr4
.LBB2_2630:                             ;   in Loop: Header=BB2_2448 Depth=2
	s_andn2_saveexec_b64 s[20:21], s[78:79]
; %bb.2631:                             ;   in Loop: Header=BB2_2448 Depth=2
	v_or_b32_sdwa v38, v4, s39 dst_sel:DWORD dst_unused:UNUSED_PAD src0_sel:BYTE_3 src1_sel:DWORD
; %bb.2632:                             ;   in Loop: Header=BB2_2448 Depth=2
	s_or_b64 exec, exec, s[20:21]
	v_cmp_ne_u16_sdwa s[78:79], v12, v29 src0_sel:BYTE_0 src1_sel:DWORD
	v_mov_b32_e32 v1, 0
	s_and_saveexec_b64 s[20:21], s[78:79]
	s_cbranch_execz .LBB2_2638
; %bb.2633:                             ;   in Loop: Header=BB2_2448 Depth=2
	v_cmp_ne_u16_sdwa s[88:89], v12, s50 src0_sel:BYTE_0 src1_sel:DWORD
	v_bfrev_b32_e32 v1, 1
	s_and_saveexec_b64 s[78:79], s[88:89]
	s_cbranch_execz .LBB2_2637
; %bb.2634:                             ;   in Loop: Header=BB2_2448 Depth=2
	v_and_b32_e32 v4, 0x7f, v12
	v_cmp_ne_u32_e32 vcc, s39, v4
	v_mov_b32_e32 v1, 0x7f800001
	s_and_saveexec_b64 s[88:89], vcc
	s_cbranch_execz .LBB2_2636
; %bb.2635:                             ;   in Loop: Header=BB2_2448 Depth=2
	v_and_b32_e32 v1, 7, v12
	v_ffbh_u32_e32 v1, v1
	v_min_u32_e32 v1, 32, v1
	v_lshrrev_b32_e32 v5, 3, v4
	v_cmp_gt_u32_e32 vcc, 8, v4
	v_subrev_u32_e32 v4, 28, v1
	v_sub_u32_e32 v1, 29, v1
	v_cndmask_b32_e32 v4, 0, v4, vcc
	v_cndmask_b32_e32 v1, v5, v1, vcc
	v_lshlrev_b64 v[4:5], v4, v[12:13]
	v_lshlrev_b32_e32 v5, 24, v12
	v_lshlrev_b32_e32 v4, 20, v4
	v_and_b32_e32 v4, 0x700000, v4
	v_and_b32_e32 v5, 0x80000000, v5
	v_lshl_add_u32 v1, v1, 23, v57
	v_or3_b32 v1, v5, v1, v4
.LBB2_2636:                             ;   in Loop: Header=BB2_2448 Depth=2
	s_or_b64 exec, exec, s[88:89]
.LBB2_2637:                             ;   in Loop: Header=BB2_2448 Depth=2
	s_or_b64 exec, exec, s[78:79]
.LBB2_2638:                             ;   in Loop: Header=BB2_2448 Depth=2
	s_or_b64 exec, exec, s[20:21]
	v_mul_f32_e32 v4, v3, v1
	v_and_b32_e32 v28, 0x7f800000, v4
	v_cmp_ne_u64_e32 vcc, s[46:47], v[28:29]
                                        ; implicit-def: $vgpr15
	s_and_saveexec_b64 s[20:21], vcc
	s_xor_b64 s[78:79], exec, s[20:21]
	s_cbranch_execz .LBB2_2652
; %bb.2639:                             ;   in Loop: Header=BB2_2448 Depth=2
	v_and_b32_e32 v28, 0x7fffffff, v4
	v_cmp_gt_u64_e32 vcc, s[56:57], v[28:29]
	v_and_b32_sdwa v1, v4, s50 dst_sel:DWORD dst_unused:UNUSED_PAD src0_sel:BYTE_3 src1_sel:DWORD
                                        ; implicit-def: $vgpr15
	s_and_saveexec_b64 s[20:21], vcc
	s_xor_b64 s[88:89], exec, s[20:21]
	s_cbranch_execz .LBB2_2649
; %bb.2640:                             ;   in Loop: Header=BB2_2448 Depth=2
	v_mov_b32_e32 v15, 0
	v_cmp_ne_u32_e32 vcc, 0, v4
	s_and_saveexec_b64 s[90:91], vcc
	s_cbranch_execz .LBB2_2648
; %bb.2641:                             ;   in Loop: Header=BB2_2448 Depth=2
	v_and_b32_e32 v6, 0x7fffff, v4
	v_bfe_u32 v4, v4, 23, 8
	v_cmp_gt_u32_e64 s[20:21], s51, v4
	v_sub_u32_e32 v5, 0x79, v4
	v_cmp_eq_u32_e32 vcc, 0, v4
	v_cndmask_b32_e64 v5, 0, v5, s[20:21]
	v_or_b32_e32 v7, 0x800000, v6
	v_cndmask_b32_e32 v5, v5, v58, vcc
	v_cndmask_b32_e32 v28, v7, v6, vcc
	v_add_u32_e32 v6, 20, v5
	v_lshlrev_b64 v[6:7], v6, -1
	v_add_u32_e32 v8, 19, v5
	v_lshlrev_b64 v[8:9], v8, 1
	v_lshrrev_b64 v[10:11], v5, v[28:29]
	v_bfi_b32 v7, v7, 0, 0
	v_bfi_b32 v6, v6, 0, v28
	v_cmp_eq_u64_e64 s[20:21], v[6:7], v[8:9]
	v_mov_b32_e32 v55, v11
	v_mov_b32_e32 v54, v10
	s_and_saveexec_b64 s[92:93], s[20:21]
; %bb.2642:                             ;   in Loop: Header=BB2_2448 Depth=2
	v_bfe_u32 v6, v10, 20, 1
	v_add_co_u32_e64 v6, s[20:21], v10, v6
	v_add_co_u32_e64 v54, s[20:21], -1, v6
; %bb.2643:                             ;   in Loop: Header=BB2_2448 Depth=2
	s_or_b64 exec, exec, s[92:93]
	v_add_u32_e32 v4, 0xffffff81, v4
	v_cndmask_b32_e32 v4, v4, v59, vcc
	v_lshrrev_b32_e32 v6, 23, v10
	v_add3_u32 v6, v5, v4, v6
	v_add_u32_e32 v5, 6, v6
	v_and_b32_e32 v4, 0xfffff, v54
	v_add_u32_e32 v28, v4, v10
	v_cmp_ne_u32_e32 vcc, 0, v5
                                        ; implicit-def: $vgpr10_vgpr11
                                        ; implicit-def: $vgpr4
	s_and_saveexec_b64 s[20:21], vcc
	s_xor_b64 s[20:21], exec, s[20:21]
; %bb.2644:                             ;   in Loop: Header=BB2_2448 Depth=2
	v_cmp_lt_u64_e32 vcc, s[58:59], v[28:29]
	v_add_u32_e32 v4, 7, v6
	v_cndmask_b32_e32 v4, v5, v4, vcc
	v_cndmask_b32_e64 v5, 0, 1, vcc
	v_lshrrev_b64 v[10:11], v5, v[28:29]
; %bb.2645:                             ;   in Loop: Header=BB2_2448 Depth=2
	s_andn2_saveexec_b64 s[20:21], s[20:21]
; %bb.2646:                             ;   in Loop: Header=BB2_2448 Depth=2
	v_mov_b32_e32 v10, v28
	v_bfe_u32 v4, v28, 23, 1
	v_mov_b32_e32 v11, v29
; %bb.2647:                             ;   in Loop: Header=BB2_2448 Depth=2
	s_or_b64 exec, exec, s[20:21]
	v_lshrrev_b64 v[5:6], 20, v[10:11]
	v_cmp_gt_i32_e32 vcc, 16, v4
	v_cndmask_b32_e32 v6, 0, v6, vcc
	v_cndmask_b32_e32 v5, 7, v5, vcc
	v_cmp_eq_u32_e32 vcc, 0, v4
	v_min_i32_e32 v4, 15, v4
	v_cmp_eq_u64_e64 s[20:21], 0, v[5:6]
	v_lshlrev_b32_e32 v4, 3, v4
	v_and_b32_e32 v4, 0xf8, v4
	v_and_or_b32 v4, v5, 7, v4
	s_and_b64 s[20:21], vcc, s[20:21]
	v_cndmask_b32_e64 v4, v4, 0, s[20:21]
	v_or_b32_e32 v15, v4, v1
.LBB2_2648:                             ;   in Loop: Header=BB2_2448 Depth=2
	s_or_b64 exec, exec, s[90:91]
                                        ; implicit-def: $vgpr1
.LBB2_2649:                             ;   in Loop: Header=BB2_2448 Depth=2
	s_andn2_saveexec_b64 s[20:21], s[88:89]
; %bb.2650:                             ;   in Loop: Header=BB2_2448 Depth=2
	v_or_b32_e32 v15, 0x7e, v1
; %bb.2651:                             ;   in Loop: Header=BB2_2448 Depth=2
	s_or_b64 exec, exec, s[20:21]
                                        ; implicit-def: $vgpr4
.LBB2_2652:                             ;   in Loop: Header=BB2_2448 Depth=2
	s_andn2_saveexec_b64 s[20:21], s[78:79]
; %bb.2653:                             ;   in Loop: Header=BB2_2448 Depth=2
	v_or_b32_sdwa v15, v4, s39 dst_sel:DWORD dst_unused:UNUSED_PAD src0_sel:BYTE_3 src1_sel:DWORD
; %bb.2654:                             ;   in Loop: Header=BB2_2448 Depth=2
	s_or_b64 exec, exec, s[20:21]
	v_lshrrev_b16_e32 v10, 8, v12
	v_cmp_ne_u16_e32 vcc, 0, v10
	v_mov_b32_e32 v1, 0
	s_and_saveexec_b64 s[20:21], vcc
	s_cbranch_execz .LBB2_2660
; %bb.2655:                             ;   in Loop: Header=BB2_2448 Depth=2
	v_cmp_ne_u16_e32 vcc, s50, v10
	v_bfrev_b32_e32 v1, 1
	s_and_saveexec_b64 s[78:79], vcc
	s_cbranch_execz .LBB2_2659
; %bb.2656:                             ;   in Loop: Header=BB2_2448 Depth=2
	v_and_b32_e32 v4, 0x7f, v10
	v_cmp_ne_u32_e32 vcc, s39, v4
	v_mov_b32_e32 v1, 0x7f800001
	s_and_saveexec_b64 s[88:89], vcc
	s_cbranch_execz .LBB2_2658
; %bb.2657:                             ;   in Loop: Header=BB2_2448 Depth=2
	v_and_b32_e32 v1, 7, v10
	v_lshrrev_b32_e32 v6, 3, v4
	v_cmp_gt_u32_e32 vcc, 8, v4
	v_ffbh_u32_e32 v4, v1
	v_min_u32_e32 v7, 32, v4
	v_subrev_u32_e32 v4, 28, v7
	v_lshlrev_b64 v[4:5], v4, v[10:11]
	v_sub_u32_e32 v5, 29, v7
	v_and_b32_e32 v4, 7, v4
	v_cndmask_b32_e32 v5, v6, v5, vcc
	v_cndmask_b32_e32 v1, v1, v4, vcc
	v_lshlrev_b32_e32 v4, 16, v12
	v_lshlrev_b32_e32 v1, 20, v1
	v_and_b32_e32 v4, 0x80000000, v4
	v_lshl_add_u32 v5, v5, 23, v57
	v_or3_b32 v1, v4, v5, v1
.LBB2_2658:                             ;   in Loop: Header=BB2_2448 Depth=2
	s_or_b64 exec, exec, s[88:89]
.LBB2_2659:                             ;   in Loop: Header=BB2_2448 Depth=2
	s_or_b64 exec, exec, s[78:79]
.LBB2_2660:                             ;   in Loop: Header=BB2_2448 Depth=2
	s_or_b64 exec, exec, s[20:21]
	v_mul_f32_e32 v4, v3, v1
	v_and_b32_e32 v28, 0x7f800000, v4
	v_cmp_ne_u64_e32 vcc, s[46:47], v[28:29]
                                        ; implicit-def: $vgpr31
	s_and_saveexec_b64 s[20:21], vcc
	s_xor_b64 s[78:79], exec, s[20:21]
	s_cbranch_execz .LBB2_2674
; %bb.2661:                             ;   in Loop: Header=BB2_2448 Depth=2
	v_and_b32_e32 v28, 0x7fffffff, v4
	v_cmp_gt_u64_e32 vcc, s[56:57], v[28:29]
	v_and_b32_sdwa v1, v4, s50 dst_sel:DWORD dst_unused:UNUSED_PAD src0_sel:BYTE_3 src1_sel:DWORD
                                        ; implicit-def: $vgpr31
	s_and_saveexec_b64 s[20:21], vcc
	s_xor_b64 s[88:89], exec, s[20:21]
	s_cbranch_execz .LBB2_2671
; %bb.2662:                             ;   in Loop: Header=BB2_2448 Depth=2
	v_mov_b32_e32 v31, 0
	v_cmp_ne_u32_e32 vcc, 0, v4
	s_and_saveexec_b64 s[90:91], vcc
	s_cbranch_execz .LBB2_2670
; %bb.2663:                             ;   in Loop: Header=BB2_2448 Depth=2
	v_and_b32_e32 v6, 0x7fffff, v4
	v_bfe_u32 v4, v4, 23, 8
	v_cmp_gt_u32_e64 s[20:21], s51, v4
	v_sub_u32_e32 v5, 0x79, v4
	v_cmp_eq_u32_e32 vcc, 0, v4
	v_cndmask_b32_e64 v5, 0, v5, s[20:21]
	v_or_b32_e32 v7, 0x800000, v6
	v_cndmask_b32_e32 v5, v5, v58, vcc
	v_cndmask_b32_e32 v28, v7, v6, vcc
	v_add_u32_e32 v6, 20, v5
	v_lshlrev_b64 v[6:7], v6, -1
	v_add_u32_e32 v8, 19, v5
	v_lshlrev_b64 v[8:9], v8, 1
	v_lshrrev_b64 v[10:11], v5, v[28:29]
	v_bfi_b32 v7, v7, 0, 0
	v_bfi_b32 v6, v6, 0, v28
	v_cmp_eq_u64_e64 s[20:21], v[6:7], v[8:9]
	v_mov_b32_e32 v55, v11
	v_mov_b32_e32 v54, v10
	s_and_saveexec_b64 s[92:93], s[20:21]
; %bb.2664:                             ;   in Loop: Header=BB2_2448 Depth=2
	v_bfe_u32 v6, v10, 20, 1
	v_add_co_u32_e64 v6, s[20:21], v10, v6
	v_add_co_u32_e64 v54, s[20:21], -1, v6
; %bb.2665:                             ;   in Loop: Header=BB2_2448 Depth=2
	s_or_b64 exec, exec, s[92:93]
	v_add_u32_e32 v4, 0xffffff81, v4
	v_cndmask_b32_e32 v4, v4, v59, vcc
	v_lshrrev_b32_e32 v6, 23, v10
	v_add3_u32 v6, v5, v4, v6
	v_add_u32_e32 v5, 6, v6
	v_and_b32_e32 v4, 0xfffff, v54
	v_add_u32_e32 v28, v4, v10
	v_cmp_ne_u32_e32 vcc, 0, v5
                                        ; implicit-def: $vgpr10_vgpr11
                                        ; implicit-def: $vgpr4
	s_and_saveexec_b64 s[20:21], vcc
	s_xor_b64 s[20:21], exec, s[20:21]
; %bb.2666:                             ;   in Loop: Header=BB2_2448 Depth=2
	v_cmp_lt_u64_e32 vcc, s[58:59], v[28:29]
	v_add_u32_e32 v4, 7, v6
	v_cndmask_b32_e32 v4, v5, v4, vcc
	v_cndmask_b32_e64 v5, 0, 1, vcc
	v_lshrrev_b64 v[10:11], v5, v[28:29]
; %bb.2667:                             ;   in Loop: Header=BB2_2448 Depth=2
	s_andn2_saveexec_b64 s[20:21], s[20:21]
; %bb.2668:                             ;   in Loop: Header=BB2_2448 Depth=2
	v_mov_b32_e32 v10, v28
	v_bfe_u32 v4, v28, 23, 1
	v_mov_b32_e32 v11, v29
; %bb.2669:                             ;   in Loop: Header=BB2_2448 Depth=2
	s_or_b64 exec, exec, s[20:21]
	v_lshrrev_b64 v[5:6], 20, v[10:11]
	v_cmp_gt_i32_e32 vcc, 16, v4
	v_cndmask_b32_e32 v6, 0, v6, vcc
	v_cndmask_b32_e32 v5, 7, v5, vcc
	v_cmp_eq_u32_e32 vcc, 0, v4
	v_min_i32_e32 v4, 15, v4
	v_cmp_eq_u64_e64 s[20:21], 0, v[5:6]
	v_lshlrev_b32_e32 v4, 3, v4
	v_and_b32_e32 v4, 0xf8, v4
	v_and_or_b32 v4, v5, 7, v4
	s_and_b64 s[20:21], vcc, s[20:21]
	v_cndmask_b32_e64 v4, v4, 0, s[20:21]
	v_or_b32_e32 v31, v4, v1
.LBB2_2670:                             ;   in Loop: Header=BB2_2448 Depth=2
	s_or_b64 exec, exec, s[90:91]
                                        ; implicit-def: $vgpr1
.LBB2_2671:                             ;   in Loop: Header=BB2_2448 Depth=2
	s_andn2_saveexec_b64 s[20:21], s[88:89]
; %bb.2672:                             ;   in Loop: Header=BB2_2448 Depth=2
	v_or_b32_e32 v31, 0x7e, v1
; %bb.2673:                             ;   in Loop: Header=BB2_2448 Depth=2
	s_or_b64 exec, exec, s[20:21]
                                        ; implicit-def: $vgpr4
.LBB2_2674:                             ;   in Loop: Header=BB2_2448 Depth=2
	s_andn2_saveexec_b64 s[20:21], s[78:79]
; %bb.2675:                             ;   in Loop: Header=BB2_2448 Depth=2
	v_or_b32_sdwa v31, v4, s39 dst_sel:DWORD dst_unused:UNUSED_PAD src0_sel:BYTE_3 src1_sel:DWORD
; %bb.2676:                             ;   in Loop: Header=BB2_2448 Depth=2
	s_or_b64 exec, exec, s[20:21]
	v_lshrrev_b32_e32 v10, 16, v12
	v_cmp_ne_u16_sdwa s[78:79], v10, v29 src0_sel:BYTE_0 src1_sel:DWORD
	v_mov_b32_e32 v1, 0
	s_and_saveexec_b64 s[20:21], s[78:79]
	s_cbranch_execz .LBB2_2682
; %bb.2677:                             ;   in Loop: Header=BB2_2448 Depth=2
	v_cmp_ne_u16_sdwa s[88:89], v10, s50 src0_sel:BYTE_0 src1_sel:DWORD
	v_bfrev_b32_e32 v1, 1
	s_and_saveexec_b64 s[78:79], s[88:89]
	s_cbranch_execz .LBB2_2681
; %bb.2678:                             ;   in Loop: Header=BB2_2448 Depth=2
	v_bfe_u32 v4, v12, 16, 7
	v_cmp_ne_u32_e32 vcc, s39, v4
	v_mov_b32_e32 v1, 0x7f800001
	s_and_saveexec_b64 s[88:89], vcc
	s_cbranch_execz .LBB2_2680
; %bb.2679:                             ;   in Loop: Header=BB2_2448 Depth=2
	v_and_b32_e32 v1, 7, v10
	v_lshrrev_b32_e32 v6, 3, v4
	v_cmp_gt_u32_e32 vcc, 8, v4
	v_ffbh_u32_e32 v4, v1
	v_min_u32_e32 v7, 32, v4
	v_subrev_u32_e32 v4, 28, v7
	v_lshlrev_b64 v[4:5], v4, v[10:11]
	v_sub_u32_e32 v5, 29, v7
	v_and_b32_e32 v4, 7, v4
	v_cndmask_b32_e32 v5, v6, v5, vcc
	v_cndmask_b32_e32 v1, v1, v4, vcc
	v_lshlrev_b32_e32 v4, 24, v10
	v_lshlrev_b32_e32 v1, 20, v1
	v_and_b32_e32 v4, 0x80000000, v4
	v_lshl_add_u32 v5, v5, 23, v57
	v_or3_b32 v1, v4, v5, v1
.LBB2_2680:                             ;   in Loop: Header=BB2_2448 Depth=2
	s_or_b64 exec, exec, s[88:89]
.LBB2_2681:                             ;   in Loop: Header=BB2_2448 Depth=2
	s_or_b64 exec, exec, s[78:79]
.LBB2_2682:                             ;   in Loop: Header=BB2_2448 Depth=2
	s_or_b64 exec, exec, s[20:21]
	v_mul_f32_e32 v4, v3, v1
	v_and_b32_e32 v28, 0x7f800000, v4
	v_cmp_ne_u64_e32 vcc, s[46:47], v[28:29]
                                        ; implicit-def: $vgpr21
	s_and_saveexec_b64 s[20:21], vcc
	s_xor_b64 s[78:79], exec, s[20:21]
	s_cbranch_execz .LBB2_2696
; %bb.2683:                             ;   in Loop: Header=BB2_2448 Depth=2
	v_and_b32_e32 v28, 0x7fffffff, v4
	v_cmp_gt_u64_e32 vcc, s[56:57], v[28:29]
	v_and_b32_sdwa v1, v4, s50 dst_sel:DWORD dst_unused:UNUSED_PAD src0_sel:BYTE_3 src1_sel:DWORD
                                        ; implicit-def: $vgpr21
	s_and_saveexec_b64 s[20:21], vcc
	s_xor_b64 s[88:89], exec, s[20:21]
	s_cbranch_execz .LBB2_2693
; %bb.2684:                             ;   in Loop: Header=BB2_2448 Depth=2
	v_mov_b32_e32 v21, 0
	v_cmp_ne_u32_e32 vcc, 0, v4
	s_and_saveexec_b64 s[90:91], vcc
	s_cbranch_execz .LBB2_2692
; %bb.2685:                             ;   in Loop: Header=BB2_2448 Depth=2
	v_and_b32_e32 v6, 0x7fffff, v4
	v_bfe_u32 v4, v4, 23, 8
	v_cmp_gt_u32_e64 s[20:21], s51, v4
	v_sub_u32_e32 v5, 0x79, v4
	v_cmp_eq_u32_e32 vcc, 0, v4
	v_cndmask_b32_e64 v5, 0, v5, s[20:21]
	v_or_b32_e32 v7, 0x800000, v6
	v_cndmask_b32_e32 v5, v5, v58, vcc
	v_cndmask_b32_e32 v28, v7, v6, vcc
	v_add_u32_e32 v6, 20, v5
	v_lshlrev_b64 v[6:7], v6, -1
	v_add_u32_e32 v8, 19, v5
	v_lshlrev_b64 v[8:9], v8, 1
	v_lshrrev_b64 v[10:11], v5, v[28:29]
	v_bfi_b32 v7, v7, 0, 0
	v_bfi_b32 v6, v6, 0, v28
	v_cmp_eq_u64_e64 s[20:21], v[6:7], v[8:9]
	v_mov_b32_e32 v55, v11
	v_mov_b32_e32 v54, v10
	s_and_saveexec_b64 s[92:93], s[20:21]
; %bb.2686:                             ;   in Loop: Header=BB2_2448 Depth=2
	v_bfe_u32 v6, v10, 20, 1
	v_add_co_u32_e64 v6, s[20:21], v10, v6
	v_add_co_u32_e64 v54, s[20:21], -1, v6
; %bb.2687:                             ;   in Loop: Header=BB2_2448 Depth=2
	s_or_b64 exec, exec, s[92:93]
	v_add_u32_e32 v4, 0xffffff81, v4
	v_cndmask_b32_e32 v4, v4, v59, vcc
	v_lshrrev_b32_e32 v6, 23, v10
	v_add3_u32 v6, v5, v4, v6
	v_add_u32_e32 v5, 6, v6
	v_and_b32_e32 v4, 0xfffff, v54
	v_add_u32_e32 v28, v4, v10
	v_cmp_ne_u32_e32 vcc, 0, v5
                                        ; implicit-def: $vgpr10_vgpr11
                                        ; implicit-def: $vgpr4
	s_and_saveexec_b64 s[20:21], vcc
	s_xor_b64 s[20:21], exec, s[20:21]
; %bb.2688:                             ;   in Loop: Header=BB2_2448 Depth=2
	v_cmp_lt_u64_e32 vcc, s[58:59], v[28:29]
	v_add_u32_e32 v4, 7, v6
	v_cndmask_b32_e32 v4, v5, v4, vcc
	v_cndmask_b32_e64 v5, 0, 1, vcc
	v_lshrrev_b64 v[10:11], v5, v[28:29]
; %bb.2689:                             ;   in Loop: Header=BB2_2448 Depth=2
	s_andn2_saveexec_b64 s[20:21], s[20:21]
; %bb.2690:                             ;   in Loop: Header=BB2_2448 Depth=2
	v_mov_b32_e32 v10, v28
	v_bfe_u32 v4, v28, 23, 1
	v_mov_b32_e32 v11, v29
; %bb.2691:                             ;   in Loop: Header=BB2_2448 Depth=2
	s_or_b64 exec, exec, s[20:21]
	v_lshrrev_b64 v[5:6], 20, v[10:11]
	v_cmp_gt_i32_e32 vcc, 16, v4
	v_cndmask_b32_e32 v6, 0, v6, vcc
	v_cndmask_b32_e32 v5, 7, v5, vcc
	v_cmp_eq_u32_e32 vcc, 0, v4
	v_min_i32_e32 v4, 15, v4
	v_cmp_eq_u64_e64 s[20:21], 0, v[5:6]
	v_lshlrev_b32_e32 v4, 3, v4
	v_and_b32_e32 v4, 0xf8, v4
	v_and_or_b32 v4, v5, 7, v4
	s_and_b64 s[20:21], vcc, s[20:21]
	v_cndmask_b32_e64 v4, v4, 0, s[20:21]
	v_or_b32_e32 v21, v4, v1
.LBB2_2692:                             ;   in Loop: Header=BB2_2448 Depth=2
	s_or_b64 exec, exec, s[90:91]
                                        ; implicit-def: $vgpr1
.LBB2_2693:                             ;   in Loop: Header=BB2_2448 Depth=2
	s_andn2_saveexec_b64 s[20:21], s[88:89]
; %bb.2694:                             ;   in Loop: Header=BB2_2448 Depth=2
	v_or_b32_e32 v21, 0x7e, v1
; %bb.2695:                             ;   in Loop: Header=BB2_2448 Depth=2
	s_or_b64 exec, exec, s[20:21]
                                        ; implicit-def: $vgpr4
.LBB2_2696:                             ;   in Loop: Header=BB2_2448 Depth=2
	s_andn2_saveexec_b64 s[20:21], s[78:79]
; %bb.2697:                             ;   in Loop: Header=BB2_2448 Depth=2
	v_or_b32_sdwa v21, v4, s39 dst_sel:DWORD dst_unused:UNUSED_PAD src0_sel:BYTE_3 src1_sel:DWORD
; %bb.2698:                             ;   in Loop: Header=BB2_2448 Depth=2
	s_or_b64 exec, exec, s[20:21]
	v_cmp_lt_u32_e32 vcc, s61, v12
	v_mov_b32_e32 v1, 0
	s_and_saveexec_b64 s[20:21], vcc
	s_cbranch_execz .LBB2_2704
; %bb.2699:                             ;   in Loop: Header=BB2_2448 Depth=2
	v_lshrrev_b32_e32 v10, 24, v12
	v_cmp_ne_u32_e32 vcc, s50, v10
	v_bfrev_b32_e32 v1, 1
	s_and_saveexec_b64 s[78:79], vcc
	s_cbranch_execz .LBB2_2703
; %bb.2700:                             ;   in Loop: Header=BB2_2448 Depth=2
	v_bfe_u32 v4, v12, 24, 7
	v_cmp_ne_u32_e32 vcc, s39, v4
	v_mov_b32_e32 v1, 0x7f800001
	s_and_saveexec_b64 s[88:89], vcc
	s_cbranch_execz .LBB2_2702
; %bb.2701:                             ;   in Loop: Header=BB2_2448 Depth=2
	v_and_b32_e32 v1, 7, v10
	v_lshrrev_b32_e32 v6, 3, v4
	v_cmp_gt_u32_e32 vcc, 8, v4
	v_ffbh_u32_e32 v4, v1
	v_min_u32_e32 v7, 32, v4
	v_subrev_u32_e32 v4, 28, v7
	v_lshlrev_b64 v[4:5], v4, v[10:11]
	v_sub_u32_e32 v5, 29, v7
	v_and_b32_e32 v4, 7, v4
	v_cndmask_b32_e32 v5, v6, v5, vcc
	v_cndmask_b32_e32 v1, v1, v4, vcc
	v_lshlrev_b32_e32 v4, 24, v10
	v_lshlrev_b32_e32 v1, 20, v1
	v_and_b32_e32 v4, 0x80000000, v4
	v_lshl_add_u32 v5, v5, 23, v57
	v_or3_b32 v1, v4, v5, v1
.LBB2_2702:                             ;   in Loop: Header=BB2_2448 Depth=2
	s_or_b64 exec, exec, s[88:89]
.LBB2_2703:                             ;   in Loop: Header=BB2_2448 Depth=2
	s_or_b64 exec, exec, s[78:79]
.LBB2_2704:                             ;   in Loop: Header=BB2_2448 Depth=2
	s_or_b64 exec, exec, s[20:21]
	v_mul_f32_e32 v4, v3, v1
	v_and_b32_e32 v28, 0x7f800000, v4
	v_cmp_ne_u64_e32 vcc, s[46:47], v[28:29]
                                        ; implicit-def: $vgpr44
	s_and_saveexec_b64 s[20:21], vcc
	s_xor_b64 s[78:79], exec, s[20:21]
	s_cbranch_execz .LBB2_2718
; %bb.2705:                             ;   in Loop: Header=BB2_2448 Depth=2
	v_and_b32_e32 v28, 0x7fffffff, v4
	v_cmp_gt_u64_e32 vcc, s[56:57], v[28:29]
	v_and_b32_sdwa v1, v4, s50 dst_sel:DWORD dst_unused:UNUSED_PAD src0_sel:BYTE_3 src1_sel:DWORD
                                        ; implicit-def: $vgpr44
	s_and_saveexec_b64 s[20:21], vcc
	s_xor_b64 s[88:89], exec, s[20:21]
	s_cbranch_execz .LBB2_2715
; %bb.2706:                             ;   in Loop: Header=BB2_2448 Depth=2
	v_mov_b32_e32 v44, 0
	v_cmp_ne_u32_e32 vcc, 0, v4
	s_and_saveexec_b64 s[90:91], vcc
	s_cbranch_execz .LBB2_2714
; %bb.2707:                             ;   in Loop: Header=BB2_2448 Depth=2
	v_and_b32_e32 v6, 0x7fffff, v4
	v_bfe_u32 v4, v4, 23, 8
	v_cmp_gt_u32_e64 s[20:21], s51, v4
	v_sub_u32_e32 v5, 0x79, v4
	v_cmp_eq_u32_e32 vcc, 0, v4
	v_cndmask_b32_e64 v5, 0, v5, s[20:21]
	v_or_b32_e32 v7, 0x800000, v6
	v_cndmask_b32_e32 v5, v5, v58, vcc
	v_cndmask_b32_e32 v28, v7, v6, vcc
	v_add_u32_e32 v6, 20, v5
	v_lshlrev_b64 v[6:7], v6, -1
	v_add_u32_e32 v8, 19, v5
	v_lshlrev_b64 v[8:9], v8, 1
	v_lshrrev_b64 v[10:11], v5, v[28:29]
	v_bfi_b32 v7, v7, 0, 0
	v_bfi_b32 v6, v6, 0, v28
	v_cmp_eq_u64_e64 s[20:21], v[6:7], v[8:9]
	v_mov_b32_e32 v55, v11
	v_mov_b32_e32 v54, v10
	s_and_saveexec_b64 s[92:93], s[20:21]
; %bb.2708:                             ;   in Loop: Header=BB2_2448 Depth=2
	v_bfe_u32 v6, v10, 20, 1
	v_add_co_u32_e64 v6, s[20:21], v10, v6
	v_add_co_u32_e64 v54, s[20:21], -1, v6
; %bb.2709:                             ;   in Loop: Header=BB2_2448 Depth=2
	s_or_b64 exec, exec, s[92:93]
	v_add_u32_e32 v4, 0xffffff81, v4
	v_cndmask_b32_e32 v4, v4, v59, vcc
	v_lshrrev_b32_e32 v6, 23, v10
	v_add3_u32 v6, v5, v4, v6
	v_add_u32_e32 v5, 6, v6
	v_and_b32_e32 v4, 0xfffff, v54
	v_add_u32_e32 v28, v4, v10
	v_cmp_ne_u32_e32 vcc, 0, v5
                                        ; implicit-def: $vgpr10_vgpr11
                                        ; implicit-def: $vgpr4
	s_and_saveexec_b64 s[20:21], vcc
	s_xor_b64 s[20:21], exec, s[20:21]
; %bb.2710:                             ;   in Loop: Header=BB2_2448 Depth=2
	v_cmp_lt_u64_e32 vcc, s[58:59], v[28:29]
	v_add_u32_e32 v4, 7, v6
	v_cndmask_b32_e32 v4, v5, v4, vcc
	v_cndmask_b32_e64 v5, 0, 1, vcc
	v_lshrrev_b64 v[10:11], v5, v[28:29]
; %bb.2711:                             ;   in Loop: Header=BB2_2448 Depth=2
	s_andn2_saveexec_b64 s[20:21], s[20:21]
; %bb.2712:                             ;   in Loop: Header=BB2_2448 Depth=2
	v_mov_b32_e32 v10, v28
	v_bfe_u32 v4, v28, 23, 1
	v_mov_b32_e32 v11, v29
; %bb.2713:                             ;   in Loop: Header=BB2_2448 Depth=2
	s_or_b64 exec, exec, s[20:21]
	v_lshrrev_b64 v[5:6], 20, v[10:11]
	v_cmp_gt_i32_e32 vcc, 16, v4
	v_cndmask_b32_e32 v6, 0, v6, vcc
	v_cndmask_b32_e32 v5, 7, v5, vcc
	v_cmp_eq_u32_e32 vcc, 0, v4
	v_min_i32_e32 v4, 15, v4
	v_cmp_eq_u64_e64 s[20:21], 0, v[5:6]
	v_lshlrev_b32_e32 v4, 3, v4
	v_and_b32_e32 v4, 0xf8, v4
	v_and_or_b32 v4, v5, 7, v4
	s_and_b64 s[20:21], vcc, s[20:21]
	v_cndmask_b32_e64 v4, v4, 0, s[20:21]
	v_or_b32_e32 v44, v4, v1
.LBB2_2714:                             ;   in Loop: Header=BB2_2448 Depth=2
	s_or_b64 exec, exec, s[90:91]
                                        ; implicit-def: $vgpr1
.LBB2_2715:                             ;   in Loop: Header=BB2_2448 Depth=2
	s_andn2_saveexec_b64 s[20:21], s[88:89]
; %bb.2716:                             ;   in Loop: Header=BB2_2448 Depth=2
	v_or_b32_e32 v44, 0x7e, v1
; %bb.2717:                             ;   in Loop: Header=BB2_2448 Depth=2
	s_or_b64 exec, exec, s[20:21]
                                        ; implicit-def: $vgpr4
.LBB2_2718:                             ;   in Loop: Header=BB2_2448 Depth=2
	s_andn2_saveexec_b64 s[20:21], s[78:79]
; %bb.2719:                             ;   in Loop: Header=BB2_2448 Depth=2
	v_or_b32_sdwa v44, v4, s39 dst_sel:DWORD dst_unused:UNUSED_PAD src0_sel:BYTE_3 src1_sel:DWORD
; %bb.2720:                             ;   in Loop: Header=BB2_2448 Depth=2
	s_or_b64 exec, exec, s[20:21]
	v_mov_b32_e32 v28, v13
	v_cmp_ne_u16_sdwa s[78:79], v13, v29 src0_sel:BYTE_0 src1_sel:DWORD
	v_mov_b32_e32 v1, 0
	s_and_saveexec_b64 s[20:21], s[78:79]
	s_cbranch_execz .LBB2_2726
; %bb.2721:                             ;   in Loop: Header=BB2_2448 Depth=2
	v_cmp_ne_u16_sdwa s[88:89], v13, s50 src0_sel:BYTE_0 src1_sel:DWORD
	v_bfrev_b32_e32 v1, 1
	s_and_saveexec_b64 s[78:79], s[88:89]
	s_cbranch_execz .LBB2_2725
; %bb.2722:                             ;   in Loop: Header=BB2_2448 Depth=2
	v_and_b32_e32 v4, 0x7f, v13
	v_cmp_ne_u32_e32 vcc, s39, v4
	v_mov_b32_e32 v1, 0x7f800001
	s_and_saveexec_b64 s[88:89], vcc
	s_cbranch_execz .LBB2_2724
; %bb.2723:                             ;   in Loop: Header=BB2_2448 Depth=2
	v_and_b32_e32 v1, 7, v13
	v_ffbh_u32_e32 v1, v1
	v_min_u32_e32 v1, 32, v1
	v_lshrrev_b32_e32 v5, 3, v4
	v_cmp_gt_u32_e32 vcc, 8, v4
	v_subrev_u32_e32 v4, 28, v1
	v_sub_u32_e32 v1, 29, v1
	v_cndmask_b32_e32 v4, 0, v4, vcc
	v_cndmask_b32_e32 v1, v5, v1, vcc
	v_lshlrev_b64 v[4:5], v4, v[28:29]
	v_lshlrev_b32_e32 v5, 24, v28
	v_lshlrev_b32_e32 v4, 20, v4
	v_and_b32_e32 v4, 0x700000, v4
	v_and_b32_e32 v5, 0x80000000, v5
	v_lshl_add_u32 v1, v1, 23, v57
	v_or3_b32 v1, v5, v1, v4
.LBB2_2724:                             ;   in Loop: Header=BB2_2448 Depth=2
	s_or_b64 exec, exec, s[88:89]
.LBB2_2725:                             ;   in Loop: Header=BB2_2448 Depth=2
	s_or_b64 exec, exec, s[78:79]
.LBB2_2726:                             ;   in Loop: Header=BB2_2448 Depth=2
	s_or_b64 exec, exec, s[20:21]
	v_mul_f32_e32 v5, v3, v1
	v_and_b32_e32 v6, 0x7f800000, v5
	v_mov_b32_e32 v7, v29
	v_cmp_ne_u64_e32 vcc, s[46:47], v[6:7]
                                        ; implicit-def: $vgpr1
	s_and_saveexec_b64 s[20:21], vcc
	s_xor_b64 s[78:79], exec, s[20:21]
	s_cbranch_execz .LBB2_2740
; %bb.2727:                             ;   in Loop: Header=BB2_2448 Depth=2
	v_and_b32_e32 v6, 0x7fffffff, v5
	v_mov_b32_e32 v7, v29
	v_cmp_gt_u64_e32 vcc, s[56:57], v[6:7]
	v_and_b32_sdwa v4, v5, s50 dst_sel:DWORD dst_unused:UNUSED_PAD src0_sel:BYTE_3 src1_sel:DWORD
                                        ; implicit-def: $vgpr1
	s_and_saveexec_b64 s[20:21], vcc
	s_xor_b64 s[88:89], exec, s[20:21]
	s_cbranch_execz .LBB2_2737
; %bb.2728:                             ;   in Loop: Header=BB2_2448 Depth=2
	v_mov_b32_e32 v1, 0
	v_cmp_ne_u32_e32 vcc, 0, v5
	s_and_saveexec_b64 s[90:91], vcc
	s_cbranch_execz .LBB2_2736
; %bb.2729:                             ;   in Loop: Header=BB2_2448 Depth=2
	v_bfe_u32 v1, v5, 23, 8
	v_and_b32_e32 v6, 0x7fffff, v5
	v_cmp_gt_u32_e64 s[20:21], s51, v1
	v_sub_u32_e32 v5, 0x79, v1
	v_cmp_eq_u32_e32 vcc, 0, v1
	v_cndmask_b32_e64 v5, 0, v5, s[20:21]
	v_cndmask_b32_e32 v5, v5, v58, vcc
	v_add_u32_e32 v8, 20, v5
	v_or_b32_e32 v7, 0x800000, v6
	v_lshlrev_b64 v[8:9], v8, -1
	v_add_u32_e32 v10, 19, v5
	v_cndmask_b32_e32 v6, v7, v6, vcc
	v_lshlrev_b64 v[10:11], v10, 1
	v_mov_b32_e32 v7, v29
	v_bfi_b32 v9, v9, 0, 0
	v_bfi_b32 v8, v8, 0, v6
	v_cmp_eq_u64_e64 s[20:21], v[8:9], v[10:11]
	v_lshrrev_b64 v[10:11], v5, v[6:7]
	v_mov_b32_e32 v55, v11
	v_mov_b32_e32 v54, v10
	s_and_saveexec_b64 s[92:93], s[20:21]
; %bb.2730:                             ;   in Loop: Header=BB2_2448 Depth=2
	v_bfe_u32 v6, v10, 20, 1
	v_add_co_u32_e64 v6, s[20:21], v10, v6
	v_add_co_u32_e64 v54, s[20:21], -1, v6
; %bb.2731:                             ;   in Loop: Header=BB2_2448 Depth=2
	s_or_b64 exec, exec, s[92:93]
	v_add_u32_e32 v1, 0xffffff81, v1
	v_cndmask_b32_e32 v1, v1, v59, vcc
	v_lshrrev_b32_e32 v6, 23, v10
	v_add3_u32 v6, v5, v1, v6
	v_add_u32_e32 v5, 6, v6
	v_and_b32_e32 v1, 0xfffff, v54
	v_add_u32_e32 v10, v1, v10
	v_mov_b32_e32 v11, v29
	v_cmp_ne_u32_e32 vcc, 0, v5
                                        ; implicit-def: $vgpr1
	s_and_saveexec_b64 s[20:21], vcc
	s_xor_b64 s[20:21], exec, s[20:21]
; %bb.2732:                             ;   in Loop: Header=BB2_2448 Depth=2
	v_cmp_lt_u64_e32 vcc, s[58:59], v[10:11]
	v_add_u32_e32 v1, 7, v6
	v_cndmask_b32_e32 v1, v5, v1, vcc
	v_cndmask_b32_e64 v5, 0, 1, vcc
	v_lshrrev_b64 v[10:11], v5, v[10:11]
; %bb.2733:                             ;   in Loop: Header=BB2_2448 Depth=2
	s_andn2_saveexec_b64 s[20:21], s[20:21]
; %bb.2734:                             ;   in Loop: Header=BB2_2448 Depth=2
	v_bfe_u32 v1, v10, 23, 1
; %bb.2735:                             ;   in Loop: Header=BB2_2448 Depth=2
	s_or_b64 exec, exec, s[20:21]
	v_lshrrev_b64 v[5:6], 20, v[10:11]
	v_cmp_gt_i32_e32 vcc, 16, v1
	v_cndmask_b32_e32 v6, 0, v6, vcc
	v_cndmask_b32_e32 v5, 7, v5, vcc
	v_cmp_eq_u32_e32 vcc, 0, v1
	v_min_i32_e32 v1, 15, v1
	v_cmp_eq_u64_e64 s[20:21], 0, v[5:6]
	v_lshlrev_b32_e32 v1, 3, v1
	v_and_b32_e32 v1, 0xf8, v1
	v_and_or_b32 v1, v5, 7, v1
	s_and_b64 s[20:21], vcc, s[20:21]
	v_cndmask_b32_e64 v1, v1, 0, s[20:21]
	v_or_b32_e32 v1, v1, v4
.LBB2_2736:                             ;   in Loop: Header=BB2_2448 Depth=2
	s_or_b64 exec, exec, s[90:91]
                                        ; implicit-def: $vgpr4
.LBB2_2737:                             ;   in Loop: Header=BB2_2448 Depth=2
	s_andn2_saveexec_b64 s[20:21], s[88:89]
; %bb.2738:                             ;   in Loop: Header=BB2_2448 Depth=2
	v_or_b32_e32 v1, 0x7e, v4
; %bb.2739:                             ;   in Loop: Header=BB2_2448 Depth=2
	s_or_b64 exec, exec, s[20:21]
                                        ; implicit-def: $vgpr5
.LBB2_2740:                             ;   in Loop: Header=BB2_2448 Depth=2
	s_andn2_saveexec_b64 s[20:21], s[78:79]
; %bb.2741:                             ;   in Loop: Header=BB2_2448 Depth=2
	v_or_b32_sdwa v1, v5, s39 dst_sel:DWORD dst_unused:UNUSED_PAD src0_sel:BYTE_3 src1_sel:DWORD
; %bb.2742:                             ;   in Loop: Header=BB2_2448 Depth=2
	s_or_b64 exec, exec, s[20:21]
	v_lshrrev_b16_e32 v10, 8, v28
	v_cmp_ne_u16_e32 vcc, 0, v10
	v_mov_b32_e32 v4, 0
	s_and_saveexec_b64 s[20:21], vcc
	s_cbranch_execz .LBB2_2748
; %bb.2743:                             ;   in Loop: Header=BB2_2448 Depth=2
	v_cmp_ne_u16_e32 vcc, s50, v10
	v_bfrev_b32_e32 v4, 1
	s_and_saveexec_b64 s[78:79], vcc
	s_cbranch_execz .LBB2_2747
; %bb.2744:                             ;   in Loop: Header=BB2_2448 Depth=2
	v_and_b32_e32 v5, 0x7f, v10
	v_cmp_ne_u32_e32 vcc, s39, v5
	v_mov_b32_e32 v4, 0x7f800001
	s_and_saveexec_b64 s[88:89], vcc
	s_cbranch_execz .LBB2_2746
; %bb.2745:                             ;   in Loop: Header=BB2_2448 Depth=2
	v_and_b32_e32 v6, 7, v10
	v_ffbh_u32_e32 v4, v6
	v_min_u32_e32 v8, 32, v4
	v_subrev_u32_e32 v4, 28, v8
	v_lshrrev_b32_e32 v7, 3, v5
	v_cmp_gt_u32_e32 vcc, 8, v5
	v_lshlrev_b64 v[4:5], v4, v[10:11]
	v_sub_u32_e32 v5, 29, v8
	v_and_b32_e32 v4, 7, v4
	v_cndmask_b32_e32 v5, v7, v5, vcc
	v_cndmask_b32_e32 v4, v6, v4, vcc
	v_lshlrev_b32_e32 v6, 16, v28
	v_lshlrev_b32_e32 v4, 20, v4
	v_and_b32_e32 v6, 0x80000000, v6
	v_lshl_add_u32 v5, v5, 23, v57
	v_or3_b32 v4, v6, v5, v4
.LBB2_2746:                             ;   in Loop: Header=BB2_2448 Depth=2
	s_or_b64 exec, exec, s[88:89]
.LBB2_2747:                             ;   in Loop: Header=BB2_2448 Depth=2
	s_or_b64 exec, exec, s[78:79]
.LBB2_2748:                             ;   in Loop: Header=BB2_2448 Depth=2
	s_or_b64 exec, exec, s[20:21]
	v_mul_f32_e32 v5, v3, v4
	v_and_b32_e32 v28, 0x7f800000, v5
	v_cmp_ne_u64_e32 vcc, s[46:47], v[28:29]
                                        ; implicit-def: $vgpr47
	s_and_saveexec_b64 s[20:21], vcc
	s_xor_b64 s[78:79], exec, s[20:21]
	s_cbranch_execz .LBB2_2762
; %bb.2749:                             ;   in Loop: Header=BB2_2448 Depth=2
	v_and_b32_e32 v28, 0x7fffffff, v5
	v_cmp_gt_u64_e32 vcc, s[56:57], v[28:29]
	v_and_b32_sdwa v4, v5, s50 dst_sel:DWORD dst_unused:UNUSED_PAD src0_sel:BYTE_3 src1_sel:DWORD
                                        ; implicit-def: $vgpr47
	s_and_saveexec_b64 s[20:21], vcc
	s_xor_b64 s[88:89], exec, s[20:21]
	s_cbranch_execz .LBB2_2759
; %bb.2750:                             ;   in Loop: Header=BB2_2448 Depth=2
	v_mov_b32_e32 v47, 0
	v_cmp_ne_u32_e32 vcc, 0, v5
	s_and_saveexec_b64 s[90:91], vcc
	s_cbranch_execz .LBB2_2758
; %bb.2751:                             ;   in Loop: Header=BB2_2448 Depth=2
	v_and_b32_e32 v7, 0x7fffff, v5
	v_bfe_u32 v5, v5, 23, 8
	v_cmp_gt_u32_e64 s[20:21], s51, v5
	v_sub_u32_e32 v6, 0x79, v5
	v_cmp_eq_u32_e32 vcc, 0, v5
	v_cndmask_b32_e64 v6, 0, v6, s[20:21]
	v_or_b32_e32 v8, 0x800000, v7
	v_cndmask_b32_e32 v6, v6, v58, vcc
	v_cndmask_b32_e32 v28, v8, v7, vcc
	v_add_u32_e32 v7, 20, v6
	v_lshlrev_b64 v[7:8], v7, -1
	v_add_u32_e32 v9, 19, v6
	v_lshlrev_b64 v[9:10], v9, 1
	v_bfi_b32 v8, v8, 0, 0
	v_bfi_b32 v7, v7, 0, v28
	v_cmp_eq_u64_e64 s[20:21], v[7:8], v[9:10]
	v_lshrrev_b64 v[10:11], v6, v[28:29]
	v_mov_b32_e32 v55, v11
	v_mov_b32_e32 v54, v10
	s_and_saveexec_b64 s[92:93], s[20:21]
; %bb.2752:                             ;   in Loop: Header=BB2_2448 Depth=2
	v_bfe_u32 v7, v10, 20, 1
	v_add_co_u32_e64 v7, s[20:21], v10, v7
	v_add_co_u32_e64 v54, s[20:21], -1, v7
; %bb.2753:                             ;   in Loop: Header=BB2_2448 Depth=2
	s_or_b64 exec, exec, s[92:93]
	v_add_u32_e32 v5, 0xffffff81, v5
	v_cndmask_b32_e32 v5, v5, v59, vcc
	v_lshrrev_b32_e32 v7, 23, v10
	v_add3_u32 v7, v6, v5, v7
	v_add_u32_e32 v6, 6, v7
	v_and_b32_e32 v5, 0xfffff, v54
	v_add_u32_e32 v28, v5, v10
	v_cmp_ne_u32_e32 vcc, 0, v6
                                        ; implicit-def: $vgpr10_vgpr11
                                        ; implicit-def: $vgpr5
	s_and_saveexec_b64 s[20:21], vcc
	s_xor_b64 s[20:21], exec, s[20:21]
; %bb.2754:                             ;   in Loop: Header=BB2_2448 Depth=2
	v_cmp_lt_u64_e32 vcc, s[58:59], v[28:29]
	v_add_u32_e32 v5, 7, v7
	v_cndmask_b32_e32 v5, v6, v5, vcc
	v_cndmask_b32_e64 v6, 0, 1, vcc
	v_lshrrev_b64 v[10:11], v6, v[28:29]
; %bb.2755:                             ;   in Loop: Header=BB2_2448 Depth=2
	s_andn2_saveexec_b64 s[20:21], s[20:21]
; %bb.2756:                             ;   in Loop: Header=BB2_2448 Depth=2
	v_mov_b32_e32 v10, v28
	v_bfe_u32 v5, v28, 23, 1
	v_mov_b32_e32 v11, v29
; %bb.2757:                             ;   in Loop: Header=BB2_2448 Depth=2
	s_or_b64 exec, exec, s[20:21]
	v_lshrrev_b64 v[6:7], 20, v[10:11]
	v_cmp_gt_i32_e32 vcc, 16, v5
	v_cndmask_b32_e32 v7, 0, v7, vcc
	v_cndmask_b32_e32 v6, 7, v6, vcc
	v_cmp_eq_u32_e32 vcc, 0, v5
	v_min_i32_e32 v5, 15, v5
	v_cmp_eq_u64_e64 s[20:21], 0, v[6:7]
	v_lshlrev_b32_e32 v5, 3, v5
	v_and_b32_e32 v5, 0xf8, v5
	v_and_or_b32 v5, v6, 7, v5
	s_and_b64 s[20:21], vcc, s[20:21]
	v_cndmask_b32_e64 v5, v5, 0, s[20:21]
	v_or_b32_e32 v47, v5, v4
.LBB2_2758:                             ;   in Loop: Header=BB2_2448 Depth=2
	s_or_b64 exec, exec, s[90:91]
                                        ; implicit-def: $vgpr4
.LBB2_2759:                             ;   in Loop: Header=BB2_2448 Depth=2
	s_andn2_saveexec_b64 s[20:21], s[88:89]
; %bb.2760:                             ;   in Loop: Header=BB2_2448 Depth=2
	v_or_b32_e32 v47, 0x7e, v4
; %bb.2761:                             ;   in Loop: Header=BB2_2448 Depth=2
	s_or_b64 exec, exec, s[20:21]
                                        ; implicit-def: $vgpr5
.LBB2_2762:                             ;   in Loop: Header=BB2_2448 Depth=2
	s_andn2_saveexec_b64 s[20:21], s[78:79]
; %bb.2763:                             ;   in Loop: Header=BB2_2448 Depth=2
	v_or_b32_sdwa v47, v5, s39 dst_sel:DWORD dst_unused:UNUSED_PAD src0_sel:BYTE_3 src1_sel:DWORD
; %bb.2764:                             ;   in Loop: Header=BB2_2448 Depth=2
	s_or_b64 exec, exec, s[20:21]
	v_lshrrev_b32_e32 v10, 16, v13
	v_cmp_ne_u16_sdwa s[78:79], v10, v29 src0_sel:BYTE_0 src1_sel:DWORD
	v_mov_b32_e32 v4, 0
	s_and_saveexec_b64 s[20:21], s[78:79]
	s_cbranch_execz .LBB2_2770
; %bb.2765:                             ;   in Loop: Header=BB2_2448 Depth=2
	v_cmp_ne_u16_sdwa s[88:89], v10, s50 src0_sel:BYTE_0 src1_sel:DWORD
	v_bfrev_b32_e32 v4, 1
	s_and_saveexec_b64 s[78:79], s[88:89]
	s_cbranch_execz .LBB2_2769
; %bb.2766:                             ;   in Loop: Header=BB2_2448 Depth=2
	v_bfe_u32 v5, v13, 16, 7
	v_cmp_ne_u32_e32 vcc, s39, v5
	v_mov_b32_e32 v4, 0x7f800001
	s_and_saveexec_b64 s[88:89], vcc
	s_cbranch_execz .LBB2_2768
; %bb.2767:                             ;   in Loop: Header=BB2_2448 Depth=2
	v_and_b32_e32 v6, 7, v10
	v_ffbh_u32_e32 v4, v6
	v_min_u32_e32 v8, 32, v4
	v_subrev_u32_e32 v4, 28, v8
	v_lshrrev_b32_e32 v7, 3, v5
	v_cmp_gt_u32_e32 vcc, 8, v5
	v_lshlrev_b64 v[4:5], v4, v[10:11]
	v_sub_u32_e32 v5, 29, v8
	v_and_b32_e32 v4, 7, v4
	v_cndmask_b32_e32 v5, v7, v5, vcc
	v_cndmask_b32_e32 v4, v6, v4, vcc
	v_lshlrev_b32_e32 v6, 24, v10
	v_lshlrev_b32_e32 v4, 20, v4
	v_and_b32_e32 v6, 0x80000000, v6
	v_lshl_add_u32 v5, v5, 23, v57
	v_or3_b32 v4, v6, v5, v4
.LBB2_2768:                             ;   in Loop: Header=BB2_2448 Depth=2
	s_or_b64 exec, exec, s[88:89]
.LBB2_2769:                             ;   in Loop: Header=BB2_2448 Depth=2
	s_or_b64 exec, exec, s[78:79]
.LBB2_2770:                             ;   in Loop: Header=BB2_2448 Depth=2
	s_or_b64 exec, exec, s[20:21]
	v_mul_f32_e32 v5, v3, v4
	v_and_b32_e32 v28, 0x7f800000, v5
	v_cmp_ne_u64_e32 vcc, s[46:47], v[28:29]
                                        ; implicit-def: $vgpr60
	s_and_saveexec_b64 s[20:21], vcc
	s_xor_b64 s[78:79], exec, s[20:21]
	s_cbranch_execz .LBB2_2784
; %bb.2771:                             ;   in Loop: Header=BB2_2448 Depth=2
	v_and_b32_e32 v28, 0x7fffffff, v5
	v_cmp_gt_u64_e32 vcc, s[56:57], v[28:29]
	v_and_b32_sdwa v4, v5, s50 dst_sel:DWORD dst_unused:UNUSED_PAD src0_sel:BYTE_3 src1_sel:DWORD
                                        ; implicit-def: $vgpr60
	s_and_saveexec_b64 s[20:21], vcc
	s_xor_b64 s[88:89], exec, s[20:21]
	s_cbranch_execz .LBB2_2781
; %bb.2772:                             ;   in Loop: Header=BB2_2448 Depth=2
	v_mov_b32_e32 v60, 0
	v_cmp_ne_u32_e32 vcc, 0, v5
	s_and_saveexec_b64 s[90:91], vcc
	s_cbranch_execz .LBB2_2780
; %bb.2773:                             ;   in Loop: Header=BB2_2448 Depth=2
	v_and_b32_e32 v7, 0x7fffff, v5
	v_bfe_u32 v5, v5, 23, 8
	v_cmp_gt_u32_e64 s[20:21], s51, v5
	v_sub_u32_e32 v6, 0x79, v5
	v_cmp_eq_u32_e32 vcc, 0, v5
	v_cndmask_b32_e64 v6, 0, v6, s[20:21]
	v_or_b32_e32 v8, 0x800000, v7
	v_cndmask_b32_e32 v6, v6, v58, vcc
	v_cndmask_b32_e32 v28, v8, v7, vcc
	v_add_u32_e32 v7, 20, v6
	v_lshlrev_b64 v[7:8], v7, -1
	v_add_u32_e32 v9, 19, v6
	v_lshlrev_b64 v[9:10], v9, 1
	v_bfi_b32 v8, v8, 0, 0
	v_bfi_b32 v7, v7, 0, v28
	v_cmp_eq_u64_e64 s[20:21], v[7:8], v[9:10]
	v_lshrrev_b64 v[10:11], v6, v[28:29]
	v_mov_b32_e32 v55, v11
	v_mov_b32_e32 v54, v10
	s_and_saveexec_b64 s[92:93], s[20:21]
; %bb.2774:                             ;   in Loop: Header=BB2_2448 Depth=2
	v_bfe_u32 v7, v10, 20, 1
	v_add_co_u32_e64 v7, s[20:21], v10, v7
	v_add_co_u32_e64 v54, s[20:21], -1, v7
; %bb.2775:                             ;   in Loop: Header=BB2_2448 Depth=2
	s_or_b64 exec, exec, s[92:93]
	v_add_u32_e32 v5, 0xffffff81, v5
	v_cndmask_b32_e32 v5, v5, v59, vcc
	v_lshrrev_b32_e32 v7, 23, v10
	v_add3_u32 v7, v6, v5, v7
	v_add_u32_e32 v6, 6, v7
	v_and_b32_e32 v5, 0xfffff, v54
	v_add_u32_e32 v28, v5, v10
	v_cmp_ne_u32_e32 vcc, 0, v6
                                        ; implicit-def: $vgpr10_vgpr11
                                        ; implicit-def: $vgpr5
	s_and_saveexec_b64 s[20:21], vcc
	s_xor_b64 s[20:21], exec, s[20:21]
; %bb.2776:                             ;   in Loop: Header=BB2_2448 Depth=2
	v_cmp_lt_u64_e32 vcc, s[58:59], v[28:29]
	v_add_u32_e32 v5, 7, v7
	v_cndmask_b32_e32 v5, v6, v5, vcc
	v_cndmask_b32_e64 v6, 0, 1, vcc
	v_lshrrev_b64 v[10:11], v6, v[28:29]
; %bb.2777:                             ;   in Loop: Header=BB2_2448 Depth=2
	s_andn2_saveexec_b64 s[20:21], s[20:21]
; %bb.2778:                             ;   in Loop: Header=BB2_2448 Depth=2
	v_mov_b32_e32 v10, v28
	v_bfe_u32 v5, v28, 23, 1
	v_mov_b32_e32 v11, v29
; %bb.2779:                             ;   in Loop: Header=BB2_2448 Depth=2
	s_or_b64 exec, exec, s[20:21]
	v_lshrrev_b64 v[6:7], 20, v[10:11]
	v_cmp_gt_i32_e32 vcc, 16, v5
	v_cndmask_b32_e32 v7, 0, v7, vcc
	v_cndmask_b32_e32 v6, 7, v6, vcc
	v_cmp_eq_u32_e32 vcc, 0, v5
	v_min_i32_e32 v5, 15, v5
	v_cmp_eq_u64_e64 s[20:21], 0, v[6:7]
	v_lshlrev_b32_e32 v5, 3, v5
	v_and_b32_e32 v5, 0xf8, v5
	v_and_or_b32 v5, v6, 7, v5
	s_and_b64 s[20:21], vcc, s[20:21]
	v_cndmask_b32_e64 v5, v5, 0, s[20:21]
	v_or_b32_e32 v60, v5, v4
.LBB2_2780:                             ;   in Loop: Header=BB2_2448 Depth=2
	s_or_b64 exec, exec, s[90:91]
                                        ; implicit-def: $vgpr4
.LBB2_2781:                             ;   in Loop: Header=BB2_2448 Depth=2
	s_andn2_saveexec_b64 s[20:21], s[88:89]
; %bb.2782:                             ;   in Loop: Header=BB2_2448 Depth=2
	v_or_b32_e32 v60, 0x7e, v4
; %bb.2783:                             ;   in Loop: Header=BB2_2448 Depth=2
	s_or_b64 exec, exec, s[20:21]
                                        ; implicit-def: $vgpr5
.LBB2_2784:                             ;   in Loop: Header=BB2_2448 Depth=2
	s_andn2_saveexec_b64 s[20:21], s[78:79]
; %bb.2785:                             ;   in Loop: Header=BB2_2448 Depth=2
	v_or_b32_sdwa v60, v5, s39 dst_sel:DWORD dst_unused:UNUSED_PAD src0_sel:BYTE_3 src1_sel:DWORD
; %bb.2786:                             ;   in Loop: Header=BB2_2448 Depth=2
	s_or_b64 exec, exec, s[20:21]
	v_cmp_lt_u64_e32 vcc, s[60:61], v[12:13]
	v_mov_b32_e32 v4, 0
	s_and_saveexec_b64 s[20:21], vcc
	s_cbranch_execz .LBB2_2792
; %bb.2787:                             ;   in Loop: Header=BB2_2448 Depth=2
	v_lshrrev_b32_e32 v10, 24, v13
	v_cmp_ne_u32_e32 vcc, s50, v10
	v_bfrev_b32_e32 v4, 1
	s_and_saveexec_b64 s[78:79], vcc
	s_cbranch_execz .LBB2_2791
; %bb.2788:                             ;   in Loop: Header=BB2_2448 Depth=2
	v_bfe_u32 v5, v13, 24, 7
	v_cmp_ne_u32_e32 vcc, s39, v5
	v_mov_b32_e32 v4, 0x7f800001
	s_and_saveexec_b64 s[88:89], vcc
	s_cbranch_execz .LBB2_2790
; %bb.2789:                             ;   in Loop: Header=BB2_2448 Depth=2
	v_and_b32_e32 v6, 7, v10
	v_ffbh_u32_e32 v4, v6
	v_min_u32_e32 v8, 32, v4
	v_subrev_u32_e32 v4, 28, v8
	v_lshrrev_b32_e32 v7, 3, v5
	v_cmp_gt_u32_e32 vcc, 8, v5
	v_lshlrev_b64 v[4:5], v4, v[10:11]
	v_sub_u32_e32 v5, 29, v8
	v_and_b32_e32 v4, 7, v4
	v_cndmask_b32_e32 v5, v7, v5, vcc
	v_cndmask_b32_e32 v4, v6, v4, vcc
	v_lshlrev_b32_e32 v6, 24, v10
	v_lshlrev_b32_e32 v4, 20, v4
	v_and_b32_e32 v6, 0x80000000, v6
	v_lshl_add_u32 v5, v5, 23, v57
	v_or3_b32 v4, v6, v5, v4
.LBB2_2790:                             ;   in Loop: Header=BB2_2448 Depth=2
	s_or_b64 exec, exec, s[88:89]
.LBB2_2791:                             ;   in Loop: Header=BB2_2448 Depth=2
	s_or_b64 exec, exec, s[78:79]
.LBB2_2792:                             ;   in Loop: Header=BB2_2448 Depth=2
	s_or_b64 exec, exec, s[20:21]
	v_mul_f32_e32 v4, v3, v4
	v_and_b32_e32 v28, 0x7f800000, v4
	v_cmp_ne_u64_e32 vcc, s[46:47], v[28:29]
                                        ; implicit-def: $vgpr20
	s_and_saveexec_b64 s[20:21], vcc
	s_xor_b64 s[78:79], exec, s[20:21]
	s_cbranch_execz .LBB2_2806
; %bb.2793:                             ;   in Loop: Header=BB2_2448 Depth=2
	v_and_b32_e32 v28, 0x7fffffff, v4
	v_cmp_gt_u64_e32 vcc, s[56:57], v[28:29]
	v_and_b32_sdwa v3, v4, s50 dst_sel:DWORD dst_unused:UNUSED_PAD src0_sel:BYTE_3 src1_sel:DWORD
                                        ; implicit-def: $vgpr20
	s_and_saveexec_b64 s[20:21], vcc
	s_xor_b64 s[88:89], exec, s[20:21]
	s_cbranch_execz .LBB2_2803
; %bb.2794:                             ;   in Loop: Header=BB2_2448 Depth=2
	v_mov_b32_e32 v20, 0
	v_cmp_ne_u32_e32 vcc, 0, v4
	s_and_saveexec_b64 s[90:91], vcc
	s_cbranch_execz .LBB2_2802
; %bb.2795:                             ;   in Loop: Header=BB2_2448 Depth=2
	v_and_b32_e32 v6, 0x7fffff, v4
	v_bfe_u32 v4, v4, 23, 8
	v_cmp_gt_u32_e64 s[20:21], s51, v4
	v_sub_u32_e32 v5, 0x79, v4
	v_cmp_eq_u32_e32 vcc, 0, v4
	v_cndmask_b32_e64 v5, 0, v5, s[20:21]
	v_or_b32_e32 v7, 0x800000, v6
	v_cndmask_b32_e32 v5, v5, v58, vcc
	v_cndmask_b32_e32 v28, v7, v6, vcc
	v_add_u32_e32 v6, 20, v5
	v_lshlrev_b64 v[6:7], v6, -1
	v_add_u32_e32 v8, 19, v5
	v_lshlrev_b64 v[8:9], v8, 1
	v_lshrrev_b64 v[10:11], v5, v[28:29]
	v_bfi_b32 v7, v7, 0, 0
	v_bfi_b32 v6, v6, 0, v28
	v_cmp_eq_u64_e64 s[20:21], v[6:7], v[8:9]
	v_mov_b32_e32 v12, v11
	v_mov_b32_e32 v11, v10
	s_and_saveexec_b64 s[92:93], s[20:21]
; %bb.2796:                             ;   in Loop: Header=BB2_2448 Depth=2
	v_bfe_u32 v6, v10, 20, 1
	v_add_co_u32_e64 v6, s[20:21], v10, v6
	v_add_co_u32_e64 v11, s[20:21], -1, v6
; %bb.2797:                             ;   in Loop: Header=BB2_2448 Depth=2
	s_or_b64 exec, exec, s[92:93]
	v_add_u32_e32 v4, 0xffffff81, v4
	v_cndmask_b32_e32 v4, v4, v59, vcc
	v_lshrrev_b32_e32 v6, 23, v10
	v_add3_u32 v6, v5, v4, v6
	v_add_u32_e32 v5, 6, v6
	v_and_b32_e32 v4, 0xfffff, v11
	v_add_u32_e32 v28, v4, v10
	v_cmp_ne_u32_e32 vcc, 0, v5
                                        ; implicit-def: $vgpr10_vgpr11
                                        ; implicit-def: $vgpr4
	s_and_saveexec_b64 s[20:21], vcc
	s_xor_b64 s[20:21], exec, s[20:21]
; %bb.2798:                             ;   in Loop: Header=BB2_2448 Depth=2
	v_cmp_lt_u64_e32 vcc, s[58:59], v[28:29]
	v_add_u32_e32 v4, 7, v6
	v_cndmask_b32_e32 v4, v5, v4, vcc
	v_cndmask_b32_e64 v5, 0, 1, vcc
	v_lshrrev_b64 v[10:11], v5, v[28:29]
; %bb.2799:                             ;   in Loop: Header=BB2_2448 Depth=2
	s_andn2_saveexec_b64 s[20:21], s[20:21]
; %bb.2800:                             ;   in Loop: Header=BB2_2448 Depth=2
	v_mov_b32_e32 v10, v28
	v_bfe_u32 v4, v28, 23, 1
	v_mov_b32_e32 v11, v29
; %bb.2801:                             ;   in Loop: Header=BB2_2448 Depth=2
	s_or_b64 exec, exec, s[20:21]
	v_lshrrev_b64 v[5:6], 20, v[10:11]
	v_cmp_gt_i32_e32 vcc, 16, v4
	v_cndmask_b32_e32 v6, 0, v6, vcc
	v_cndmask_b32_e32 v5, 7, v5, vcc
	v_cmp_eq_u32_e32 vcc, 0, v4
	v_min_i32_e32 v4, 15, v4
	v_cmp_eq_u64_e64 s[20:21], 0, v[5:6]
	v_lshlrev_b32_e32 v4, 3, v4
	v_and_b32_e32 v4, 0xf8, v4
	v_and_or_b32 v4, v5, 7, v4
	s_and_b64 s[20:21], vcc, s[20:21]
	v_cndmask_b32_e64 v4, v4, 0, s[20:21]
	v_or_b32_e32 v20, v4, v3
.LBB2_2802:                             ;   in Loop: Header=BB2_2448 Depth=2
	s_or_b64 exec, exec, s[90:91]
                                        ; implicit-def: $vgpr3
.LBB2_2803:                             ;   in Loop: Header=BB2_2448 Depth=2
	s_andn2_saveexec_b64 s[20:21], s[88:89]
; %bb.2804:                             ;   in Loop: Header=BB2_2448 Depth=2
	v_or_b32_e32 v20, 0x7e, v3
; %bb.2805:                             ;   in Loop: Header=BB2_2448 Depth=2
	s_or_b64 exec, exec, s[20:21]
                                        ; implicit-def: $vgpr4
.LBB2_2806:                             ;   in Loop: Header=BB2_2448 Depth=2
	s_andn2_saveexec_b64 s[20:21], s[78:79]
; %bb.2807:                             ;   in Loop: Header=BB2_2448 Depth=2
	v_or_b32_sdwa v20, v4, s39 dst_sel:DWORD dst_unused:UNUSED_PAD src0_sel:BYTE_3 src1_sel:DWORD
; %bb.2808:                             ;   in Loop: Header=BB2_2448 Depth=2
	s_or_b64 exec, exec, s[20:21]
	global_load_dwordx4 v[10:13], v[50:51], off glc slc
	v_lshl_or_b32 v3, v14, 8, v0
	v_lshlrev_b32_e32 v4, 16, v36
	v_lshlrev_b32_e32 v5, 24, v46
	v_or3_b32 v28, v4, v5, v3
	v_cmp_ne_u32_e32 vcc, 0, v0
	v_mov_b32_e32 v4, 0
	s_and_saveexec_b64 s[20:21], vcc
	s_cbranch_execz .LBB2_2814
; %bb.2809:                             ;   in Loop: Header=BB2_2448 Depth=2
	v_cmp_ne_u32_e32 vcc, s50, v0
	v_bfrev_b32_e32 v4, 1
	s_and_saveexec_b64 s[78:79], vcc
	s_cbranch_execz .LBB2_2813
; %bb.2810:                             ;   in Loop: Header=BB2_2448 Depth=2
	v_and_b32_e32 v5, 0x7f, v0
	v_cmp_ne_u32_e32 vcc, s39, v5
	v_mov_b32_e32 v4, 0x7f800001
	s_and_saveexec_b64 s[88:89], vcc
	s_cbranch_execz .LBB2_2812
; %bb.2811:                             ;   in Loop: Header=BB2_2448 Depth=2
	v_and_b32_e32 v0, 7, v0
	v_ffbh_u32_e32 v0, v0
	v_min_u32_e32 v0, 32, v0
	v_lshrrev_b32_e32 v4, 3, v5
	v_cmp_gt_u32_e32 vcc, 8, v5
	v_subrev_u32_e32 v5, 28, v0
	v_sub_u32_e32 v0, 29, v0
	v_cndmask_b32_e32 v0, v4, v0, vcc
	v_cndmask_b32_e32 v4, 0, v5, vcc
	v_lshlrev_b64 v[4:5], v4, v[28:29]
	v_lshlrev_b32_e32 v5, 24, v28
	v_lshlrev_b32_e32 v4, 20, v4
	v_and_b32_e32 v4, 0x700000, v4
	v_and_b32_e32 v5, 0x80000000, v5
	v_lshl_add_u32 v0, v0, 23, v57
	v_or3_b32 v4, v5, v0, v4
.LBB2_2812:                             ;   in Loop: Header=BB2_2448 Depth=2
	s_or_b64 exec, exec, s[88:89]
.LBB2_2813:                             ;   in Loop: Header=BB2_2448 Depth=2
	s_or_b64 exec, exec, s[78:79]
.LBB2_2814:                             ;   in Loop: Header=BB2_2448 Depth=2
	s_or_b64 exec, exec, s[20:21]
	s_waitcnt vmcnt(0)
	v_cmp_gt_i16_sdwa s[78:79], v10, s39 src0_sel:BYTE_0 src1_sel:DWORD
	s_mov_b64 s[20:21], 0
	s_and_saveexec_b64 s[88:89], s[78:79]
	s_xor_b64 s[78:79], exec, s[88:89]
	s_cbranch_execnz .LBB2_3216
; %bb.2815:                             ;   in Loop: Header=BB2_2448 Depth=2
	s_or_saveexec_b64 s[78:79], s[78:79]
	v_bfrev_b32_e32 v0, 1
	s_xor_b64 exec, exec, s[78:79]
	s_cbranch_execnz .LBB2_3219
.LBB2_2816:                             ;   in Loop: Header=BB2_2448 Depth=2
	s_or_b64 exec, exec, s[78:79]
	s_and_saveexec_b64 s[78:79], s[20:21]
	s_cbranch_execz .LBB2_2818
.LBB2_2817:                             ;   in Loop: Header=BB2_2448 Depth=2
	v_and_b32_e32 v0, 7, v10
	v_ffbh_u32_e32 v0, v0
	v_and_b32_e32 v7, 0x7f, v10
	v_min_u32_e32 v0, 32, v0
	v_bfe_u32 v5, v10, 3, 4
	v_subrev_u32_e32 v6, 28, v0
	v_sub_u32_e32 v0, 29, v0
	v_cmp_gt_u32_e32 vcc, 8, v7
	v_cndmask_b32_e32 v0, v5, v0, vcc
	v_cndmask_b32_e32 v5, 0, v6, vcc
	v_lshlrev_b64 v[5:6], v5, v[10:11]
	v_lshlrev_b32_e32 v6, 24, v10
	v_lshlrev_b32_e32 v5, 20, v5
	v_and_b32_e32 v5, 0x700000, v5
	v_and_b32_e32 v6, 0x80000000, v6
	v_lshl_add_u32 v0, v0, 23, v57
	v_or3_b32 v0, v6, v0, v5
	v_cmp_ne_u32_e32 vcc, s39, v7
	v_cndmask_b32_e32 v0, v56, v0, vcc
.LBB2_2818:                             ;   in Loop: Header=BB2_2448 Depth=2
	s_or_b64 exec, exec, s[78:79]
	v_add_f32_e32 v5, v4, v0
	v_and_b32_e32 v6, 0x7f800000, v5
	v_mov_b32_e32 v7, v29
	v_cmp_ne_u64_e32 vcc, s[46:47], v[6:7]
                                        ; implicit-def: $vgpr0
	s_and_saveexec_b64 s[20:21], vcc
	s_xor_b64 s[78:79], exec, s[20:21]
	s_cbranch_execz .LBB2_2832
; %bb.2819:                             ;   in Loop: Header=BB2_2448 Depth=2
	v_and_b32_e32 v6, 0x7fffffff, v5
	v_mov_b32_e32 v7, v29
	v_cmp_gt_u64_e32 vcc, s[56:57], v[6:7]
	v_and_b32_sdwa v4, v5, s50 dst_sel:DWORD dst_unused:UNUSED_PAD src0_sel:BYTE_3 src1_sel:DWORD
                                        ; implicit-def: $vgpr0
	s_and_saveexec_b64 s[20:21], vcc
	s_xor_b64 s[88:89], exec, s[20:21]
	s_cbranch_execz .LBB2_2829
; %bb.2820:                             ;   in Loop: Header=BB2_2448 Depth=2
	v_mov_b32_e32 v0, 0
	v_cmp_ne_u32_e32 vcc, 0, v5
	s_and_saveexec_b64 s[90:91], vcc
	s_cbranch_execz .LBB2_2828
; %bb.2821:                             ;   in Loop: Header=BB2_2448 Depth=2
	v_bfe_u32 v0, v5, 23, 8
	v_and_b32_e32 v6, 0x7fffff, v5
	v_cmp_gt_u32_e64 s[20:21], s51, v0
	v_sub_u32_e32 v5, 0x79, v0
	v_cmp_eq_u32_e32 vcc, 0, v0
	v_cndmask_b32_e64 v5, 0, v5, s[20:21]
	v_cndmask_b32_e32 v5, v5, v58, vcc
	v_add_u32_e32 v8, 20, v5
	v_or_b32_e32 v7, 0x800000, v6
	v_lshlrev_b64 v[8:9], v8, -1
	v_add_u32_e32 v14, 19, v5
	v_cndmask_b32_e32 v6, v7, v6, vcc
	v_mov_b32_e32 v7, v29
	v_lshlrev_b64 v[22:23], v14, 1
	v_bfi_b32 v9, v9, 0, 0
	v_bfi_b32 v8, v8, 0, v6
	v_lshrrev_b64 v[54:55], v5, v[6:7]
	v_cmp_eq_u64_e64 s[20:21], v[8:9], v[22:23]
	v_mov_b32_e32 v39, v54
	v_mov_b32_e32 v40, v55
	s_and_saveexec_b64 s[92:93], s[20:21]
; %bb.2822:                             ;   in Loop: Header=BB2_2448 Depth=2
	v_bfe_u32 v6, v54, 20, 1
	v_add_co_u32_e64 v6, s[20:21], v54, v6
	v_add_co_u32_e64 v39, s[20:21], -1, v6
; %bb.2823:                             ;   in Loop: Header=BB2_2448 Depth=2
	s_or_b64 exec, exec, s[92:93]
	v_add_u32_e32 v0, 0xffffff81, v0
	v_cndmask_b32_e32 v0, v0, v59, vcc
	v_lshrrev_b32_e32 v6, 23, v54
	v_add3_u32 v6, v5, v0, v6
	v_add_u32_e32 v5, 6, v6
	v_and_b32_e32 v0, 0xfffff, v39
	v_add_u32_e32 v54, v0, v54
	v_mov_b32_e32 v55, v29
	v_cmp_ne_u32_e32 vcc, 0, v5
                                        ; implicit-def: $vgpr0
	s_and_saveexec_b64 s[20:21], vcc
	s_xor_b64 s[20:21], exec, s[20:21]
; %bb.2824:                             ;   in Loop: Header=BB2_2448 Depth=2
	v_cmp_lt_u64_e32 vcc, s[58:59], v[54:55]
	v_add_u32_e32 v0, 7, v6
	v_cndmask_b32_e32 v0, v5, v0, vcc
	v_cndmask_b32_e64 v5, 0, 1, vcc
	v_lshrrev_b64 v[54:55], v5, v[54:55]
; %bb.2825:                             ;   in Loop: Header=BB2_2448 Depth=2
	s_andn2_saveexec_b64 s[20:21], s[20:21]
; %bb.2826:                             ;   in Loop: Header=BB2_2448 Depth=2
	v_bfe_u32 v0, v54, 23, 1
; %bb.2827:                             ;   in Loop: Header=BB2_2448 Depth=2
	s_or_b64 exec, exec, s[20:21]
	v_lshrrev_b64 v[5:6], 20, v[54:55]
	v_cmp_gt_i32_e32 vcc, 16, v0
	v_cndmask_b32_e32 v6, 0, v6, vcc
	v_cndmask_b32_e32 v5, 7, v5, vcc
	v_cmp_eq_u32_e32 vcc, 0, v0
	v_min_i32_e32 v0, 15, v0
	v_cmp_eq_u64_e64 s[20:21], 0, v[5:6]
	v_lshlrev_b32_e32 v0, 3, v0
	v_and_b32_e32 v0, 0xf8, v0
	v_and_or_b32 v0, v5, 7, v0
	s_and_b64 s[20:21], vcc, s[20:21]
	v_cndmask_b32_e64 v0, v0, 0, s[20:21]
	v_or_b32_e32 v0, v0, v4
.LBB2_2828:                             ;   in Loop: Header=BB2_2448 Depth=2
	s_or_b64 exec, exec, s[90:91]
                                        ; implicit-def: $vgpr4
.LBB2_2829:                             ;   in Loop: Header=BB2_2448 Depth=2
	s_andn2_saveexec_b64 s[20:21], s[88:89]
; %bb.2830:                             ;   in Loop: Header=BB2_2448 Depth=2
	v_or_b32_e32 v0, 0x7e, v4
; %bb.2831:                             ;   in Loop: Header=BB2_2448 Depth=2
	s_or_b64 exec, exec, s[20:21]
                                        ; implicit-def: $vgpr5
.LBB2_2832:                             ;   in Loop: Header=BB2_2448 Depth=2
	s_andn2_saveexec_b64 s[20:21], s[78:79]
; %bb.2833:                             ;   in Loop: Header=BB2_2448 Depth=2
	v_or_b32_sdwa v0, v5, s39 dst_sel:DWORD dst_unused:UNUSED_PAD src0_sel:BYTE_3 src1_sel:DWORD
; %bb.2834:                             ;   in Loop: Header=BB2_2448 Depth=2
	s_or_b64 exec, exec, s[20:21]
	v_lshrrev_b16_e32 v30, 8, v3
	v_cmp_ne_u16_e32 vcc, 0, v30
	v_mov_b32_e32 v4, 0
	s_and_saveexec_b64 s[20:21], vcc
	s_cbranch_execz .LBB2_2840
; %bb.2835:                             ;   in Loop: Header=BB2_2448 Depth=2
	v_cmp_ne_u16_e32 vcc, s50, v30
	v_bfrev_b32_e32 v4, 1
	s_and_saveexec_b64 s[78:79], vcc
	s_cbranch_execz .LBB2_2839
; %bb.2836:                             ;   in Loop: Header=BB2_2448 Depth=2
	v_and_b32_e32 v5, 0x7f, v30
	v_cmp_ne_u32_e32 vcc, s39, v5
	v_mov_b32_e32 v4, 0x7f800001
	s_and_saveexec_b64 s[88:89], vcc
	s_cbranch_execz .LBB2_2838
; %bb.2837:                             ;   in Loop: Header=BB2_2448 Depth=2
	v_and_b32_e32 v6, 7, v30
	v_ffbh_u32_e32 v4, v6
	v_min_u32_e32 v8, 32, v4
	v_subrev_u32_e32 v4, 28, v8
	v_lshrrev_b32_e32 v7, 3, v5
	v_cmp_gt_u32_e32 vcc, 8, v5
	v_lshlrev_b64 v[4:5], v4, v[30:31]
	v_sub_u32_e32 v5, 29, v8
	v_and_b32_e32 v4, 7, v4
	v_cndmask_b32_e32 v5, v7, v5, vcc
	v_cndmask_b32_e32 v4, v6, v4, vcc
	v_lshlrev_b32_e32 v3, 16, v3
	v_lshlrev_b32_e32 v4, 20, v4
	v_and_b32_e32 v3, 0x80000000, v3
	v_lshl_add_u32 v5, v5, 23, v57
	v_or3_b32 v4, v3, v5, v4
.LBB2_2838:                             ;   in Loop: Header=BB2_2448 Depth=2
	s_or_b64 exec, exec, s[88:89]
.LBB2_2839:                             ;   in Loop: Header=BB2_2448 Depth=2
	s_or_b64 exec, exec, s[78:79]
.LBB2_2840:                             ;   in Loop: Header=BB2_2448 Depth=2
	s_or_b64 exec, exec, s[20:21]
	v_lshrrev_b16_e32 v54, 8, v10
	v_cmp_lt_i16_e32 vcc, s39, v54
	s_mov_b64 s[20:21], 0
	s_and_saveexec_b64 s[78:79], vcc
	s_xor_b64 s[78:79], exec, s[78:79]
	s_cbranch_execnz .LBB2_3220
; %bb.2841:                             ;   in Loop: Header=BB2_2448 Depth=2
	s_or_saveexec_b64 s[78:79], s[78:79]
	v_bfrev_b32_e32 v3, 1
	s_xor_b64 exec, exec, s[78:79]
	s_cbranch_execnz .LBB2_3223
.LBB2_2842:                             ;   in Loop: Header=BB2_2448 Depth=2
	s_or_b64 exec, exec, s[78:79]
	s_and_saveexec_b64 s[78:79], s[20:21]
	s_cbranch_execz .LBB2_2844
.LBB2_2843:                             ;   in Loop: Header=BB2_2448 Depth=2
	v_and_b32_e32 v3, 7, v54
	v_ffbh_u32_e32 v5, v3
	v_min_u32_e32 v9, 32, v5
	v_mov_b32_e32 v55, v29
	v_subrev_u32_e32 v5, 28, v9
	v_lshlrev_b64 v[5:6], v5, v[54:55]
	v_and_b32_e32 v7, 0x7f, v54
	v_bfe_u32 v8, v54, 3, 4
	v_sub_u32_e32 v6, 29, v9
	v_and_b32_e32 v5, 7, v5
	v_cmp_gt_u32_e32 vcc, 8, v7
	v_cndmask_b32_e32 v6, v8, v6, vcc
	v_cndmask_b32_e32 v3, v3, v5, vcc
	v_lshlrev_b32_e32 v5, 24, v54
	v_lshlrev_b32_e32 v3, 20, v3
	v_and_b32_e32 v5, 0x80000000, v5
	v_lshl_add_u32 v6, v6, 23, v57
	v_or3_b32 v3, v5, v6, v3
	v_cmp_ne_u32_e32 vcc, s39, v7
	v_cndmask_b32_e32 v3, v56, v3, vcc
.LBB2_2844:                             ;   in Loop: Header=BB2_2448 Depth=2
	s_or_b64 exec, exec, s[78:79]
	v_add_f32_e32 v4, v4, v3
	v_and_b32_e32 v5, 0x7f800000, v4
	v_mov_b32_e32 v6, v29
	v_cmp_ne_u64_e32 vcc, s[46:47], v[5:6]
                                        ; implicit-def: $vgpr14
	s_and_saveexec_b64 s[20:21], vcc
	s_xor_b64 s[78:79], exec, s[20:21]
	s_cbranch_execz .LBB2_2858
; %bb.2845:                             ;   in Loop: Header=BB2_2448 Depth=2
	v_and_b32_e32 v5, 0x7fffffff, v4
	v_mov_b32_e32 v6, v29
	v_cmp_gt_u64_e32 vcc, s[56:57], v[5:6]
	v_and_b32_sdwa v3, v4, s50 dst_sel:DWORD dst_unused:UNUSED_PAD src0_sel:BYTE_3 src1_sel:DWORD
                                        ; implicit-def: $vgpr14
	s_and_saveexec_b64 s[20:21], vcc
	s_xor_b64 s[88:89], exec, s[20:21]
	s_cbranch_execz .LBB2_2855
; %bb.2846:                             ;   in Loop: Header=BB2_2448 Depth=2
	v_mov_b32_e32 v14, 0
	v_cmp_ne_u32_e32 vcc, 0, v4
	s_and_saveexec_b64 s[90:91], vcc
	s_cbranch_execz .LBB2_2854
; %bb.2847:                             ;   in Loop: Header=BB2_2448 Depth=2
	v_and_b32_e32 v6, 0x7fffff, v4
	v_bfe_u32 v4, v4, 23, 8
	v_cmp_gt_u32_e64 s[20:21], s51, v4
	v_sub_u32_e32 v5, 0x79, v4
	v_cmp_eq_u32_e32 vcc, 0, v4
	v_cndmask_b32_e64 v5, 0, v5, s[20:21]
	v_cndmask_b32_e32 v5, v5, v58, vcc
	v_add_u32_e32 v8, 20, v5
	v_or_b32_e32 v7, 0x800000, v6
	v_lshlrev_b64 v[8:9], v8, -1
	v_add_u32_e32 v14, 19, v5
	v_cndmask_b32_e32 v6, v7, v6, vcc
	v_mov_b32_e32 v7, v29
	v_lshlrev_b64 v[22:23], v14, 1
	v_bfi_b32 v9, v9, 0, 0
	v_bfi_b32 v8, v8, 0, v6
	v_lshrrev_b64 v[54:55], v5, v[6:7]
	v_cmp_eq_u64_e64 s[20:21], v[8:9], v[22:23]
	v_mov_b32_e32 v39, v54
	v_mov_b32_e32 v40, v55
	s_and_saveexec_b64 s[92:93], s[20:21]
; %bb.2848:                             ;   in Loop: Header=BB2_2448 Depth=2
	v_bfe_u32 v6, v54, 20, 1
	v_add_co_u32_e64 v6, s[20:21], v54, v6
	v_add_co_u32_e64 v39, s[20:21], -1, v6
; %bb.2849:                             ;   in Loop: Header=BB2_2448 Depth=2
	s_or_b64 exec, exec, s[92:93]
	v_add_u32_e32 v4, 0xffffff81, v4
	v_cndmask_b32_e32 v4, v4, v59, vcc
	v_lshrrev_b32_e32 v6, 23, v54
	v_add3_u32 v6, v5, v4, v6
	v_add_u32_e32 v5, 6, v6
	v_and_b32_e32 v4, 0xfffff, v39
	v_add_u32_e32 v54, v4, v54
	v_mov_b32_e32 v55, v29
	v_cmp_ne_u32_e32 vcc, 0, v5
                                        ; implicit-def: $vgpr4
	s_and_saveexec_b64 s[20:21], vcc
	s_xor_b64 s[20:21], exec, s[20:21]
; %bb.2850:                             ;   in Loop: Header=BB2_2448 Depth=2
	v_cmp_lt_u64_e32 vcc, s[58:59], v[54:55]
	v_add_u32_e32 v4, 7, v6
	v_cndmask_b32_e32 v4, v5, v4, vcc
	v_cndmask_b32_e64 v5, 0, 1, vcc
	v_lshrrev_b64 v[54:55], v5, v[54:55]
; %bb.2851:                             ;   in Loop: Header=BB2_2448 Depth=2
	s_andn2_saveexec_b64 s[20:21], s[20:21]
; %bb.2852:                             ;   in Loop: Header=BB2_2448 Depth=2
	v_bfe_u32 v4, v54, 23, 1
; %bb.2853:                             ;   in Loop: Header=BB2_2448 Depth=2
	s_or_b64 exec, exec, s[20:21]
	v_lshrrev_b64 v[5:6], 20, v[54:55]
	v_cmp_gt_i32_e32 vcc, 16, v4
	v_cndmask_b32_e32 v6, 0, v6, vcc
	v_cndmask_b32_e32 v5, 7, v5, vcc
	v_cmp_eq_u32_e32 vcc, 0, v4
	v_min_i32_e32 v4, 15, v4
	v_cmp_eq_u64_e64 s[20:21], 0, v[5:6]
	v_lshlrev_b32_e32 v4, 3, v4
	v_and_b32_e32 v4, 0xf8, v4
	v_and_or_b32 v4, v5, 7, v4
	s_and_b64 s[20:21], vcc, s[20:21]
	v_cndmask_b32_e64 v4, v4, 0, s[20:21]
	v_or_b32_e32 v14, v4, v3
.LBB2_2854:                             ;   in Loop: Header=BB2_2448 Depth=2
	s_or_b64 exec, exec, s[90:91]
                                        ; implicit-def: $vgpr3
.LBB2_2855:                             ;   in Loop: Header=BB2_2448 Depth=2
	s_andn2_saveexec_b64 s[20:21], s[88:89]
; %bb.2856:                             ;   in Loop: Header=BB2_2448 Depth=2
	v_or_b32_e32 v14, 0x7e, v3
; %bb.2857:                             ;   in Loop: Header=BB2_2448 Depth=2
	s_or_b64 exec, exec, s[20:21]
                                        ; implicit-def: $vgpr4
.LBB2_2858:                             ;   in Loop: Header=BB2_2448 Depth=2
	s_andn2_saveexec_b64 s[20:21], s[78:79]
; %bb.2859:                             ;   in Loop: Header=BB2_2448 Depth=2
	v_or_b32_sdwa v14, v4, s39 dst_sel:DWORD dst_unused:UNUSED_PAD src0_sel:BYTE_3 src1_sel:DWORD
; %bb.2860:                             ;   in Loop: Header=BB2_2448 Depth=2
	s_or_b64 exec, exec, s[20:21]
	v_and_b32_sdwa v4, v28, s49 dst_sel:DWORD dst_unused:UNUSED_PAD src0_sel:WORD_1 src1_sel:DWORD
	v_lshrrev_b32_e32 v30, 16, v28
	v_cmp_ne_u16_e32 vcc, 0, v4
	v_mov_b32_e32 v3, 0
	s_and_saveexec_b64 s[20:21], vcc
	s_cbranch_execz .LBB2_2866
; %bb.2861:                             ;   in Loop: Header=BB2_2448 Depth=2
	v_cmp_ne_u16_e32 vcc, s50, v4
	v_bfrev_b32_e32 v3, 1
	s_and_saveexec_b64 s[78:79], vcc
	s_cbranch_execz .LBB2_2865
; %bb.2862:                             ;   in Loop: Header=BB2_2448 Depth=2
	v_bfe_u32 v4, v28, 16, 7
	v_cmp_ne_u32_e32 vcc, s39, v4
	v_mov_b32_e32 v3, 0x7f800001
	s_and_saveexec_b64 s[88:89], vcc
	s_cbranch_execz .LBB2_2864
; %bb.2863:                             ;   in Loop: Header=BB2_2448 Depth=2
	v_and_b32_e32 v5, 7, v30
	v_ffbh_u32_e32 v3, v5
	v_min_u32_e32 v7, 32, v3
	v_subrev_u32_e32 v3, 28, v7
	v_lshrrev_b32_e32 v6, 3, v4
	v_cmp_gt_u32_e32 vcc, 8, v4
	v_lshlrev_b64 v[3:4], v3, v[30:31]
	v_sub_u32_e32 v4, 29, v7
	v_and_b32_e32 v3, 7, v3
	v_cndmask_b32_e32 v3, v5, v3, vcc
	v_mov_b32_e32 v5, 24
	v_cndmask_b32_e32 v4, v6, v4, vcc
	v_lshlrev_b32_sdwa v5, v5, v28 dst_sel:DWORD dst_unused:UNUSED_PAD src0_sel:DWORD src1_sel:WORD_1
	v_lshlrev_b32_e32 v3, 20, v3
	v_and_b32_e32 v5, 0x80000000, v5
	v_lshl_add_u32 v4, v4, 23, v57
	v_or3_b32 v3, v5, v4, v3
.LBB2_2864:                             ;   in Loop: Header=BB2_2448 Depth=2
	s_or_b64 exec, exec, s[88:89]
.LBB2_2865:                             ;   in Loop: Header=BB2_2448 Depth=2
	s_or_b64 exec, exec, s[78:79]
.LBB2_2866:                             ;   in Loop: Header=BB2_2448 Depth=2
	s_or_b64 exec, exec, s[20:21]
	v_lshrrev_b32_e32 v30, 16, v10
	v_cmp_gt_i16_sdwa s[78:79], v30, s39 src0_sel:BYTE_0 src1_sel:DWORD
	s_mov_b64 s[20:21], 0
	s_and_saveexec_b64 s[88:89], s[78:79]
	s_xor_b64 s[78:79], exec, s[88:89]
	s_cbranch_execnz .LBB2_3224
; %bb.2867:                             ;   in Loop: Header=BB2_2448 Depth=2
	s_or_saveexec_b64 s[78:79], s[78:79]
	v_bfrev_b32_e32 v4, 1
	s_xor_b64 exec, exec, s[78:79]
	s_cbranch_execnz .LBB2_3227
.LBB2_2868:                             ;   in Loop: Header=BB2_2448 Depth=2
	s_or_b64 exec, exec, s[78:79]
	s_and_saveexec_b64 s[78:79], s[20:21]
	s_cbranch_execz .LBB2_2870
.LBB2_2869:                             ;   in Loop: Header=BB2_2448 Depth=2
	v_and_b32_e32 v6, 7, v30
	v_ffbh_u32_e32 v4, v6
	v_min_u32_e32 v9, 32, v4
	v_subrev_u32_e32 v4, 28, v9
	v_lshlrev_b64 v[4:5], v4, v[30:31]
	v_and_b32_e32 v7, 0x7f, v30
	v_bfe_u32 v8, v30, 3, 4
	v_sub_u32_e32 v5, 29, v9
	v_and_b32_e32 v4, 7, v4
	v_cmp_gt_u32_e32 vcc, 8, v7
	v_cndmask_b32_e32 v5, v8, v5, vcc
	v_cndmask_b32_e32 v4, v6, v4, vcc
	v_lshlrev_b32_e32 v6, 24, v30
	v_lshlrev_b32_e32 v4, 20, v4
	v_and_b32_e32 v6, 0x80000000, v6
	v_lshl_add_u32 v5, v5, 23, v57
	v_or3_b32 v4, v6, v5, v4
	v_cmp_ne_u32_e32 vcc, s39, v7
	v_cndmask_b32_e32 v4, v56, v4, vcc
.LBB2_2870:                             ;   in Loop: Header=BB2_2448 Depth=2
	s_or_b64 exec, exec, s[78:79]
	v_add_f32_e32 v5, v3, v4
	v_and_b32_e32 v3, 0x7f800000, v5
	v_mov_b32_e32 v4, v29
	v_cmp_ne_u64_e32 vcc, s[46:47], v[3:4]
                                        ; implicit-def: $vgpr3
	s_and_saveexec_b64 s[20:21], vcc
	s_xor_b64 s[78:79], exec, s[20:21]
	s_cbranch_execz .LBB2_2884
; %bb.2871:                             ;   in Loop: Header=BB2_2448 Depth=2
	v_and_b32_e32 v3, 0x7fffffff, v5
	v_mov_b32_e32 v4, v29
	v_cmp_gt_u64_e32 vcc, s[56:57], v[3:4]
	v_and_b32_sdwa v4, v5, s50 dst_sel:DWORD dst_unused:UNUSED_PAD src0_sel:BYTE_3 src1_sel:DWORD
                                        ; implicit-def: $vgpr3
	s_and_saveexec_b64 s[20:21], vcc
	s_xor_b64 s[88:89], exec, s[20:21]
	s_cbranch_execz .LBB2_2881
; %bb.2872:                             ;   in Loop: Header=BB2_2448 Depth=2
	v_mov_b32_e32 v3, 0
	v_cmp_ne_u32_e32 vcc, 0, v5
	s_and_saveexec_b64 s[90:91], vcc
	s_cbranch_execz .LBB2_2880
; %bb.2873:                             ;   in Loop: Header=BB2_2448 Depth=2
	v_bfe_u32 v3, v5, 23, 8
	v_and_b32_e32 v6, 0x7fffff, v5
	v_cmp_gt_u32_e64 s[20:21], s51, v3
	v_sub_u32_e32 v5, 0x79, v3
	v_cmp_eq_u32_e32 vcc, 0, v3
	v_cndmask_b32_e64 v5, 0, v5, s[20:21]
	v_cndmask_b32_e32 v5, v5, v58, vcc
	v_add_u32_e32 v8, 20, v5
	v_or_b32_e32 v7, 0x800000, v6
	v_lshlrev_b64 v[8:9], v8, -1
	v_add_u32_e32 v22, 19, v5
	v_cndmask_b32_e32 v6, v7, v6, vcc
	v_mov_b32_e32 v7, v29
	v_lshlrev_b64 v[22:23], v22, 1
	v_bfi_b32 v9, v9, 0, 0
	v_bfi_b32 v8, v8, 0, v6
	v_lshrrev_b64 v[54:55], v5, v[6:7]
	v_cmp_eq_u64_e64 s[20:21], v[8:9], v[22:23]
	v_mov_b32_e32 v39, v54
	v_mov_b32_e32 v40, v55
	s_and_saveexec_b64 s[92:93], s[20:21]
; %bb.2874:                             ;   in Loop: Header=BB2_2448 Depth=2
	v_bfe_u32 v6, v54, 20, 1
	v_add_co_u32_e64 v6, s[20:21], v54, v6
	v_add_co_u32_e64 v39, s[20:21], -1, v6
; %bb.2875:                             ;   in Loop: Header=BB2_2448 Depth=2
	s_or_b64 exec, exec, s[92:93]
	v_add_u32_e32 v3, 0xffffff81, v3
	v_cndmask_b32_e32 v3, v3, v59, vcc
	v_lshrrev_b32_e32 v6, 23, v54
	v_add3_u32 v6, v5, v3, v6
	v_add_u32_e32 v5, 6, v6
	v_and_b32_e32 v3, 0xfffff, v39
	v_add_u32_e32 v54, v3, v54
	v_mov_b32_e32 v55, v29
	v_cmp_ne_u32_e32 vcc, 0, v5
                                        ; implicit-def: $vgpr3
	s_and_saveexec_b64 s[20:21], vcc
	s_xor_b64 s[20:21], exec, s[20:21]
; %bb.2876:                             ;   in Loop: Header=BB2_2448 Depth=2
	v_cmp_lt_u64_e32 vcc, s[58:59], v[54:55]
	v_add_u32_e32 v3, 7, v6
	v_cndmask_b32_e32 v3, v5, v3, vcc
	v_cndmask_b32_e64 v5, 0, 1, vcc
	v_lshrrev_b64 v[54:55], v5, v[54:55]
; %bb.2877:                             ;   in Loop: Header=BB2_2448 Depth=2
	s_andn2_saveexec_b64 s[20:21], s[20:21]
; %bb.2878:                             ;   in Loop: Header=BB2_2448 Depth=2
	v_bfe_u32 v3, v54, 23, 1
; %bb.2879:                             ;   in Loop: Header=BB2_2448 Depth=2
	s_or_b64 exec, exec, s[20:21]
	v_lshrrev_b64 v[5:6], 20, v[54:55]
	v_cmp_gt_i32_e32 vcc, 16, v3
	v_cndmask_b32_e32 v6, 0, v6, vcc
	v_cndmask_b32_e32 v5, 7, v5, vcc
	v_cmp_eq_u32_e32 vcc, 0, v3
	v_min_i32_e32 v3, 15, v3
	v_cmp_eq_u64_e64 s[20:21], 0, v[5:6]
	v_lshlrev_b32_e32 v3, 3, v3
	v_and_b32_e32 v3, 0xf8, v3
	v_and_or_b32 v3, v5, 7, v3
	s_and_b64 s[20:21], vcc, s[20:21]
	v_cndmask_b32_e64 v3, v3, 0, s[20:21]
	v_or_b32_e32 v3, v3, v4
.LBB2_2880:                             ;   in Loop: Header=BB2_2448 Depth=2
	s_or_b64 exec, exec, s[90:91]
                                        ; implicit-def: $vgpr4
.LBB2_2881:                             ;   in Loop: Header=BB2_2448 Depth=2
	s_andn2_saveexec_b64 s[20:21], s[88:89]
; %bb.2882:                             ;   in Loop: Header=BB2_2448 Depth=2
	v_or_b32_e32 v3, 0x7e, v4
; %bb.2883:                             ;   in Loop: Header=BB2_2448 Depth=2
	s_or_b64 exec, exec, s[20:21]
                                        ; implicit-def: $vgpr5
.LBB2_2884:                             ;   in Loop: Header=BB2_2448 Depth=2
	s_andn2_saveexec_b64 s[20:21], s[78:79]
; %bb.2885:                             ;   in Loop: Header=BB2_2448 Depth=2
	v_or_b32_sdwa v3, v5, s39 dst_sel:DWORD dst_unused:UNUSED_PAD src0_sel:BYTE_3 src1_sel:DWORD
; %bb.2886:                             ;   in Loop: Header=BB2_2448 Depth=2
	s_or_b64 exec, exec, s[20:21]
	v_cmp_lt_u32_e32 vcc, s61, v28
	v_mov_b32_e32 v4, 0
	s_and_saveexec_b64 s[20:21], vcc
	s_cbranch_execz .LBB2_2892
; %bb.2887:                             ;   in Loop: Header=BB2_2448 Depth=2
	v_lshrrev_b32_e32 v30, 24, v28
	v_cmp_ne_u32_e32 vcc, s50, v30
	v_bfrev_b32_e32 v4, 1
	s_and_saveexec_b64 s[78:79], vcc
	s_cbranch_execz .LBB2_2891
; %bb.2888:                             ;   in Loop: Header=BB2_2448 Depth=2
	v_bfe_u32 v5, v28, 24, 7
	v_cmp_ne_u32_e32 vcc, s39, v5
	v_mov_b32_e32 v4, 0x7f800001
	s_and_saveexec_b64 s[88:89], vcc
	s_cbranch_execz .LBB2_2890
; %bb.2889:                             ;   in Loop: Header=BB2_2448 Depth=2
	v_and_b32_e32 v6, 7, v30
	v_ffbh_u32_e32 v4, v6
	v_min_u32_e32 v8, 32, v4
	v_subrev_u32_e32 v4, 28, v8
	v_lshrrev_b32_e32 v7, 3, v5
	v_cmp_gt_u32_e32 vcc, 8, v5
	v_lshlrev_b64 v[4:5], v4, v[30:31]
	v_sub_u32_e32 v5, 29, v8
	v_and_b32_e32 v4, 7, v4
	v_cndmask_b32_e32 v5, v7, v5, vcc
	v_cndmask_b32_e32 v4, v6, v4, vcc
	v_lshlrev_b32_e32 v6, 24, v30
	v_lshlrev_b32_e32 v4, 20, v4
	v_and_b32_e32 v6, 0x80000000, v6
	v_lshl_add_u32 v5, v5, 23, v57
	v_or3_b32 v4, v6, v5, v4
.LBB2_2890:                             ;   in Loop: Header=BB2_2448 Depth=2
	s_or_b64 exec, exec, s[88:89]
.LBB2_2891:                             ;   in Loop: Header=BB2_2448 Depth=2
	s_or_b64 exec, exec, s[78:79]
.LBB2_2892:                             ;   in Loop: Header=BB2_2448 Depth=2
	s_or_b64 exec, exec, s[20:21]
	v_bfe_u32 v8, v10, 24, 3
	v_ffbh_u32_e32 v6, v8
	v_min_u32_e32 v23, 32, v6
	v_lshrrev_b32_e32 v5, 24, v10
	v_subrev_u32_e32 v6, 28, v23
	v_lshlrev_b64 v[6:7], v6, v[5:6]
	v_bfe_u32 v9, v10, 24, 7
	v_bfe_u32 v22, v5, 3, 4
	v_sub_u32_e32 v7, 29, v23
	v_and_b32_e32 v6, 7, v6
	v_cmp_gt_u32_e32 vcc, 8, v9
	v_cndmask_b32_e32 v7, v22, v7, vcc
	v_cndmask_b32_e32 v6, v8, v6, vcc
	v_lshlrev_b32_e32 v6, 20, v6
	v_and_b32_e32 v8, 0x80000000, v10
	v_lshl_add_u32 v7, v7, 23, v57
	v_or3_b32 v6, v8, v7, v6
	v_cmp_ne_u32_e32 vcc, s39, v9
	v_cndmask_b32_e32 v6, v56, v6, vcc
	v_cmp_ne_u32_e32 vcc, s50, v5
	v_cndmask_b32_e32 v5, v61, v6, vcc
	v_cmp_lt_u32_e32 vcc, s61, v10
	v_cndmask_b32_e32 v5, 0, v5, vcc
	v_add_f32_e32 v5, v5, v4
	v_and_b32_e32 v28, 0x7f800000, v5
	v_cmp_ne_u64_e32 vcc, s[46:47], v[28:29]
                                        ; implicit-def: $vgpr36
	s_and_saveexec_b64 s[20:21], vcc
	s_xor_b64 s[78:79], exec, s[20:21]
	s_cbranch_execz .LBB2_2906
; %bb.2893:                             ;   in Loop: Header=BB2_2448 Depth=2
	v_and_b32_e32 v28, 0x7fffffff, v5
	v_cmp_gt_u64_e32 vcc, s[56:57], v[28:29]
	v_and_b32_sdwa v4, v5, s50 dst_sel:DWORD dst_unused:UNUSED_PAD src0_sel:BYTE_3 src1_sel:DWORD
                                        ; implicit-def: $vgpr36
	s_and_saveexec_b64 s[20:21], vcc
	s_xor_b64 s[88:89], exec, s[20:21]
	s_cbranch_execz .LBB2_2903
; %bb.2894:                             ;   in Loop: Header=BB2_2448 Depth=2
	v_mov_b32_e32 v36, 0
	v_cmp_ne_u32_e32 vcc, 0, v5
	s_and_saveexec_b64 s[90:91], vcc
	s_cbranch_execz .LBB2_2902
; %bb.2895:                             ;   in Loop: Header=BB2_2448 Depth=2
	v_and_b32_e32 v7, 0x7fffff, v5
	v_bfe_u32 v5, v5, 23, 8
	v_cmp_gt_u32_e64 s[20:21], s51, v5
	v_sub_u32_e32 v6, 0x79, v5
	v_cmp_eq_u32_e32 vcc, 0, v5
	v_cndmask_b32_e64 v6, 0, v6, s[20:21]
	v_or_b32_e32 v8, 0x800000, v7
	v_cndmask_b32_e32 v6, v6, v58, vcc
	v_cndmask_b32_e32 v28, v8, v7, vcc
	v_add_u32_e32 v7, 20, v6
	v_lshlrev_b64 v[7:8], v7, -1
	v_add_u32_e32 v9, 19, v6
	v_lshlrev_b64 v[22:23], v9, 1
	v_bfi_b32 v8, v8, 0, 0
	v_bfi_b32 v7, v7, 0, v28
	v_lshrrev_b64 v[54:55], v6, v[28:29]
	v_cmp_eq_u64_e64 s[20:21], v[7:8], v[22:23]
	v_mov_b32_e32 v39, v54
	v_mov_b32_e32 v40, v55
	s_and_saveexec_b64 s[92:93], s[20:21]
; %bb.2896:                             ;   in Loop: Header=BB2_2448 Depth=2
	v_bfe_u32 v7, v54, 20, 1
	v_add_co_u32_e64 v7, s[20:21], v54, v7
	v_add_co_u32_e64 v39, s[20:21], -1, v7
; %bb.2897:                             ;   in Loop: Header=BB2_2448 Depth=2
	s_or_b64 exec, exec, s[92:93]
	v_add_u32_e32 v5, 0xffffff81, v5
	v_cndmask_b32_e32 v5, v5, v59, vcc
	v_lshrrev_b32_e32 v7, 23, v54
	v_add3_u32 v7, v6, v5, v7
	v_add_u32_e32 v6, 6, v7
	v_and_b32_e32 v5, 0xfffff, v39
	v_add_u32_e32 v28, v5, v54
	v_cmp_ne_u32_e32 vcc, 0, v6
                                        ; implicit-def: $vgpr54_vgpr55
                                        ; implicit-def: $vgpr5
	s_and_saveexec_b64 s[20:21], vcc
	s_xor_b64 s[20:21], exec, s[20:21]
; %bb.2898:                             ;   in Loop: Header=BB2_2448 Depth=2
	v_cmp_lt_u64_e32 vcc, s[58:59], v[28:29]
	v_add_u32_e32 v5, 7, v7
	v_cndmask_b32_e32 v5, v6, v5, vcc
	v_cndmask_b32_e64 v6, 0, 1, vcc
	v_lshrrev_b64 v[54:55], v6, v[28:29]
; %bb.2899:                             ;   in Loop: Header=BB2_2448 Depth=2
	s_andn2_saveexec_b64 s[20:21], s[20:21]
; %bb.2900:                             ;   in Loop: Header=BB2_2448 Depth=2
	v_mov_b32_e32 v55, v29
	v_bfe_u32 v5, v28, 23, 1
	v_mov_b32_e32 v54, v28
; %bb.2901:                             ;   in Loop: Header=BB2_2448 Depth=2
	s_or_b64 exec, exec, s[20:21]
	v_lshrrev_b64 v[6:7], 20, v[54:55]
	v_cmp_gt_i32_e32 vcc, 16, v5
	v_cndmask_b32_e32 v7, 0, v7, vcc
	v_cndmask_b32_e32 v6, 7, v6, vcc
	v_cmp_eq_u32_e32 vcc, 0, v5
	v_min_i32_e32 v5, 15, v5
	v_cmp_eq_u64_e64 s[20:21], 0, v[6:7]
	v_lshlrev_b32_e32 v5, 3, v5
	v_and_b32_e32 v5, 0xf8, v5
	v_and_or_b32 v5, v6, 7, v5
	s_and_b64 s[20:21], vcc, s[20:21]
	v_cndmask_b32_e64 v5, v5, 0, s[20:21]
	v_or_b32_e32 v36, v5, v4
.LBB2_2902:                             ;   in Loop: Header=BB2_2448 Depth=2
	s_or_b64 exec, exec, s[90:91]
                                        ; implicit-def: $vgpr4
.LBB2_2903:                             ;   in Loop: Header=BB2_2448 Depth=2
	s_andn2_saveexec_b64 s[20:21], s[88:89]
; %bb.2904:                             ;   in Loop: Header=BB2_2448 Depth=2
	v_or_b32_e32 v36, 0x7e, v4
; %bb.2905:                             ;   in Loop: Header=BB2_2448 Depth=2
	s_or_b64 exec, exec, s[20:21]
                                        ; implicit-def: $vgpr5
.LBB2_2906:                             ;   in Loop: Header=BB2_2448 Depth=2
	s_andn2_saveexec_b64 s[20:21], s[78:79]
; %bb.2907:                             ;   in Loop: Header=BB2_2448 Depth=2
	v_or_b32_sdwa v36, v5, s39 dst_sel:DWORD dst_unused:UNUSED_PAD src0_sel:BYTE_3 src1_sel:DWORD
; %bb.2908:                             ;   in Loop: Header=BB2_2448 Depth=2
	s_or_b64 exec, exec, s[20:21]
	v_lshl_or_b32 v4, v35, 8, v41
	v_lshlrev_b32_e32 v5, 16, v37
	v_lshlrev_b32_e32 v6, 24, v38
	v_or3_b32 v28, v5, v6, v4
	v_cmp_ne_u32_e32 vcc, 0, v41
	v_mov_b32_e32 v5, 0
	s_and_saveexec_b64 s[20:21], vcc
	s_cbranch_execz .LBB2_2914
; %bb.2909:                             ;   in Loop: Header=BB2_2448 Depth=2
	v_cmp_ne_u32_e32 vcc, s50, v41
	v_bfrev_b32_e32 v5, 1
	s_and_saveexec_b64 s[78:79], vcc
	s_cbranch_execz .LBB2_2913
; %bb.2910:                             ;   in Loop: Header=BB2_2448 Depth=2
	v_and_b32_e32 v6, 0x7f, v41
	v_cmp_ne_u32_e32 vcc, s39, v6
	v_mov_b32_e32 v5, 0x7f800001
	s_and_saveexec_b64 s[88:89], vcc
	s_cbranch_execz .LBB2_2912
; %bb.2911:                             ;   in Loop: Header=BB2_2448 Depth=2
	v_and_b32_e32 v5, 7, v41
	v_ffbh_u32_e32 v5, v5
	v_min_u32_e32 v5, 32, v5
	v_lshrrev_b32_e32 v7, 3, v6
	v_cmp_gt_u32_e32 vcc, 8, v6
	v_subrev_u32_e32 v6, 28, v5
	v_sub_u32_e32 v5, 29, v5
	v_cndmask_b32_e32 v7, v7, v5, vcc
	v_cndmask_b32_e32 v5, 0, v6, vcc
	v_lshlrev_b64 v[5:6], v5, v[28:29]
	v_lshlrev_b32_e32 v6, 24, v28
	v_lshlrev_b32_e32 v5, 20, v5
	v_and_b32_e32 v5, 0x700000, v5
	v_and_b32_e32 v6, 0x80000000, v6
	v_lshl_add_u32 v7, v7, 23, v57
	v_or3_b32 v5, v6, v7, v5
.LBB2_2912:                             ;   in Loop: Header=BB2_2448 Depth=2
	s_or_b64 exec, exec, s[88:89]
.LBB2_2913:                             ;   in Loop: Header=BB2_2448 Depth=2
	s_or_b64 exec, exec, s[78:79]
.LBB2_2914:                             ;   in Loop: Header=BB2_2448 Depth=2
	s_or_b64 exec, exec, s[20:21]
	v_cmp_gt_i16_sdwa s[78:79], v11, s39 src0_sel:BYTE_0 src1_sel:DWORD
	s_mov_b64 s[20:21], 0
	s_and_saveexec_b64 s[88:89], s[78:79]
	s_xor_b64 s[78:79], exec, s[88:89]
	s_cbranch_execz .LBB2_2918
; %bb.2915:                             ;   in Loop: Header=BB2_2448 Depth=2
	v_cmp_eq_u16_sdwa s[90:91], v11, s50 src0_sel:BYTE_0 src1_sel:DWORD
	s_mov_b64 s[20:21], -1
	s_and_saveexec_b64 s[88:89], s[90:91]
; %bb.2916:                             ;   in Loop: Header=BB2_2448 Depth=2
	s_xor_b64 s[20:21], exec, -1
; %bb.2917:                             ;   in Loop: Header=BB2_2448 Depth=2
	s_or_b64 exec, exec, s[88:89]
	s_and_b64 s[20:21], s[20:21], exec
.LBB2_2918:                             ;   in Loop: Header=BB2_2448 Depth=2
	s_or_saveexec_b64 s[78:79], s[78:79]
	v_bfrev_b32_e32 v6, 1
	s_xor_b64 exec, exec, s[78:79]
; %bb.2919:                             ;   in Loop: Header=BB2_2448 Depth=2
	v_cmp_ne_u16_sdwa s[88:89], v11, v29 src0_sel:BYTE_0 src1_sel:DWORD
	s_andn2_b64 s[20:21], s[20:21], exec
	s_and_b64 s[88:89], s[88:89], exec
	v_mov_b32_e32 v6, 0
	s_or_b64 s[20:21], s[20:21], s[88:89]
; %bb.2920:                             ;   in Loop: Header=BB2_2448 Depth=2
	s_or_b64 exec, exec, s[78:79]
	v_mov_b32_e32 v54, v11
	v_mov_b32_e32 v55, v29
	s_and_saveexec_b64 s[78:79], s[20:21]
	s_cbranch_execz .LBB2_2922
; %bb.2921:                             ;   in Loop: Header=BB2_2448 Depth=2
	v_and_b32_e32 v6, 7, v11
	v_ffbh_u32_e32 v6, v6
	v_and_b32_e32 v8, 0x7f, v11
	v_min_u32_e32 v6, 32, v6
	v_bfe_u32 v7, v11, 3, 4
	v_subrev_u32_e32 v9, 28, v6
	v_sub_u32_e32 v6, 29, v6
	v_cmp_gt_u32_e32 vcc, 8, v8
	v_cndmask_b32_e32 v22, v7, v6, vcc
	v_cndmask_b32_e32 v6, 0, v9, vcc
	v_lshlrev_b64 v[6:7], v6, v[54:55]
	v_lshlrev_b32_e32 v7, 24, v54
	v_lshlrev_b32_e32 v6, 20, v6
	v_and_b32_e32 v6, 0x700000, v6
	v_and_b32_e32 v7, 0x80000000, v7
	v_lshl_add_u32 v9, v22, 23, v57
	v_or3_b32 v6, v7, v9, v6
	v_cmp_ne_u32_e32 vcc, s39, v8
	v_cndmask_b32_e32 v6, v56, v6, vcc
.LBB2_2922:                             ;   in Loop: Header=BB2_2448 Depth=2
	s_or_b64 exec, exec, s[78:79]
	v_add_f32_e32 v22, v5, v6
	v_and_b32_e32 v5, 0x7f800000, v22
	v_mov_b32_e32 v6, v29
	v_cmp_ne_u64_e32 vcc, s[46:47], v[5:6]
                                        ; implicit-def: $vgpr35
	s_and_saveexec_b64 s[20:21], vcc
	s_xor_b64 s[78:79], exec, s[20:21]
	s_cbranch_execz .LBB2_2936
; %bb.2923:                             ;   in Loop: Header=BB2_2448 Depth=2
	v_and_b32_e32 v5, 0x7fffffff, v22
	v_mov_b32_e32 v6, v29
	v_cmp_gt_u64_e32 vcc, s[56:57], v[5:6]
	v_and_b32_sdwa v5, v22, s50 dst_sel:DWORD dst_unused:UNUSED_PAD src0_sel:BYTE_3 src1_sel:DWORD
                                        ; implicit-def: $vgpr35
	s_and_saveexec_b64 s[20:21], vcc
	s_xor_b64 s[88:89], exec, s[20:21]
	s_cbranch_execz .LBB2_2933
; %bb.2924:                             ;   in Loop: Header=BB2_2448 Depth=2
	v_mov_b32_e32 v35, 0
	v_cmp_ne_u32_e32 vcc, 0, v22
	s_and_saveexec_b64 s[90:91], vcc
	s_cbranch_execz .LBB2_2932
; %bb.2925:                             ;   in Loop: Header=BB2_2448 Depth=2
	v_and_b32_e32 v7, 0x7fffff, v22
	v_bfe_u32 v22, v22, 23, 8
	v_cmp_gt_u32_e64 s[20:21], s51, v22
	v_sub_u32_e32 v6, 0x79, v22
	v_cmp_eq_u32_e32 vcc, 0, v22
	v_cndmask_b32_e64 v6, 0, v6, s[20:21]
	v_cndmask_b32_e32 v6, v6, v58, vcc
	v_or_b32_e32 v8, 0x800000, v7
	v_add_u32_e32 v9, 20, v6
	v_cndmask_b32_e32 v7, v8, v7, vcc
	v_mov_b32_e32 v8, v29
	v_lshlrev_b64 v[26:27], v9, -1
	v_add_u32_e32 v9, 19, v6
	v_lshlrev_b64 v[37:38], v9, 1
	v_lshrrev_b64 v[39:40], v6, v[7:8]
	v_bfi_b32 v27, v27, 0, 0
	v_bfi_b32 v26, v26, 0, v7
	v_cmp_eq_u64_e64 s[20:21], v[26:27], v[37:38]
	v_mov_b32_e32 v41, v40
	v_mov_b32_e32 v40, v39
	s_and_saveexec_b64 s[92:93], s[20:21]
; %bb.2926:                             ;   in Loop: Header=BB2_2448 Depth=2
	v_bfe_u32 v7, v39, 20, 1
	v_add_co_u32_e64 v7, s[20:21], v39, v7
	v_add_co_u32_e64 v40, s[20:21], -1, v7
; %bb.2927:                             ;   in Loop: Header=BB2_2448 Depth=2
	s_or_b64 exec, exec, s[92:93]
	v_add_u32_e32 v7, 0xffffff81, v22
	v_cndmask_b32_e32 v7, v7, v59, vcc
	v_lshrrev_b32_e32 v8, 23, v39
	v_add3_u32 v8, v6, v7, v8
	v_add_u32_e32 v7, 6, v8
	v_and_b32_e32 v6, 0xfffff, v40
	v_add_u32_e32 v39, v6, v39
	v_mov_b32_e32 v40, v29
	v_cmp_ne_u32_e32 vcc, 0, v7
                                        ; implicit-def: $vgpr6
	s_and_saveexec_b64 s[20:21], vcc
	s_xor_b64 s[20:21], exec, s[20:21]
; %bb.2928:                             ;   in Loop: Header=BB2_2448 Depth=2
	v_cmp_lt_u64_e32 vcc, s[58:59], v[39:40]
	v_add_u32_e32 v6, 7, v8
	v_cndmask_b32_e32 v6, v7, v6, vcc
	v_cndmask_b32_e64 v7, 0, 1, vcc
	v_lshrrev_b64 v[39:40], v7, v[39:40]
; %bb.2929:                             ;   in Loop: Header=BB2_2448 Depth=2
	s_andn2_saveexec_b64 s[20:21], s[20:21]
; %bb.2930:                             ;   in Loop: Header=BB2_2448 Depth=2
	v_bfe_u32 v6, v39, 23, 1
; %bb.2931:                             ;   in Loop: Header=BB2_2448 Depth=2
	s_or_b64 exec, exec, s[20:21]
	v_lshrrev_b64 v[7:8], 20, v[39:40]
	v_cmp_gt_i32_e32 vcc, 16, v6
	v_cndmask_b32_e32 v8, 0, v8, vcc
	v_cndmask_b32_e32 v7, 7, v7, vcc
	v_cmp_eq_u32_e32 vcc, 0, v6
	v_min_i32_e32 v6, 15, v6
	v_cmp_eq_u64_e64 s[20:21], 0, v[7:8]
	v_lshlrev_b32_e32 v6, 3, v6
	v_and_b32_e32 v6, 0xf8, v6
	v_and_or_b32 v6, v7, 7, v6
	s_and_b64 s[20:21], vcc, s[20:21]
	v_cndmask_b32_e64 v6, v6, 0, s[20:21]
	v_or_b32_e32 v35, v6, v5
.LBB2_2932:                             ;   in Loop: Header=BB2_2448 Depth=2
	s_or_b64 exec, exec, s[90:91]
                                        ; implicit-def: $vgpr5
.LBB2_2933:                             ;   in Loop: Header=BB2_2448 Depth=2
	s_andn2_saveexec_b64 s[20:21], s[88:89]
; %bb.2934:                             ;   in Loop: Header=BB2_2448 Depth=2
	v_or_b32_e32 v35, 0x7e, v5
; %bb.2935:                             ;   in Loop: Header=BB2_2448 Depth=2
	s_or_b64 exec, exec, s[20:21]
                                        ; implicit-def: $vgpr22
.LBB2_2936:                             ;   in Loop: Header=BB2_2448 Depth=2
	s_andn2_saveexec_b64 s[20:21], s[78:79]
; %bb.2937:                             ;   in Loop: Header=BB2_2448 Depth=2
	v_or_b32_sdwa v35, v22, s39 dst_sel:DWORD dst_unused:UNUSED_PAD src0_sel:BYTE_3 src1_sel:DWORD
; %bb.2938:                             ;   in Loop: Header=BB2_2448 Depth=2
	s_or_b64 exec, exec, s[20:21]
	v_lshrrev_b16_e32 v30, 8, v4
	v_cmp_ne_u16_e32 vcc, 0, v30
	v_mov_b32_e32 v5, 0
	s_and_saveexec_b64 s[20:21], vcc
	s_cbranch_execz .LBB2_2944
; %bb.2939:                             ;   in Loop: Header=BB2_2448 Depth=2
	v_cmp_ne_u16_e32 vcc, s50, v30
	v_bfrev_b32_e32 v5, 1
	s_and_saveexec_b64 s[78:79], vcc
	s_cbranch_execz .LBB2_2943
; %bb.2940:                             ;   in Loop: Header=BB2_2448 Depth=2
	v_and_b32_e32 v6, 0x7f, v30
	v_cmp_ne_u32_e32 vcc, s39, v6
	v_mov_b32_e32 v5, 0x7f800001
	s_and_saveexec_b64 s[88:89], vcc
	s_cbranch_execz .LBB2_2942
; %bb.2941:                             ;   in Loop: Header=BB2_2448 Depth=2
	v_and_b32_e32 v7, 7, v30
	v_ffbh_u32_e32 v5, v7
	v_min_u32_e32 v9, 32, v5
	v_subrev_u32_e32 v5, 28, v9
	v_lshrrev_b32_e32 v8, 3, v6
	v_cmp_gt_u32_e32 vcc, 8, v6
	v_lshlrev_b64 v[5:6], v5, v[30:31]
	v_sub_u32_e32 v6, 29, v9
	v_and_b32_e32 v5, 7, v5
	v_cndmask_b32_e32 v6, v8, v6, vcc
	v_cndmask_b32_e32 v5, v7, v5, vcc
	v_lshlrev_b32_e32 v4, 16, v4
	v_lshlrev_b32_e32 v5, 20, v5
	v_and_b32_e32 v4, 0x80000000, v4
	v_lshl_add_u32 v6, v6, 23, v57
	v_or3_b32 v5, v4, v6, v5
.LBB2_2942:                             ;   in Loop: Header=BB2_2448 Depth=2
	s_or_b64 exec, exec, s[88:89]
.LBB2_2943:                             ;   in Loop: Header=BB2_2448 Depth=2
	s_or_b64 exec, exec, s[78:79]
.LBB2_2944:                             ;   in Loop: Header=BB2_2448 Depth=2
	s_or_b64 exec, exec, s[20:21]
	v_lshrrev_b16_e32 v54, 8, v54
	v_cmp_lt_i16_e32 vcc, s39, v54
	s_mov_b64 s[20:21], 0
	s_and_saveexec_b64 s[78:79], vcc
	s_xor_b64 s[78:79], exec, s[78:79]
	s_cbranch_execnz .LBB2_3228
; %bb.2945:                             ;   in Loop: Header=BB2_2448 Depth=2
	s_or_saveexec_b64 s[78:79], s[78:79]
	v_bfrev_b32_e32 v4, 1
	s_xor_b64 exec, exec, s[78:79]
	s_cbranch_execnz .LBB2_3231
.LBB2_2946:                             ;   in Loop: Header=BB2_2448 Depth=2
	s_or_b64 exec, exec, s[78:79]
	s_and_saveexec_b64 s[78:79], s[20:21]
	s_cbranch_execz .LBB2_2948
.LBB2_2947:                             ;   in Loop: Header=BB2_2448 Depth=2
	v_and_b32_e32 v4, 7, v54
	v_ffbh_u32_e32 v6, v4
	v_min_u32_e32 v22, 32, v6
	v_mov_b32_e32 v55, v29
	v_subrev_u32_e32 v6, 28, v22
	v_lshlrev_b64 v[6:7], v6, v[54:55]
	v_and_b32_e32 v8, 0x7f, v54
	v_bfe_u32 v9, v54, 3, 4
	v_sub_u32_e32 v7, 29, v22
	v_and_b32_e32 v6, 7, v6
	v_cmp_gt_u32_e32 vcc, 8, v8
	v_cndmask_b32_e32 v7, v9, v7, vcc
	v_cndmask_b32_e32 v4, v4, v6, vcc
	v_lshlrev_b32_e32 v6, 24, v54
	v_lshlrev_b32_e32 v4, 20, v4
	v_and_b32_e32 v6, 0x80000000, v6
	v_lshl_add_u32 v7, v7, 23, v57
	v_or3_b32 v4, v6, v7, v4
	v_cmp_ne_u32_e32 vcc, s39, v8
	v_cndmask_b32_e32 v4, v56, v4, vcc
.LBB2_2948:                             ;   in Loop: Header=BB2_2448 Depth=2
	s_or_b64 exec, exec, s[78:79]
	v_add_f32_e32 v5, v5, v4
	v_and_b32_e32 v6, 0x7f800000, v5
	v_mov_b32_e32 v7, v29
	v_cmp_ne_u64_e32 vcc, s[46:47], v[6:7]
                                        ; implicit-def: $vgpr37
	s_and_saveexec_b64 s[20:21], vcc
	s_xor_b64 s[78:79], exec, s[20:21]
	s_cbranch_execz .LBB2_2962
; %bb.2949:                             ;   in Loop: Header=BB2_2448 Depth=2
	v_and_b32_e32 v6, 0x7fffffff, v5
	v_mov_b32_e32 v7, v29
	v_cmp_gt_u64_e32 vcc, s[56:57], v[6:7]
	v_and_b32_sdwa v4, v5, s50 dst_sel:DWORD dst_unused:UNUSED_PAD src0_sel:BYTE_3 src1_sel:DWORD
                                        ; implicit-def: $vgpr37
	s_and_saveexec_b64 s[20:21], vcc
	s_xor_b64 s[88:89], exec, s[20:21]
	s_cbranch_execz .LBB2_2959
; %bb.2950:                             ;   in Loop: Header=BB2_2448 Depth=2
	v_mov_b32_e32 v37, 0
	v_cmp_ne_u32_e32 vcc, 0, v5
	s_and_saveexec_b64 s[90:91], vcc
	s_cbranch_execz .LBB2_2958
; %bb.2951:                             ;   in Loop: Header=BB2_2448 Depth=2
	v_and_b32_e32 v7, 0x7fffff, v5
	v_bfe_u32 v5, v5, 23, 8
	v_cmp_gt_u32_e64 s[20:21], s51, v5
	v_sub_u32_e32 v6, 0x79, v5
	v_cmp_eq_u32_e32 vcc, 0, v5
	v_cndmask_b32_e64 v6, 0, v6, s[20:21]
	v_cndmask_b32_e32 v6, v6, v58, vcc
	v_add_u32_e32 v9, 20, v6
	v_or_b32_e32 v8, 0x800000, v7
	v_lshlrev_b64 v[22:23], v9, -1
	v_add_u32_e32 v9, 19, v6
	v_cndmask_b32_e32 v7, v8, v7, vcc
	v_mov_b32_e32 v8, v29
	v_lshlrev_b64 v[26:27], v9, 1
	v_bfi_b32 v23, v23, 0, 0
	v_bfi_b32 v22, v22, 0, v7
	v_lshrrev_b64 v[54:55], v6, v[7:8]
	v_cmp_eq_u64_e64 s[20:21], v[22:23], v[26:27]
	v_mov_b32_e32 v39, v54
	v_mov_b32_e32 v40, v55
	s_and_saveexec_b64 s[92:93], s[20:21]
; %bb.2952:                             ;   in Loop: Header=BB2_2448 Depth=2
	v_bfe_u32 v7, v54, 20, 1
	v_add_co_u32_e64 v7, s[20:21], v54, v7
	v_add_co_u32_e64 v39, s[20:21], -1, v7
; %bb.2953:                             ;   in Loop: Header=BB2_2448 Depth=2
	s_or_b64 exec, exec, s[92:93]
	v_add_u32_e32 v5, 0xffffff81, v5
	v_cndmask_b32_e32 v5, v5, v59, vcc
	v_lshrrev_b32_e32 v7, 23, v54
	v_add3_u32 v7, v6, v5, v7
	v_add_u32_e32 v6, 6, v7
	v_and_b32_e32 v5, 0xfffff, v39
	v_add_u32_e32 v54, v5, v54
	v_mov_b32_e32 v55, v29
	v_cmp_ne_u32_e32 vcc, 0, v6
                                        ; implicit-def: $vgpr5
	s_and_saveexec_b64 s[20:21], vcc
	s_xor_b64 s[20:21], exec, s[20:21]
; %bb.2954:                             ;   in Loop: Header=BB2_2448 Depth=2
	v_cmp_lt_u64_e32 vcc, s[58:59], v[54:55]
	v_add_u32_e32 v5, 7, v7
	v_cndmask_b32_e32 v5, v6, v5, vcc
	v_cndmask_b32_e64 v6, 0, 1, vcc
	v_lshrrev_b64 v[54:55], v6, v[54:55]
; %bb.2955:                             ;   in Loop: Header=BB2_2448 Depth=2
	s_andn2_saveexec_b64 s[20:21], s[20:21]
; %bb.2956:                             ;   in Loop: Header=BB2_2448 Depth=2
	v_bfe_u32 v5, v54, 23, 1
; %bb.2957:                             ;   in Loop: Header=BB2_2448 Depth=2
	s_or_b64 exec, exec, s[20:21]
	v_lshrrev_b64 v[6:7], 20, v[54:55]
	v_cmp_gt_i32_e32 vcc, 16, v5
	v_cndmask_b32_e32 v7, 0, v7, vcc
	v_cndmask_b32_e32 v6, 7, v6, vcc
	v_cmp_eq_u32_e32 vcc, 0, v5
	v_min_i32_e32 v5, 15, v5
	v_cmp_eq_u64_e64 s[20:21], 0, v[6:7]
	v_lshlrev_b32_e32 v5, 3, v5
	v_and_b32_e32 v5, 0xf8, v5
	v_and_or_b32 v5, v6, 7, v5
	s_and_b64 s[20:21], vcc, s[20:21]
	v_cndmask_b32_e64 v5, v5, 0, s[20:21]
	v_or_b32_e32 v37, v5, v4
.LBB2_2958:                             ;   in Loop: Header=BB2_2448 Depth=2
	s_or_b64 exec, exec, s[90:91]
                                        ; implicit-def: $vgpr4
.LBB2_2959:                             ;   in Loop: Header=BB2_2448 Depth=2
	s_andn2_saveexec_b64 s[20:21], s[88:89]
; %bb.2960:                             ;   in Loop: Header=BB2_2448 Depth=2
	v_or_b32_e32 v37, 0x7e, v4
; %bb.2961:                             ;   in Loop: Header=BB2_2448 Depth=2
	s_or_b64 exec, exec, s[20:21]
                                        ; implicit-def: $vgpr5
.LBB2_2962:                             ;   in Loop: Header=BB2_2448 Depth=2
	s_andn2_saveexec_b64 s[20:21], s[78:79]
; %bb.2963:                             ;   in Loop: Header=BB2_2448 Depth=2
	v_or_b32_sdwa v37, v5, s39 dst_sel:DWORD dst_unused:UNUSED_PAD src0_sel:BYTE_3 src1_sel:DWORD
; %bb.2964:                             ;   in Loop: Header=BB2_2448 Depth=2
	s_or_b64 exec, exec, s[20:21]
	v_lshrrev_b32_e32 v30, 16, v28
	v_cmp_ne_u16_sdwa s[78:79], v30, v29 src0_sel:BYTE_0 src1_sel:DWORD
	v_mov_b32_e32 v4, 0
	s_and_saveexec_b64 s[20:21], s[78:79]
	s_cbranch_execz .LBB2_2970
; %bb.2965:                             ;   in Loop: Header=BB2_2448 Depth=2
	v_cmp_ne_u16_sdwa s[88:89], v30, s50 src0_sel:BYTE_0 src1_sel:DWORD
	v_bfrev_b32_e32 v4, 1
	s_and_saveexec_b64 s[78:79], s[88:89]
	s_cbranch_execz .LBB2_2969
; %bb.2966:                             ;   in Loop: Header=BB2_2448 Depth=2
	v_bfe_u32 v5, v28, 16, 7
	v_cmp_ne_u32_e32 vcc, s39, v5
	v_mov_b32_e32 v4, 0x7f800001
	s_and_saveexec_b64 s[88:89], vcc
	s_cbranch_execz .LBB2_2968
; %bb.2967:                             ;   in Loop: Header=BB2_2448 Depth=2
	v_and_b32_e32 v6, 7, v30
	v_ffbh_u32_e32 v4, v6
	v_min_u32_e32 v8, 32, v4
	v_subrev_u32_e32 v4, 28, v8
	v_lshrrev_b32_e32 v7, 3, v5
	v_cmp_gt_u32_e32 vcc, 8, v5
	v_lshlrev_b64 v[4:5], v4, v[30:31]
	v_sub_u32_e32 v5, 29, v8
	v_and_b32_e32 v4, 7, v4
	v_cndmask_b32_e32 v5, v7, v5, vcc
	v_cndmask_b32_e32 v4, v6, v4, vcc
	v_lshlrev_b32_e32 v6, 24, v30
	v_lshlrev_b32_e32 v4, 20, v4
	v_and_b32_e32 v6, 0x80000000, v6
	v_lshl_add_u32 v5, v5, 23, v57
	v_or3_b32 v4, v6, v5, v4
.LBB2_2968:                             ;   in Loop: Header=BB2_2448 Depth=2
	s_or_b64 exec, exec, s[88:89]
.LBB2_2969:                             ;   in Loop: Header=BB2_2448 Depth=2
	s_or_b64 exec, exec, s[78:79]
.LBB2_2970:                             ;   in Loop: Header=BB2_2448 Depth=2
	s_or_b64 exec, exec, s[20:21]
	v_lshrrev_b32_e32 v30, 16, v11
	v_cmp_gt_i16_sdwa s[78:79], v30, s39 src0_sel:BYTE_0 src1_sel:DWORD
	s_mov_b64 s[20:21], 0
	s_and_saveexec_b64 s[88:89], s[78:79]
	s_xor_b64 s[78:79], exec, s[88:89]
	s_cbranch_execnz .LBB2_3232
; %bb.2971:                             ;   in Loop: Header=BB2_2448 Depth=2
	s_or_saveexec_b64 s[78:79], s[78:79]
	v_bfrev_b32_e32 v5, 1
	s_xor_b64 exec, exec, s[78:79]
	s_cbranch_execnz .LBB2_3235
.LBB2_2972:                             ;   in Loop: Header=BB2_2448 Depth=2
	s_or_b64 exec, exec, s[78:79]
	s_and_saveexec_b64 s[78:79], s[20:21]
	s_cbranch_execz .LBB2_2974
.LBB2_2973:                             ;   in Loop: Header=BB2_2448 Depth=2
	v_and_b32_e32 v7, 7, v30
	v_ffbh_u32_e32 v5, v7
	v_min_u32_e32 v22, 32, v5
	v_subrev_u32_e32 v5, 28, v22
	v_lshlrev_b64 v[5:6], v5, v[30:31]
	v_and_b32_e32 v8, 0x7f, v30
	v_bfe_u32 v9, v30, 3, 4
	v_sub_u32_e32 v6, 29, v22
	v_and_b32_e32 v5, 7, v5
	v_cmp_gt_u32_e32 vcc, 8, v8
	v_cndmask_b32_e32 v6, v9, v6, vcc
	v_cndmask_b32_e32 v5, v7, v5, vcc
	v_lshlrev_b32_e32 v7, 24, v30
	v_lshlrev_b32_e32 v5, 20, v5
	v_and_b32_e32 v7, 0x80000000, v7
	v_lshl_add_u32 v6, v6, 23, v57
	v_or3_b32 v5, v7, v6, v5
	v_cmp_ne_u32_e32 vcc, s39, v8
	v_cndmask_b32_e32 v5, v56, v5, vcc
.LBB2_2974:                             ;   in Loop: Header=BB2_2448 Depth=2
	s_or_b64 exec, exec, s[78:79]
	v_add_f32_e32 v5, v4, v5
	v_and_b32_e32 v6, 0x7f800000, v5
	v_mov_b32_e32 v7, v29
	v_cmp_ne_u64_e32 vcc, s[46:47], v[6:7]
                                        ; implicit-def: $vgpr38
	s_and_saveexec_b64 s[20:21], vcc
	s_xor_b64 s[78:79], exec, s[20:21]
	s_cbranch_execz .LBB2_2988
; %bb.2975:                             ;   in Loop: Header=BB2_2448 Depth=2
	v_and_b32_e32 v6, 0x7fffffff, v5
	v_mov_b32_e32 v7, v29
	v_cmp_gt_u64_e32 vcc, s[56:57], v[6:7]
	v_and_b32_sdwa v4, v5, s50 dst_sel:DWORD dst_unused:UNUSED_PAD src0_sel:BYTE_3 src1_sel:DWORD
                                        ; implicit-def: $vgpr38
	s_and_saveexec_b64 s[20:21], vcc
	s_xor_b64 s[88:89], exec, s[20:21]
	s_cbranch_execz .LBB2_2985
; %bb.2976:                             ;   in Loop: Header=BB2_2448 Depth=2
	v_mov_b32_e32 v38, 0
	v_cmp_ne_u32_e32 vcc, 0, v5
	s_and_saveexec_b64 s[90:91], vcc
	s_cbranch_execz .LBB2_2984
; %bb.2977:                             ;   in Loop: Header=BB2_2448 Depth=2
	v_and_b32_e32 v7, 0x7fffff, v5
	v_bfe_u32 v5, v5, 23, 8
	v_cmp_gt_u32_e64 s[20:21], s51, v5
	v_sub_u32_e32 v6, 0x79, v5
	v_cmp_eq_u32_e32 vcc, 0, v5
	v_cndmask_b32_e64 v6, 0, v6, s[20:21]
	v_cndmask_b32_e32 v6, v6, v58, vcc
	v_add_u32_e32 v9, 20, v6
	v_or_b32_e32 v8, 0x800000, v7
	v_lshlrev_b64 v[22:23], v9, -1
	v_add_u32_e32 v9, 19, v6
	v_cndmask_b32_e32 v7, v8, v7, vcc
	v_mov_b32_e32 v8, v29
	v_lshlrev_b64 v[26:27], v9, 1
	v_bfi_b32 v23, v23, 0, 0
	v_bfi_b32 v22, v22, 0, v7
	v_lshrrev_b64 v[54:55], v6, v[7:8]
	v_cmp_eq_u64_e64 s[20:21], v[22:23], v[26:27]
	v_mov_b32_e32 v39, v54
	v_mov_b32_e32 v40, v55
	s_and_saveexec_b64 s[92:93], s[20:21]
; %bb.2978:                             ;   in Loop: Header=BB2_2448 Depth=2
	v_bfe_u32 v7, v54, 20, 1
	v_add_co_u32_e64 v7, s[20:21], v54, v7
	v_add_co_u32_e64 v39, s[20:21], -1, v7
; %bb.2979:                             ;   in Loop: Header=BB2_2448 Depth=2
	s_or_b64 exec, exec, s[92:93]
	v_add_u32_e32 v5, 0xffffff81, v5
	v_cndmask_b32_e32 v5, v5, v59, vcc
	v_lshrrev_b32_e32 v7, 23, v54
	v_add3_u32 v7, v6, v5, v7
	v_add_u32_e32 v6, 6, v7
	v_and_b32_e32 v5, 0xfffff, v39
	v_add_u32_e32 v54, v5, v54
	v_mov_b32_e32 v55, v29
	v_cmp_ne_u32_e32 vcc, 0, v6
                                        ; implicit-def: $vgpr5
	s_and_saveexec_b64 s[20:21], vcc
	s_xor_b64 s[20:21], exec, s[20:21]
; %bb.2980:                             ;   in Loop: Header=BB2_2448 Depth=2
	v_cmp_lt_u64_e32 vcc, s[58:59], v[54:55]
	v_add_u32_e32 v5, 7, v7
	v_cndmask_b32_e32 v5, v6, v5, vcc
	v_cndmask_b32_e64 v6, 0, 1, vcc
	v_lshrrev_b64 v[54:55], v6, v[54:55]
; %bb.2981:                             ;   in Loop: Header=BB2_2448 Depth=2
	s_andn2_saveexec_b64 s[20:21], s[20:21]
; %bb.2982:                             ;   in Loop: Header=BB2_2448 Depth=2
	v_bfe_u32 v5, v54, 23, 1
; %bb.2983:                             ;   in Loop: Header=BB2_2448 Depth=2
	s_or_b64 exec, exec, s[20:21]
	v_lshrrev_b64 v[6:7], 20, v[54:55]
	v_cmp_gt_i32_e32 vcc, 16, v5
	v_cndmask_b32_e32 v7, 0, v7, vcc
	v_cndmask_b32_e32 v6, 7, v6, vcc
	v_cmp_eq_u32_e32 vcc, 0, v5
	v_min_i32_e32 v5, 15, v5
	v_cmp_eq_u64_e64 s[20:21], 0, v[6:7]
	v_lshlrev_b32_e32 v5, 3, v5
	v_and_b32_e32 v5, 0xf8, v5
	v_and_or_b32 v5, v6, 7, v5
	s_and_b64 s[20:21], vcc, s[20:21]
	v_cndmask_b32_e64 v5, v5, 0, s[20:21]
	v_or_b32_e32 v38, v5, v4
.LBB2_2984:                             ;   in Loop: Header=BB2_2448 Depth=2
	s_or_b64 exec, exec, s[90:91]
                                        ; implicit-def: $vgpr4
.LBB2_2985:                             ;   in Loop: Header=BB2_2448 Depth=2
	s_andn2_saveexec_b64 s[20:21], s[88:89]
; %bb.2986:                             ;   in Loop: Header=BB2_2448 Depth=2
	v_or_b32_e32 v38, 0x7e, v4
; %bb.2987:                             ;   in Loop: Header=BB2_2448 Depth=2
	s_or_b64 exec, exec, s[20:21]
                                        ; implicit-def: $vgpr5
.LBB2_2988:                             ;   in Loop: Header=BB2_2448 Depth=2
	s_andn2_saveexec_b64 s[20:21], s[78:79]
; %bb.2989:                             ;   in Loop: Header=BB2_2448 Depth=2
	v_or_b32_sdwa v38, v5, s39 dst_sel:DWORD dst_unused:UNUSED_PAD src0_sel:BYTE_3 src1_sel:DWORD
; %bb.2990:                             ;   in Loop: Header=BB2_2448 Depth=2
	s_or_b64 exec, exec, s[20:21]
	v_cmp_lt_u32_e32 vcc, s61, v28
	v_mov_b32_e32 v4, 0
	s_and_saveexec_b64 s[20:21], vcc
	s_cbranch_execz .LBB2_2996
; %bb.2991:                             ;   in Loop: Header=BB2_2448 Depth=2
	v_lshrrev_b32_e32 v30, 24, v28
	v_cmp_ne_u32_sdwa s[88:89], v28, s50 src0_sel:BYTE_3 src1_sel:DWORD
	v_bfrev_b32_e32 v4, 1
	s_and_saveexec_b64 s[78:79], s[88:89]
	s_cbranch_execz .LBB2_2995
; %bb.2992:                             ;   in Loop: Header=BB2_2448 Depth=2
	v_bfe_u32 v5, v28, 24, 7
	v_cmp_ne_u32_e32 vcc, s39, v5
	v_mov_b32_e32 v4, 0x7f800001
	s_and_saveexec_b64 s[88:89], vcc
	s_cbranch_execz .LBB2_2994
; %bb.2993:                             ;   in Loop: Header=BB2_2448 Depth=2
	v_and_b32_e32 v6, 7, v30
	v_ffbh_u32_e32 v4, v6
	v_min_u32_e32 v8, 32, v4
	v_subrev_u32_e32 v4, 28, v8
	v_lshrrev_b32_e32 v7, 3, v5
	v_cmp_gt_u32_e32 vcc, 8, v5
	v_lshlrev_b64 v[4:5], v4, v[30:31]
	v_sub_u32_e32 v5, 29, v8
	v_and_b32_e32 v4, 7, v4
	v_cndmask_b32_e32 v4, v6, v4, vcc
	v_mov_b32_e32 v6, 24
	v_cndmask_b32_e32 v5, v7, v5, vcc
	v_lshlrev_b32_sdwa v6, v6, v28 dst_sel:DWORD dst_unused:UNUSED_PAD src0_sel:DWORD src1_sel:BYTE_3
	v_lshlrev_b32_e32 v4, 20, v4
	v_and_b32_e32 v6, 0x80000000, v6
	v_lshl_add_u32 v5, v5, 23, v57
	v_or3_b32 v4, v6, v5, v4
.LBB2_2994:                             ;   in Loop: Header=BB2_2448 Depth=2
	s_or_b64 exec, exec, s[88:89]
.LBB2_2995:                             ;   in Loop: Header=BB2_2448 Depth=2
	s_or_b64 exec, exec, s[78:79]
.LBB2_2996:                             ;   in Loop: Header=BB2_2448 Depth=2
	s_or_b64 exec, exec, s[20:21]
	v_bfe_u32 v8, v11, 24, 3
	v_ffbh_u32_e32 v6, v8
	v_min_u32_e32 v23, 32, v6
	v_lshrrev_b32_e32 v5, 24, v11
	v_subrev_u32_e32 v6, 28, v23
	v_lshlrev_b64 v[6:7], v6, v[5:6]
	v_bfe_u32 v9, v11, 24, 7
	v_bfe_u32 v22, v5, 3, 4
	v_sub_u32_e32 v7, 29, v23
	v_and_b32_e32 v6, 7, v6
	v_cmp_gt_u32_e32 vcc, 8, v9
	v_cndmask_b32_e32 v7, v22, v7, vcc
	v_cndmask_b32_e32 v6, v8, v6, vcc
	v_lshlrev_b32_e32 v6, 20, v6
	v_and_b32_e32 v8, 0x80000000, v11
	v_lshl_add_u32 v7, v7, 23, v57
	v_or3_b32 v6, v8, v7, v6
	v_cmp_ne_u32_e32 vcc, s39, v9
	v_cndmask_b32_e32 v6, v56, v6, vcc
	v_cmp_ne_u32_e32 vcc, s50, v5
	v_cndmask_b32_e32 v5, v61, v6, vcc
	v_cmp_lt_u64_e32 vcc, s[60:61], v[10:11]
                                        ; implicit-def: $vgpr30
	v_cndmask_b32_e32 v5, 0, v5, vcc
	v_add_f32_e32 v5, v5, v4
	v_and_b32_e32 v28, 0x7f800000, v5
	v_cmp_ne_u64_e32 vcc, s[46:47], v[28:29]
	s_and_saveexec_b64 s[20:21], vcc
	s_xor_b64 s[78:79], exec, s[20:21]
	s_cbranch_execz .LBB2_3010
; %bb.2997:                             ;   in Loop: Header=BB2_2448 Depth=2
	v_and_b32_e32 v28, 0x7fffffff, v5
	v_cmp_gt_u64_e32 vcc, s[56:57], v[28:29]
	v_and_b32_sdwa v4, v5, s50 dst_sel:DWORD dst_unused:UNUSED_PAD src0_sel:BYTE_3 src1_sel:DWORD
                                        ; implicit-def: $vgpr30
	s_and_saveexec_b64 s[20:21], vcc
	s_xor_b64 s[88:89], exec, s[20:21]
	s_cbranch_execz .LBB2_3007
; %bb.2998:                             ;   in Loop: Header=BB2_2448 Depth=2
	v_mov_b32_e32 v30, 0
	v_cmp_ne_u32_e32 vcc, 0, v5
	s_and_saveexec_b64 s[90:91], vcc
	s_cbranch_execz .LBB2_3006
; %bb.2999:                             ;   in Loop: Header=BB2_2448 Depth=2
	v_and_b32_e32 v7, 0x7fffff, v5
	v_bfe_u32 v5, v5, 23, 8
	v_cmp_gt_u32_e64 s[20:21], s51, v5
	v_sub_u32_e32 v6, 0x79, v5
	v_cmp_eq_u32_e32 vcc, 0, v5
	v_cndmask_b32_e64 v6, 0, v6, s[20:21]
	v_or_b32_e32 v8, 0x800000, v7
	v_cndmask_b32_e32 v6, v6, v58, vcc
	v_cndmask_b32_e32 v28, v8, v7, vcc
	v_add_u32_e32 v7, 20, v6
	v_lshlrev_b64 v[7:8], v7, -1
	v_add_u32_e32 v9, 19, v6
	v_lshlrev_b64 v[9:10], v9, 1
	v_bfi_b32 v8, v8, 0, 0
	v_bfi_b32 v7, v7, 0, v28
	v_cmp_eq_u64_e64 s[20:21], v[7:8], v[9:10]
	v_lshrrev_b64 v[10:11], v6, v[28:29]
	v_mov_b32_e32 v55, v11
	v_mov_b32_e32 v54, v10
	s_and_saveexec_b64 s[92:93], s[20:21]
; %bb.3000:                             ;   in Loop: Header=BB2_2448 Depth=2
	v_bfe_u32 v7, v10, 20, 1
	v_add_co_u32_e64 v7, s[20:21], v10, v7
	v_add_co_u32_e64 v54, s[20:21], -1, v7
; %bb.3001:                             ;   in Loop: Header=BB2_2448 Depth=2
	s_or_b64 exec, exec, s[92:93]
	v_add_u32_e32 v5, 0xffffff81, v5
	v_cndmask_b32_e32 v5, v5, v59, vcc
	v_lshrrev_b32_e32 v7, 23, v10
	v_add3_u32 v7, v6, v5, v7
	v_add_u32_e32 v6, 6, v7
	v_and_b32_e32 v5, 0xfffff, v54
	v_add_u32_e32 v28, v5, v10
	v_cmp_ne_u32_e32 vcc, 0, v6
                                        ; implicit-def: $vgpr10_vgpr11
                                        ; implicit-def: $vgpr5
	s_and_saveexec_b64 s[20:21], vcc
	s_xor_b64 s[20:21], exec, s[20:21]
; %bb.3002:                             ;   in Loop: Header=BB2_2448 Depth=2
	v_cmp_lt_u64_e32 vcc, s[58:59], v[28:29]
	v_add_u32_e32 v5, 7, v7
	v_cndmask_b32_e32 v5, v6, v5, vcc
	v_cndmask_b32_e64 v6, 0, 1, vcc
	v_lshrrev_b64 v[10:11], v6, v[28:29]
; %bb.3003:                             ;   in Loop: Header=BB2_2448 Depth=2
	s_andn2_saveexec_b64 s[20:21], s[20:21]
; %bb.3004:                             ;   in Loop: Header=BB2_2448 Depth=2
	v_mov_b32_e32 v10, v28
	v_bfe_u32 v5, v28, 23, 1
	v_mov_b32_e32 v11, v29
; %bb.3005:                             ;   in Loop: Header=BB2_2448 Depth=2
	s_or_b64 exec, exec, s[20:21]
	v_lshrrev_b64 v[6:7], 20, v[10:11]
	v_cmp_gt_i32_e32 vcc, 16, v5
	v_cndmask_b32_e32 v7, 0, v7, vcc
	v_cndmask_b32_e32 v6, 7, v6, vcc
	v_cmp_eq_u32_e32 vcc, 0, v5
	v_min_i32_e32 v5, 15, v5
	v_cmp_eq_u64_e64 s[20:21], 0, v[6:7]
	v_lshlrev_b32_e32 v5, 3, v5
	v_and_b32_e32 v5, 0xf8, v5
	v_and_or_b32 v5, v6, 7, v5
	s_and_b64 s[20:21], vcc, s[20:21]
	v_cndmask_b32_e64 v5, v5, 0, s[20:21]
	v_or_b32_e32 v30, v5, v4
.LBB2_3006:                             ;   in Loop: Header=BB2_2448 Depth=2
	s_or_b64 exec, exec, s[90:91]
                                        ; implicit-def: $vgpr4
.LBB2_3007:                             ;   in Loop: Header=BB2_2448 Depth=2
	s_andn2_saveexec_b64 s[20:21], s[88:89]
; %bb.3008:                             ;   in Loop: Header=BB2_2448 Depth=2
	v_or_b32_e32 v30, 0x7e, v4
; %bb.3009:                             ;   in Loop: Header=BB2_2448 Depth=2
	s_or_b64 exec, exec, s[20:21]
                                        ; implicit-def: $vgpr5
.LBB2_3010:                             ;   in Loop: Header=BB2_2448 Depth=2
	s_andn2_saveexec_b64 s[20:21], s[78:79]
; %bb.3011:                             ;   in Loop: Header=BB2_2448 Depth=2
	v_or_b32_sdwa v30, v5, s39 dst_sel:DWORD dst_unused:UNUSED_PAD src0_sel:BYTE_3 src1_sel:DWORD
; %bb.3012:                             ;   in Loop: Header=BB2_2448 Depth=2
	s_or_b64 exec, exec, s[20:21]
	v_lshl_or_b32 v4, v31, 8, v15
	v_lshlrev_b32_e32 v5, 16, v21
	v_lshlrev_b32_e32 v6, 24, v44
	v_or3_b32 v28, v5, v6, v4
	v_cmp_ne_u32_e32 vcc, 0, v15
	v_mov_b32_e32 v5, 0
	s_and_saveexec_b64 s[20:21], vcc
	s_cbranch_execz .LBB2_3018
; %bb.3013:                             ;   in Loop: Header=BB2_2448 Depth=2
	v_cmp_ne_u32_e32 vcc, s50, v15
	v_bfrev_b32_e32 v5, 1
	s_and_saveexec_b64 s[78:79], vcc
	s_cbranch_execz .LBB2_3017
; %bb.3014:                             ;   in Loop: Header=BB2_2448 Depth=2
	v_and_b32_e32 v6, 0x7f, v15
	v_cmp_ne_u32_e32 vcc, s39, v6
	v_mov_b32_e32 v5, 0x7f800001
	s_and_saveexec_b64 s[88:89], vcc
	s_cbranch_execz .LBB2_3016
; %bb.3015:                             ;   in Loop: Header=BB2_2448 Depth=2
	v_and_b32_e32 v5, 7, v15
	v_ffbh_u32_e32 v5, v5
	v_min_u32_e32 v5, 32, v5
	v_lshrrev_b32_e32 v7, 3, v6
	v_cmp_gt_u32_e32 vcc, 8, v6
	v_subrev_u32_e32 v6, 28, v5
	v_sub_u32_e32 v5, 29, v5
	v_cndmask_b32_e32 v7, v7, v5, vcc
	v_cndmask_b32_e32 v5, 0, v6, vcc
	v_lshlrev_b64 v[5:6], v5, v[28:29]
	v_lshlrev_b32_e32 v6, 24, v28
	v_lshlrev_b32_e32 v5, 20, v5
	v_and_b32_e32 v5, 0x700000, v5
	v_and_b32_e32 v6, 0x80000000, v6
	v_lshl_add_u32 v7, v7, 23, v57
	v_or3_b32 v5, v6, v7, v5
.LBB2_3016:                             ;   in Loop: Header=BB2_2448 Depth=2
	s_or_b64 exec, exec, s[88:89]
.LBB2_3017:                             ;   in Loop: Header=BB2_2448 Depth=2
	s_or_b64 exec, exec, s[78:79]
.LBB2_3018:                             ;   in Loop: Header=BB2_2448 Depth=2
	s_or_b64 exec, exec, s[20:21]
	v_cmp_gt_i16_sdwa s[78:79], v12, s39 src0_sel:BYTE_0 src1_sel:DWORD
	s_mov_b64 s[20:21], 0
	s_and_saveexec_b64 s[88:89], s[78:79]
	s_xor_b64 s[78:79], exec, s[88:89]
	s_cbranch_execnz .LBB2_3236
; %bb.3019:                             ;   in Loop: Header=BB2_2448 Depth=2
	s_or_saveexec_b64 s[78:79], s[78:79]
	v_bfrev_b32_e32 v6, 1
	s_xor_b64 exec, exec, s[78:79]
	s_cbranch_execnz .LBB2_3239
.LBB2_3020:                             ;   in Loop: Header=BB2_2448 Depth=2
	s_or_b64 exec, exec, s[78:79]
	s_and_saveexec_b64 s[78:79], s[20:21]
	s_cbranch_execz .LBB2_3022
.LBB2_3021:                             ;   in Loop: Header=BB2_2448 Depth=2
	v_and_b32_e32 v6, 7, v12
	v_ffbh_u32_e32 v6, v6
	v_and_b32_e32 v8, 0x7f, v12
	v_min_u32_e32 v6, 32, v6
	v_bfe_u32 v7, v12, 3, 4
	v_subrev_u32_e32 v9, 28, v6
	v_sub_u32_e32 v6, 29, v6
	v_cmp_gt_u32_e32 vcc, 8, v8
	v_cndmask_b32_e32 v10, v7, v6, vcc
	v_cndmask_b32_e32 v6, 0, v9, vcc
	v_lshlrev_b64 v[6:7], v6, v[12:13]
	v_lshlrev_b32_e32 v7, 24, v12
	v_lshlrev_b32_e32 v6, 20, v6
	v_and_b32_e32 v6, 0x700000, v6
	v_and_b32_e32 v7, 0x80000000, v7
	v_lshl_add_u32 v9, v10, 23, v57
	v_or3_b32 v6, v7, v9, v6
	v_cmp_ne_u32_e32 vcc, s39, v8
	v_cndmask_b32_e32 v6, v56, v6, vcc
.LBB2_3022:                             ;   in Loop: Header=BB2_2448 Depth=2
	s_or_b64 exec, exec, s[78:79]
	v_add_f32_e32 v10, v5, v6
	v_and_b32_e32 v5, 0x7f800000, v10
	v_mov_b32_e32 v6, v29
	v_cmp_ne_u64_e32 vcc, s[46:47], v[5:6]
                                        ; implicit-def: $vgpr15
	s_and_saveexec_b64 s[20:21], vcc
	s_xor_b64 s[78:79], exec, s[20:21]
	s_cbranch_execz .LBB2_3036
; %bb.3023:                             ;   in Loop: Header=BB2_2448 Depth=2
	v_and_b32_e32 v5, 0x7fffffff, v10
	v_mov_b32_e32 v6, v29
	v_cmp_gt_u64_e32 vcc, s[56:57], v[5:6]
	v_and_b32_sdwa v5, v10, s50 dst_sel:DWORD dst_unused:UNUSED_PAD src0_sel:BYTE_3 src1_sel:DWORD
                                        ; implicit-def: $vgpr15
	s_and_saveexec_b64 s[20:21], vcc
	s_xor_b64 s[88:89], exec, s[20:21]
	s_cbranch_execz .LBB2_3033
; %bb.3024:                             ;   in Loop: Header=BB2_2448 Depth=2
	v_mov_b32_e32 v15, 0
	v_cmp_ne_u32_e32 vcc, 0, v10
	s_and_saveexec_b64 s[90:91], vcc
	s_cbranch_execz .LBB2_3032
; %bb.3025:                             ;   in Loop: Header=BB2_2448 Depth=2
	v_bfe_u32 v15, v10, 23, 8
	v_cmp_gt_u32_e64 s[20:21], s51, v15
	v_sub_u32_e32 v6, 0x79, v15
	v_cmp_eq_u32_e32 vcc, 0, v15
	v_cndmask_b32_e64 v6, 0, v6, s[20:21]
	v_cndmask_b32_e32 v6, v6, v58, vcc
	v_and_b32_e32 v7, 0x7fffff, v10
	v_add_u32_e32 v9, 20, v6
	v_or_b32_e32 v8, 0x800000, v7
	v_lshlrev_b64 v[9:10], v9, -1
	v_add_u32_e32 v11, 19, v6
	v_cndmask_b32_e32 v7, v8, v7, vcc
	v_lshlrev_b64 v[21:22], v11, 1
	v_mov_b32_e32 v8, v29
	v_bfi_b32 v10, v10, 0, 0
	v_bfi_b32 v9, v9, 0, v7
	v_cmp_eq_u64_e64 s[20:21], v[9:10], v[21:22]
	v_lshrrev_b64 v[10:11], v6, v[7:8]
	v_mov_b32_e32 v55, v11
	v_mov_b32_e32 v54, v10
	s_and_saveexec_b64 s[92:93], s[20:21]
; %bb.3026:                             ;   in Loop: Header=BB2_2448 Depth=2
	v_bfe_u32 v7, v10, 20, 1
	v_add_co_u32_e64 v7, s[20:21], v10, v7
	v_add_co_u32_e64 v54, s[20:21], -1, v7
; %bb.3027:                             ;   in Loop: Header=BB2_2448 Depth=2
	s_or_b64 exec, exec, s[92:93]
	v_add_u32_e32 v7, 0xffffff81, v15
	v_cndmask_b32_e32 v7, v7, v59, vcc
	v_lshrrev_b32_e32 v8, 23, v10
	v_add3_u32 v8, v6, v7, v8
	v_add_u32_e32 v7, 6, v8
	v_and_b32_e32 v6, 0xfffff, v54
	v_add_u32_e32 v10, v6, v10
	v_mov_b32_e32 v11, v29
	v_cmp_ne_u32_e32 vcc, 0, v7
                                        ; implicit-def: $vgpr6
	s_and_saveexec_b64 s[20:21], vcc
	s_xor_b64 s[20:21], exec, s[20:21]
; %bb.3028:                             ;   in Loop: Header=BB2_2448 Depth=2
	v_cmp_lt_u64_e32 vcc, s[58:59], v[10:11]
	v_add_u32_e32 v6, 7, v8
	v_cndmask_b32_e32 v6, v7, v6, vcc
	v_cndmask_b32_e64 v7, 0, 1, vcc
	v_lshrrev_b64 v[10:11], v7, v[10:11]
; %bb.3029:                             ;   in Loop: Header=BB2_2448 Depth=2
	s_andn2_saveexec_b64 s[20:21], s[20:21]
; %bb.3030:                             ;   in Loop: Header=BB2_2448 Depth=2
	v_bfe_u32 v6, v10, 23, 1
; %bb.3031:                             ;   in Loop: Header=BB2_2448 Depth=2
	s_or_b64 exec, exec, s[20:21]
	v_lshrrev_b64 v[7:8], 20, v[10:11]
	v_cmp_gt_i32_e32 vcc, 16, v6
	v_cndmask_b32_e32 v8, 0, v8, vcc
	v_cndmask_b32_e32 v7, 7, v7, vcc
	v_cmp_eq_u32_e32 vcc, 0, v6
	v_min_i32_e32 v6, 15, v6
	v_cmp_eq_u64_e64 s[20:21], 0, v[7:8]
	v_lshlrev_b32_e32 v6, 3, v6
	v_and_b32_e32 v6, 0xf8, v6
	v_and_or_b32 v6, v7, 7, v6
	s_and_b64 s[20:21], vcc, s[20:21]
	v_cndmask_b32_e64 v6, v6, 0, s[20:21]
	v_or_b32_e32 v15, v6, v5
.LBB2_3032:                             ;   in Loop: Header=BB2_2448 Depth=2
	s_or_b64 exec, exec, s[90:91]
                                        ; implicit-def: $vgpr5
.LBB2_3033:                             ;   in Loop: Header=BB2_2448 Depth=2
	s_andn2_saveexec_b64 s[20:21], s[88:89]
; %bb.3034:                             ;   in Loop: Header=BB2_2448 Depth=2
	v_or_b32_e32 v15, 0x7e, v5
; %bb.3035:                             ;   in Loop: Header=BB2_2448 Depth=2
	s_or_b64 exec, exec, s[20:21]
                                        ; implicit-def: $vgpr10
.LBB2_3036:                             ;   in Loop: Header=BB2_2448 Depth=2
	s_andn2_saveexec_b64 s[20:21], s[78:79]
; %bb.3037:                             ;   in Loop: Header=BB2_2448 Depth=2
	v_or_b32_sdwa v15, v10, s39 dst_sel:DWORD dst_unused:UNUSED_PAD src0_sel:BYTE_3 src1_sel:DWORD
; %bb.3038:                             ;   in Loop: Header=BB2_2448 Depth=2
	s_or_b64 exec, exec, s[20:21]
	v_lshrrev_b16_e32 v10, 8, v4
	v_cmp_ne_u16_e32 vcc, 0, v10
	v_mov_b32_e32 v5, 0
	s_and_saveexec_b64 s[20:21], vcc
	s_cbranch_execz .LBB2_3044
; %bb.3039:                             ;   in Loop: Header=BB2_2448 Depth=2
	v_cmp_ne_u16_e32 vcc, s50, v10
	v_bfrev_b32_e32 v5, 1
	s_and_saveexec_b64 s[78:79], vcc
	s_cbranch_execz .LBB2_3043
; %bb.3040:                             ;   in Loop: Header=BB2_2448 Depth=2
	v_and_b32_e32 v6, 0x7f, v10
	v_cmp_ne_u32_e32 vcc, s39, v6
	v_mov_b32_e32 v5, 0x7f800001
	s_and_saveexec_b64 s[88:89], vcc
	s_cbranch_execz .LBB2_3042
; %bb.3041:                             ;   in Loop: Header=BB2_2448 Depth=2
	v_and_b32_e32 v7, 7, v10
	v_ffbh_u32_e32 v5, v7
	v_min_u32_e32 v9, 32, v5
	v_subrev_u32_e32 v5, 28, v9
	v_lshrrev_b32_e32 v8, 3, v6
	v_cmp_gt_u32_e32 vcc, 8, v6
	v_lshlrev_b64 v[5:6], v5, v[10:11]
	v_sub_u32_e32 v6, 29, v9
	v_and_b32_e32 v5, 7, v5
	v_cndmask_b32_e32 v6, v8, v6, vcc
	v_cndmask_b32_e32 v5, v7, v5, vcc
	v_lshlrev_b32_e32 v4, 16, v4
	v_lshlrev_b32_e32 v5, 20, v5
	v_and_b32_e32 v4, 0x80000000, v4
	v_lshl_add_u32 v6, v6, 23, v57
	v_or3_b32 v5, v4, v6, v5
.LBB2_3042:                             ;   in Loop: Header=BB2_2448 Depth=2
	s_or_b64 exec, exec, s[88:89]
.LBB2_3043:                             ;   in Loop: Header=BB2_2448 Depth=2
	s_or_b64 exec, exec, s[78:79]
.LBB2_3044:                             ;   in Loop: Header=BB2_2448 Depth=2
	s_or_b64 exec, exec, s[20:21]
	v_lshrrev_b16_e32 v10, 8, v12
	v_cmp_lt_i16_e32 vcc, s39, v10
	s_mov_b64 s[20:21], 0
	s_and_saveexec_b64 s[78:79], vcc
	s_xor_b64 s[78:79], exec, s[78:79]
	s_cbranch_execnz .LBB2_3240
; %bb.3045:                             ;   in Loop: Header=BB2_2448 Depth=2
	s_or_saveexec_b64 s[78:79], s[78:79]
	v_bfrev_b32_e32 v4, 1
	s_xor_b64 exec, exec, s[78:79]
	s_cbranch_execnz .LBB2_3243
.LBB2_3046:                             ;   in Loop: Header=BB2_2448 Depth=2
	s_or_b64 exec, exec, s[78:79]
	s_and_saveexec_b64 s[78:79], s[20:21]
	s_cbranch_execz .LBB2_3048
.LBB2_3047:                             ;   in Loop: Header=BB2_2448 Depth=2
	v_and_b32_e32 v4, 7, v10
	v_ffbh_u32_e32 v6, v4
	v_min_u32_e32 v21, 32, v6
	v_mov_b32_e32 v11, v29
	v_subrev_u32_e32 v6, 28, v21
	v_lshlrev_b64 v[6:7], v6, v[10:11]
	v_and_b32_e32 v8, 0x7f, v10
	v_bfe_u32 v9, v10, 3, 4
	v_sub_u32_e32 v7, 29, v21
	v_and_b32_e32 v6, 7, v6
	v_cmp_gt_u32_e32 vcc, 8, v8
	v_cndmask_b32_e32 v7, v9, v7, vcc
	v_cndmask_b32_e32 v4, v4, v6, vcc
	v_lshlrev_b32_e32 v6, 24, v10
	v_lshlrev_b32_e32 v4, 20, v4
	v_and_b32_e32 v6, 0x80000000, v6
	v_lshl_add_u32 v7, v7, 23, v57
	v_or3_b32 v4, v6, v7, v4
	v_cmp_ne_u32_e32 vcc, s39, v8
	v_cndmask_b32_e32 v4, v56, v4, vcc
.LBB2_3048:                             ;   in Loop: Header=BB2_2448 Depth=2
	s_or_b64 exec, exec, s[78:79]
	v_add_f32_e32 v5, v5, v4
	v_and_b32_e32 v6, 0x7f800000, v5
	v_mov_b32_e32 v7, v29
	v_cmp_ne_u64_e32 vcc, s[46:47], v[6:7]
                                        ; implicit-def: $vgpr21
	s_and_saveexec_b64 s[20:21], vcc
	s_xor_b64 s[78:79], exec, s[20:21]
	s_cbranch_execz .LBB2_3062
; %bb.3049:                             ;   in Loop: Header=BB2_2448 Depth=2
	v_and_b32_e32 v6, 0x7fffffff, v5
	v_mov_b32_e32 v7, v29
	v_cmp_gt_u64_e32 vcc, s[56:57], v[6:7]
	v_and_b32_sdwa v4, v5, s50 dst_sel:DWORD dst_unused:UNUSED_PAD src0_sel:BYTE_3 src1_sel:DWORD
                                        ; implicit-def: $vgpr21
	s_and_saveexec_b64 s[20:21], vcc
	s_xor_b64 s[88:89], exec, s[20:21]
	s_cbranch_execz .LBB2_3059
; %bb.3050:                             ;   in Loop: Header=BB2_2448 Depth=2
	v_mov_b32_e32 v21, 0
	v_cmp_ne_u32_e32 vcc, 0, v5
	s_and_saveexec_b64 s[90:91], vcc
	s_cbranch_execz .LBB2_3058
; %bb.3051:                             ;   in Loop: Header=BB2_2448 Depth=2
	v_and_b32_e32 v7, 0x7fffff, v5
	v_bfe_u32 v5, v5, 23, 8
	v_cmp_gt_u32_e64 s[20:21], s51, v5
	v_sub_u32_e32 v6, 0x79, v5
	v_cmp_eq_u32_e32 vcc, 0, v5
	v_cndmask_b32_e64 v6, 0, v6, s[20:21]
	v_cndmask_b32_e32 v6, v6, v58, vcc
	v_add_u32_e32 v9, 20, v6
	v_or_b32_e32 v8, 0x800000, v7
	v_lshlrev_b64 v[9:10], v9, -1
	v_add_u32_e32 v11, 19, v6
	v_cndmask_b32_e32 v7, v8, v7, vcc
	v_lshlrev_b64 v[21:22], v11, 1
	v_mov_b32_e32 v8, v29
	v_bfi_b32 v10, v10, 0, 0
	v_bfi_b32 v9, v9, 0, v7
	v_cmp_eq_u64_e64 s[20:21], v[9:10], v[21:22]
	v_lshrrev_b64 v[10:11], v6, v[7:8]
	v_mov_b32_e32 v55, v11
	v_mov_b32_e32 v54, v10
	s_and_saveexec_b64 s[92:93], s[20:21]
; %bb.3052:                             ;   in Loop: Header=BB2_2448 Depth=2
	v_bfe_u32 v7, v10, 20, 1
	v_add_co_u32_e64 v7, s[20:21], v10, v7
	v_add_co_u32_e64 v54, s[20:21], -1, v7
; %bb.3053:                             ;   in Loop: Header=BB2_2448 Depth=2
	s_or_b64 exec, exec, s[92:93]
	v_add_u32_e32 v5, 0xffffff81, v5
	v_cndmask_b32_e32 v5, v5, v59, vcc
	v_lshrrev_b32_e32 v7, 23, v10
	v_add3_u32 v7, v6, v5, v7
	v_add_u32_e32 v6, 6, v7
	v_and_b32_e32 v5, 0xfffff, v54
	v_add_u32_e32 v10, v5, v10
	v_mov_b32_e32 v11, v29
	v_cmp_ne_u32_e32 vcc, 0, v6
                                        ; implicit-def: $vgpr5
	s_and_saveexec_b64 s[20:21], vcc
	s_xor_b64 s[20:21], exec, s[20:21]
; %bb.3054:                             ;   in Loop: Header=BB2_2448 Depth=2
	v_cmp_lt_u64_e32 vcc, s[58:59], v[10:11]
	v_add_u32_e32 v5, 7, v7
	v_cndmask_b32_e32 v5, v6, v5, vcc
	v_cndmask_b32_e64 v6, 0, 1, vcc
	v_lshrrev_b64 v[10:11], v6, v[10:11]
; %bb.3055:                             ;   in Loop: Header=BB2_2448 Depth=2
	s_andn2_saveexec_b64 s[20:21], s[20:21]
; %bb.3056:                             ;   in Loop: Header=BB2_2448 Depth=2
	v_bfe_u32 v5, v10, 23, 1
; %bb.3057:                             ;   in Loop: Header=BB2_2448 Depth=2
	s_or_b64 exec, exec, s[20:21]
	v_lshrrev_b64 v[6:7], 20, v[10:11]
	v_cmp_gt_i32_e32 vcc, 16, v5
	v_cndmask_b32_e32 v7, 0, v7, vcc
	v_cndmask_b32_e32 v6, 7, v6, vcc
	v_cmp_eq_u32_e32 vcc, 0, v5
	v_min_i32_e32 v5, 15, v5
	v_cmp_eq_u64_e64 s[20:21], 0, v[6:7]
	v_lshlrev_b32_e32 v5, 3, v5
	v_and_b32_e32 v5, 0xf8, v5
	v_and_or_b32 v5, v6, 7, v5
	s_and_b64 s[20:21], vcc, s[20:21]
	v_cndmask_b32_e64 v5, v5, 0, s[20:21]
	v_or_b32_e32 v21, v5, v4
.LBB2_3058:                             ;   in Loop: Header=BB2_2448 Depth=2
	s_or_b64 exec, exec, s[90:91]
                                        ; implicit-def: $vgpr4
.LBB2_3059:                             ;   in Loop: Header=BB2_2448 Depth=2
	s_andn2_saveexec_b64 s[20:21], s[88:89]
; %bb.3060:                             ;   in Loop: Header=BB2_2448 Depth=2
	v_or_b32_e32 v21, 0x7e, v4
; %bb.3061:                             ;   in Loop: Header=BB2_2448 Depth=2
	s_or_b64 exec, exec, s[20:21]
                                        ; implicit-def: $vgpr5
.LBB2_3062:                             ;   in Loop: Header=BB2_2448 Depth=2
	s_andn2_saveexec_b64 s[20:21], s[78:79]
; %bb.3063:                             ;   in Loop: Header=BB2_2448 Depth=2
	v_or_b32_sdwa v21, v5, s39 dst_sel:DWORD dst_unused:UNUSED_PAD src0_sel:BYTE_3 src1_sel:DWORD
; %bb.3064:                             ;   in Loop: Header=BB2_2448 Depth=2
	s_or_b64 exec, exec, s[20:21]
	v_lshrrev_b32_e32 v10, 16, v28
	v_cmp_ne_u16_sdwa s[78:79], v10, v29 src0_sel:BYTE_0 src1_sel:DWORD
	v_mov_b32_e32 v4, 0
	s_and_saveexec_b64 s[20:21], s[78:79]
	s_cbranch_execz .LBB2_3070
; %bb.3065:                             ;   in Loop: Header=BB2_2448 Depth=2
	v_cmp_ne_u16_sdwa s[88:89], v10, s50 src0_sel:BYTE_0 src1_sel:DWORD
	v_bfrev_b32_e32 v4, 1
	s_and_saveexec_b64 s[78:79], s[88:89]
	s_cbranch_execz .LBB2_3069
; %bb.3066:                             ;   in Loop: Header=BB2_2448 Depth=2
	v_bfe_u32 v5, v28, 16, 7
	v_cmp_ne_u32_e32 vcc, s39, v5
	v_mov_b32_e32 v4, 0x7f800001
	s_and_saveexec_b64 s[88:89], vcc
	s_cbranch_execz .LBB2_3068
; %bb.3067:                             ;   in Loop: Header=BB2_2448 Depth=2
	v_and_b32_e32 v6, 7, v10
	v_ffbh_u32_e32 v4, v6
	v_min_u32_e32 v8, 32, v4
	v_subrev_u32_e32 v4, 28, v8
	v_lshrrev_b32_e32 v7, 3, v5
	v_cmp_gt_u32_e32 vcc, 8, v5
	v_lshlrev_b64 v[4:5], v4, v[10:11]
	v_sub_u32_e32 v5, 29, v8
	v_and_b32_e32 v4, 7, v4
	v_cndmask_b32_e32 v5, v7, v5, vcc
	v_cndmask_b32_e32 v4, v6, v4, vcc
	v_lshlrev_b32_e32 v6, 24, v10
	v_lshlrev_b32_e32 v4, 20, v4
	v_and_b32_e32 v6, 0x80000000, v6
	v_lshl_add_u32 v5, v5, 23, v57
	v_or3_b32 v4, v6, v5, v4
.LBB2_3068:                             ;   in Loop: Header=BB2_2448 Depth=2
	s_or_b64 exec, exec, s[88:89]
.LBB2_3069:                             ;   in Loop: Header=BB2_2448 Depth=2
	s_or_b64 exec, exec, s[78:79]
.LBB2_3070:                             ;   in Loop: Header=BB2_2448 Depth=2
	s_or_b64 exec, exec, s[20:21]
	v_lshrrev_b32_e32 v10, 16, v12
	v_cmp_gt_i16_sdwa s[78:79], v10, s39 src0_sel:BYTE_0 src1_sel:DWORD
	s_mov_b64 s[20:21], 0
	s_and_saveexec_b64 s[88:89], s[78:79]
	s_xor_b64 s[78:79], exec, s[88:89]
	s_cbranch_execnz .LBB2_3244
; %bb.3071:                             ;   in Loop: Header=BB2_2448 Depth=2
	s_or_saveexec_b64 s[78:79], s[78:79]
	v_bfrev_b32_e32 v5, 1
	s_xor_b64 exec, exec, s[78:79]
	s_cbranch_execnz .LBB2_3247
.LBB2_3072:                             ;   in Loop: Header=BB2_2448 Depth=2
	s_or_b64 exec, exec, s[78:79]
	s_and_saveexec_b64 s[78:79], s[20:21]
	s_cbranch_execz .LBB2_3074
.LBB2_3073:                             ;   in Loop: Header=BB2_2448 Depth=2
	v_and_b32_e32 v7, 7, v10
	v_ffbh_u32_e32 v5, v7
	v_min_u32_e32 v11, 32, v5
	v_subrev_u32_e32 v5, 28, v11
	v_lshlrev_b64 v[5:6], v5, v[10:11]
	v_and_b32_e32 v8, 0x7f, v10
	v_bfe_u32 v9, v10, 3, 4
	v_sub_u32_e32 v6, 29, v11
	v_and_b32_e32 v5, 7, v5
	v_cmp_gt_u32_e32 vcc, 8, v8
	v_cndmask_b32_e32 v6, v9, v6, vcc
	v_cndmask_b32_e32 v5, v7, v5, vcc
	v_lshlrev_b32_e32 v7, 24, v10
	v_lshlrev_b32_e32 v5, 20, v5
	v_and_b32_e32 v7, 0x80000000, v7
	v_lshl_add_u32 v6, v6, 23, v57
	v_or3_b32 v5, v7, v6, v5
	v_cmp_ne_u32_e32 vcc, s39, v8
	v_cndmask_b32_e32 v5, v56, v5, vcc
.LBB2_3074:                             ;   in Loop: Header=BB2_2448 Depth=2
	s_or_b64 exec, exec, s[78:79]
	v_add_f32_e32 v5, v4, v5
	v_and_b32_e32 v6, 0x7f800000, v5
	v_mov_b32_e32 v7, v29
	v_cmp_ne_u64_e32 vcc, s[46:47], v[6:7]
                                        ; implicit-def: $vgpr26
	s_and_saveexec_b64 s[20:21], vcc
	s_xor_b64 s[78:79], exec, s[20:21]
	s_cbranch_execz .LBB2_3088
; %bb.3075:                             ;   in Loop: Header=BB2_2448 Depth=2
	v_and_b32_e32 v6, 0x7fffffff, v5
	v_mov_b32_e32 v7, v29
	v_cmp_gt_u64_e32 vcc, s[56:57], v[6:7]
	v_and_b32_sdwa v4, v5, s50 dst_sel:DWORD dst_unused:UNUSED_PAD src0_sel:BYTE_3 src1_sel:DWORD
                                        ; implicit-def: $vgpr26
	s_and_saveexec_b64 s[20:21], vcc
	s_xor_b64 s[88:89], exec, s[20:21]
	s_cbranch_execz .LBB2_3085
; %bb.3076:                             ;   in Loop: Header=BB2_2448 Depth=2
	v_mov_b32_e32 v26, 0
	v_cmp_ne_u32_e32 vcc, 0, v5
	s_and_saveexec_b64 s[90:91], vcc
	s_cbranch_execz .LBB2_3084
; %bb.3077:                             ;   in Loop: Header=BB2_2448 Depth=2
	v_and_b32_e32 v7, 0x7fffff, v5
	v_bfe_u32 v5, v5, 23, 8
	v_cmp_gt_u32_e64 s[20:21], s51, v5
	v_sub_u32_e32 v6, 0x79, v5
	v_cmp_eq_u32_e32 vcc, 0, v5
	v_cndmask_b32_e64 v6, 0, v6, s[20:21]
	v_cndmask_b32_e32 v6, v6, v58, vcc
	v_add_u32_e32 v9, 20, v6
	v_or_b32_e32 v8, 0x800000, v7
	v_lshlrev_b64 v[9:10], v9, -1
	v_add_u32_e32 v11, 19, v6
	v_cndmask_b32_e32 v7, v8, v7, vcc
	v_lshlrev_b64 v[22:23], v11, 1
	v_mov_b32_e32 v8, v29
	v_bfi_b32 v10, v10, 0, 0
	v_bfi_b32 v9, v9, 0, v7
	v_cmp_eq_u64_e64 s[20:21], v[9:10], v[22:23]
	v_lshrrev_b64 v[10:11], v6, v[7:8]
	v_mov_b32_e32 v55, v11
	v_mov_b32_e32 v54, v10
	s_and_saveexec_b64 s[92:93], s[20:21]
; %bb.3078:                             ;   in Loop: Header=BB2_2448 Depth=2
	v_bfe_u32 v7, v10, 20, 1
	v_add_co_u32_e64 v7, s[20:21], v10, v7
	v_add_co_u32_e64 v54, s[20:21], -1, v7
; %bb.3079:                             ;   in Loop: Header=BB2_2448 Depth=2
	s_or_b64 exec, exec, s[92:93]
	v_add_u32_e32 v5, 0xffffff81, v5
	v_cndmask_b32_e32 v5, v5, v59, vcc
	v_lshrrev_b32_e32 v7, 23, v10
	v_add3_u32 v7, v6, v5, v7
	v_add_u32_e32 v6, 6, v7
	v_and_b32_e32 v5, 0xfffff, v54
	v_add_u32_e32 v10, v5, v10
	v_mov_b32_e32 v11, v29
	v_cmp_ne_u32_e32 vcc, 0, v6
                                        ; implicit-def: $vgpr5
	s_and_saveexec_b64 s[20:21], vcc
	s_xor_b64 s[20:21], exec, s[20:21]
; %bb.3080:                             ;   in Loop: Header=BB2_2448 Depth=2
	v_cmp_lt_u64_e32 vcc, s[58:59], v[10:11]
	v_add_u32_e32 v5, 7, v7
	v_cndmask_b32_e32 v5, v6, v5, vcc
	v_cndmask_b32_e64 v6, 0, 1, vcc
	v_lshrrev_b64 v[10:11], v6, v[10:11]
; %bb.3081:                             ;   in Loop: Header=BB2_2448 Depth=2
	s_andn2_saveexec_b64 s[20:21], s[20:21]
; %bb.3082:                             ;   in Loop: Header=BB2_2448 Depth=2
	v_bfe_u32 v5, v10, 23, 1
; %bb.3083:                             ;   in Loop: Header=BB2_2448 Depth=2
	s_or_b64 exec, exec, s[20:21]
	v_lshrrev_b64 v[6:7], 20, v[10:11]
	v_cmp_gt_i32_e32 vcc, 16, v5
	v_cndmask_b32_e32 v7, 0, v7, vcc
	v_cndmask_b32_e32 v6, 7, v6, vcc
	v_cmp_eq_u32_e32 vcc, 0, v5
	v_min_i32_e32 v5, 15, v5
	v_cmp_eq_u64_e64 s[20:21], 0, v[6:7]
	v_lshlrev_b32_e32 v5, 3, v5
	v_and_b32_e32 v5, 0xf8, v5
	v_and_or_b32 v5, v6, 7, v5
	s_and_b64 s[20:21], vcc, s[20:21]
	v_cndmask_b32_e64 v5, v5, 0, s[20:21]
	v_or_b32_e32 v26, v5, v4
.LBB2_3084:                             ;   in Loop: Header=BB2_2448 Depth=2
	s_or_b64 exec, exec, s[90:91]
                                        ; implicit-def: $vgpr4
.LBB2_3085:                             ;   in Loop: Header=BB2_2448 Depth=2
	s_andn2_saveexec_b64 s[20:21], s[88:89]
; %bb.3086:                             ;   in Loop: Header=BB2_2448 Depth=2
	v_or_b32_e32 v26, 0x7e, v4
; %bb.3087:                             ;   in Loop: Header=BB2_2448 Depth=2
	s_or_b64 exec, exec, s[20:21]
                                        ; implicit-def: $vgpr5
.LBB2_3088:                             ;   in Loop: Header=BB2_2448 Depth=2
	s_andn2_saveexec_b64 s[20:21], s[78:79]
; %bb.3089:                             ;   in Loop: Header=BB2_2448 Depth=2
	v_or_b32_sdwa v26, v5, s39 dst_sel:DWORD dst_unused:UNUSED_PAD src0_sel:BYTE_3 src1_sel:DWORD
; %bb.3090:                             ;   in Loop: Header=BB2_2448 Depth=2
	s_or_b64 exec, exec, s[20:21]
	v_cmp_lt_u32_e32 vcc, s61, v28
	v_mov_b32_e32 v4, 0
	s_and_saveexec_b64 s[20:21], vcc
	s_cbranch_execz .LBB2_3096
; %bb.3091:                             ;   in Loop: Header=BB2_2448 Depth=2
	v_lshrrev_b32_e32 v10, 24, v28
	v_cmp_ne_u32_sdwa s[88:89], v28, s50 src0_sel:BYTE_3 src1_sel:DWORD
	v_bfrev_b32_e32 v4, 1
	s_and_saveexec_b64 s[78:79], s[88:89]
	s_cbranch_execz .LBB2_3095
; %bb.3092:                             ;   in Loop: Header=BB2_2448 Depth=2
	v_bfe_u32 v5, v28, 24, 7
	v_cmp_ne_u32_e32 vcc, s39, v5
	v_mov_b32_e32 v4, 0x7f800001
	s_and_saveexec_b64 s[88:89], vcc
	s_cbranch_execz .LBB2_3094
; %bb.3093:                             ;   in Loop: Header=BB2_2448 Depth=2
	v_and_b32_e32 v6, 7, v10
	v_ffbh_u32_e32 v4, v6
	v_min_u32_e32 v8, 32, v4
	v_subrev_u32_e32 v4, 28, v8
	v_lshrrev_b32_e32 v7, 3, v5
	v_cmp_gt_u32_e32 vcc, 8, v5
	v_lshlrev_b64 v[4:5], v4, v[10:11]
	v_sub_u32_e32 v5, 29, v8
	v_and_b32_e32 v4, 7, v4
	v_cndmask_b32_e32 v4, v6, v4, vcc
	v_mov_b32_e32 v6, 24
	v_cndmask_b32_e32 v5, v7, v5, vcc
	v_lshlrev_b32_sdwa v6, v6, v28 dst_sel:DWORD dst_unused:UNUSED_PAD src0_sel:DWORD src1_sel:BYTE_3
	v_lshlrev_b32_e32 v4, 20, v4
	v_and_b32_e32 v6, 0x80000000, v6
	v_lshl_add_u32 v5, v5, 23, v57
	v_or3_b32 v4, v6, v5, v4
.LBB2_3094:                             ;   in Loop: Header=BB2_2448 Depth=2
	s_or_b64 exec, exec, s[88:89]
.LBB2_3095:                             ;   in Loop: Header=BB2_2448 Depth=2
	s_or_b64 exec, exec, s[78:79]
.LBB2_3096:                             ;   in Loop: Header=BB2_2448 Depth=2
	s_or_b64 exec, exec, s[20:21]
	v_bfe_u32 v8, v12, 24, 3
	v_ffbh_u32_e32 v6, v8
	v_min_u32_e32 v11, 32, v6
	v_lshrrev_b32_e32 v5, 24, v12
	v_subrev_u32_e32 v6, 28, v11
	v_lshlrev_b64 v[6:7], v6, v[5:6]
	v_bfe_u32 v9, v12, 24, 7
	v_bfe_u32 v10, v5, 3, 4
	v_sub_u32_e32 v7, 29, v11
	v_and_b32_e32 v6, 7, v6
	v_cmp_gt_u32_e32 vcc, 8, v9
	v_cndmask_b32_e32 v7, v10, v7, vcc
	v_cndmask_b32_e32 v6, v8, v6, vcc
	v_lshlrev_b32_e32 v6, 20, v6
	v_and_b32_e32 v8, 0x80000000, v12
	v_lshl_add_u32 v7, v7, 23, v57
	v_or3_b32 v6, v8, v7, v6
	v_cmp_ne_u32_e32 vcc, s39, v9
	v_cndmask_b32_e32 v6, v56, v6, vcc
	v_cmp_ne_u32_e32 vcc, s50, v5
	v_cndmask_b32_e32 v5, v61, v6, vcc
	v_cmp_lt_u32_e32 vcc, s61, v12
	v_cndmask_b32_e32 v5, 0, v5, vcc
	v_add_f32_e32 v10, v5, v4
	v_and_b32_e32 v28, 0x7f800000, v10
	v_cmp_ne_u64_e32 vcc, s[46:47], v[28:29]
                                        ; implicit-def: $vgpr4
	s_and_saveexec_b64 s[20:21], vcc
	s_xor_b64 s[78:79], exec, s[20:21]
	s_cbranch_execz .LBB2_3110
; %bb.3097:                             ;   in Loop: Header=BB2_2448 Depth=2
	v_and_b32_e32 v28, 0x7fffffff, v10
	v_cmp_gt_u64_e32 vcc, s[56:57], v[28:29]
	v_and_b32_sdwa v5, v10, s50 dst_sel:DWORD dst_unused:UNUSED_PAD src0_sel:BYTE_3 src1_sel:DWORD
                                        ; implicit-def: $vgpr4
	s_and_saveexec_b64 s[20:21], vcc
	s_xor_b64 s[88:89], exec, s[20:21]
	s_cbranch_execz .LBB2_3107
; %bb.3098:                             ;   in Loop: Header=BB2_2448 Depth=2
	v_mov_b32_e32 v4, 0
	v_cmp_ne_u32_e32 vcc, 0, v10
	s_and_saveexec_b64 s[90:91], vcc
	s_cbranch_execz .LBB2_3106
; %bb.3099:                             ;   in Loop: Header=BB2_2448 Depth=2
	v_bfe_u32 v4, v10, 23, 8
	v_cmp_gt_u32_e64 s[20:21], s51, v4
	v_sub_u32_e32 v6, 0x79, v4
	v_and_b32_e32 v7, 0x7fffff, v10
	v_cmp_eq_u32_e32 vcc, 0, v4
	v_cndmask_b32_e64 v6, 0, v6, s[20:21]
	v_or_b32_e32 v8, 0x800000, v7
	v_cndmask_b32_e32 v6, v6, v58, vcc
	v_cndmask_b32_e32 v28, v8, v7, vcc
	v_add_u32_e32 v7, 20, v6
	v_lshlrev_b64 v[7:8], v7, -1
	v_add_u32_e32 v9, 19, v6
	v_lshlrev_b64 v[9:10], v9, 1
	v_bfi_b32 v8, v8, 0, 0
	v_bfi_b32 v7, v7, 0, v28
	v_cmp_eq_u64_e64 s[20:21], v[7:8], v[9:10]
	v_lshrrev_b64 v[10:11], v6, v[28:29]
	v_mov_b32_e32 v55, v11
	v_mov_b32_e32 v54, v10
	s_and_saveexec_b64 s[92:93], s[20:21]
; %bb.3100:                             ;   in Loop: Header=BB2_2448 Depth=2
	v_bfe_u32 v7, v10, 20, 1
	v_add_co_u32_e64 v7, s[20:21], v10, v7
	v_add_co_u32_e64 v54, s[20:21], -1, v7
; %bb.3101:                             ;   in Loop: Header=BB2_2448 Depth=2
	s_or_b64 exec, exec, s[92:93]
	v_add_u32_e32 v4, 0xffffff81, v4
	v_cndmask_b32_e32 v4, v4, v59, vcc
	v_lshrrev_b32_e32 v7, 23, v10
	v_add3_u32 v7, v6, v4, v7
	v_add_u32_e32 v6, 6, v7
	v_and_b32_e32 v4, 0xfffff, v54
	v_add_u32_e32 v28, v4, v10
	v_cmp_ne_u32_e32 vcc, 0, v6
                                        ; implicit-def: $vgpr10_vgpr11
                                        ; implicit-def: $vgpr4
	s_and_saveexec_b64 s[20:21], vcc
	s_xor_b64 s[20:21], exec, s[20:21]
; %bb.3102:                             ;   in Loop: Header=BB2_2448 Depth=2
	v_cmp_lt_u64_e32 vcc, s[58:59], v[28:29]
	v_add_u32_e32 v4, 7, v7
	v_cndmask_b32_e32 v4, v6, v4, vcc
	v_cndmask_b32_e64 v6, 0, 1, vcc
	v_lshrrev_b64 v[10:11], v6, v[28:29]
; %bb.3103:                             ;   in Loop: Header=BB2_2448 Depth=2
	s_andn2_saveexec_b64 s[20:21], s[20:21]
; %bb.3104:                             ;   in Loop: Header=BB2_2448 Depth=2
	v_mov_b32_e32 v10, v28
	v_bfe_u32 v4, v28, 23, 1
	v_mov_b32_e32 v11, v29
; %bb.3105:                             ;   in Loop: Header=BB2_2448 Depth=2
	s_or_b64 exec, exec, s[20:21]
	v_lshrrev_b64 v[6:7], 20, v[10:11]
	v_cmp_gt_i32_e32 vcc, 16, v4
	v_cndmask_b32_e32 v7, 0, v7, vcc
	v_cndmask_b32_e32 v6, 7, v6, vcc
	v_cmp_eq_u32_e32 vcc, 0, v4
	v_min_i32_e32 v4, 15, v4
	v_cmp_eq_u64_e64 s[20:21], 0, v[6:7]
	v_lshlrev_b32_e32 v4, 3, v4
	v_and_b32_e32 v4, 0xf8, v4
	v_and_or_b32 v4, v6, 7, v4
	s_and_b64 s[20:21], vcc, s[20:21]
	v_cndmask_b32_e64 v4, v4, 0, s[20:21]
	v_or_b32_e32 v4, v4, v5
.LBB2_3106:                             ;   in Loop: Header=BB2_2448 Depth=2
	s_or_b64 exec, exec, s[90:91]
                                        ; implicit-def: $vgpr5
.LBB2_3107:                             ;   in Loop: Header=BB2_2448 Depth=2
	s_andn2_saveexec_b64 s[20:21], s[88:89]
; %bb.3108:                             ;   in Loop: Header=BB2_2448 Depth=2
	v_or_b32_e32 v4, 0x7e, v5
; %bb.3109:                             ;   in Loop: Header=BB2_2448 Depth=2
	s_or_b64 exec, exec, s[20:21]
                                        ; implicit-def: $vgpr10
.LBB2_3110:                             ;   in Loop: Header=BB2_2448 Depth=2
	s_andn2_saveexec_b64 s[20:21], s[78:79]
; %bb.3111:                             ;   in Loop: Header=BB2_2448 Depth=2
	v_or_b32_sdwa v4, v10, s39 dst_sel:DWORD dst_unused:UNUSED_PAD src0_sel:BYTE_3 src1_sel:DWORD
; %bb.3112:                             ;   in Loop: Header=BB2_2448 Depth=2
	s_or_b64 exec, exec, s[20:21]
	v_lshlrev_b32_e32 v6, 24, v20
	v_lshlrev_b32_e32 v7, 16, v60
	v_lshl_or_b32 v5, v47, 8, v1
	v_or3_b32 v28, v7, v6, v5
	v_cmp_ne_u32_e32 vcc, 0, v1
	v_mov_b32_e32 v20, 0
	s_and_saveexec_b64 s[20:21], vcc
	s_cbranch_execz .LBB2_3118
; %bb.3113:                             ;   in Loop: Header=BB2_2448 Depth=2
	v_cmp_ne_u32_e32 vcc, s50, v1
	v_bfrev_b32_e32 v20, 1
	s_and_saveexec_b64 s[78:79], vcc
	s_cbranch_execz .LBB2_3117
; %bb.3114:                             ;   in Loop: Header=BB2_2448 Depth=2
	v_and_b32_e32 v6, 0x7f, v1
	v_cmp_ne_u32_e32 vcc, s39, v6
	v_mov_b32_e32 v20, 0x7f800001
	s_and_saveexec_b64 s[88:89], vcc
	s_cbranch_execz .LBB2_3116
; %bb.3115:                             ;   in Loop: Header=BB2_2448 Depth=2
	v_and_b32_e32 v1, 7, v1
	v_ffbh_u32_e32 v1, v1
	v_min_u32_e32 v1, 32, v1
	v_lshrrev_b32_e32 v7, 3, v6
	v_cmp_gt_u32_e32 vcc, 8, v6
	v_subrev_u32_e32 v6, 28, v1
	v_sub_u32_e32 v1, 29, v1
	v_cndmask_b32_e32 v6, 0, v6, vcc
	v_cndmask_b32_e32 v1, v7, v1, vcc
	v_lshlrev_b64 v[6:7], v6, v[28:29]
	v_lshlrev_b32_e32 v7, 24, v28
	v_lshlrev_b32_e32 v6, 20, v6
	v_and_b32_e32 v6, 0x700000, v6
	v_and_b32_e32 v7, 0x80000000, v7
	v_lshl_add_u32 v1, v1, 23, v57
	v_or3_b32 v20, v7, v1, v6
.LBB2_3116:                             ;   in Loop: Header=BB2_2448 Depth=2
	s_or_b64 exec, exec, s[88:89]
.LBB2_3117:                             ;   in Loop: Header=BB2_2448 Depth=2
	s_or_b64 exec, exec, s[78:79]
.LBB2_3118:                             ;   in Loop: Header=BB2_2448 Depth=2
	s_or_b64 exec, exec, s[20:21]
	v_cmp_gt_i16_sdwa s[78:79], v13, s39 src0_sel:BYTE_0 src1_sel:DWORD
	s_mov_b64 s[20:21], 0
	s_and_saveexec_b64 s[88:89], s[78:79]
	s_xor_b64 s[78:79], exec, s[88:89]
	s_cbranch_execz .LBB2_3122
; %bb.3119:                             ;   in Loop: Header=BB2_2448 Depth=2
	v_cmp_eq_u16_sdwa s[90:91], v13, s50 src0_sel:BYTE_0 src1_sel:DWORD
	s_mov_b64 s[20:21], -1
	s_and_saveexec_b64 s[88:89], s[90:91]
; %bb.3120:                             ;   in Loop: Header=BB2_2448 Depth=2
	s_xor_b64 s[20:21], exec, -1
; %bb.3121:                             ;   in Loop: Header=BB2_2448 Depth=2
	s_or_b64 exec, exec, s[88:89]
	s_and_b64 s[20:21], s[20:21], exec
.LBB2_3122:                             ;   in Loop: Header=BB2_2448 Depth=2
	s_or_saveexec_b64 s[78:79], s[78:79]
	v_bfrev_b32_e32 v1, 1
	s_xor_b64 exec, exec, s[78:79]
; %bb.3123:                             ;   in Loop: Header=BB2_2448 Depth=2
	v_cmp_ne_u16_sdwa s[88:89], v13, v29 src0_sel:BYTE_0 src1_sel:DWORD
	s_andn2_b64 s[20:21], s[20:21], exec
	s_and_b64 s[88:89], s[88:89], exec
	v_mov_b32_e32 v1, 0
	s_or_b64 s[20:21], s[20:21], s[88:89]
; %bb.3124:                             ;   in Loop: Header=BB2_2448 Depth=2
	s_or_b64 exec, exec, s[78:79]
	v_mov_b32_e32 v10, v13
	v_mov_b32_e32 v11, v29
	s_and_saveexec_b64 s[78:79], s[20:21]
	s_cbranch_execz .LBB2_3126
; %bb.3125:                             ;   in Loop: Header=BB2_2448 Depth=2
	v_and_b32_e32 v1, 7, v13
	v_ffbh_u32_e32 v1, v1
	v_and_b32_e32 v8, 0x7f, v13
	v_min_u32_e32 v1, 32, v1
	v_bfe_u32 v6, v13, 3, 4
	v_subrev_u32_e32 v7, 28, v1
	v_sub_u32_e32 v1, 29, v1
	v_cmp_gt_u32_e32 vcc, 8, v8
	v_cndmask_b32_e32 v1, v6, v1, vcc
	v_cndmask_b32_e32 v6, 0, v7, vcc
	v_lshlrev_b64 v[6:7], v6, v[10:11]
	v_lshlrev_b32_e32 v7, 24, v10
	v_lshlrev_b32_e32 v6, 20, v6
	v_and_b32_e32 v6, 0x700000, v6
	v_and_b32_e32 v7, 0x80000000, v7
	v_lshl_add_u32 v1, v1, 23, v57
	v_or3_b32 v1, v7, v1, v6
	v_cmp_ne_u32_e32 vcc, s39, v8
	v_cndmask_b32_e32 v1, v56, v1, vcc
.LBB2_3126:                             ;   in Loop: Header=BB2_2448 Depth=2
	s_or_b64 exec, exec, s[78:79]
	v_add_f32_e32 v20, v20, v1
	v_and_b32_e32 v6, 0x7f800000, v20
	v_mov_b32_e32 v7, v29
	v_cmp_ne_u64_e32 vcc, s[46:47], v[6:7]
                                        ; implicit-def: $vgpr1
	s_and_saveexec_b64 s[20:21], vcc
	s_xor_b64 s[78:79], exec, s[20:21]
	s_cbranch_execz .LBB2_3140
; %bb.3127:                             ;   in Loop: Header=BB2_2448 Depth=2
	v_and_b32_e32 v6, 0x7fffffff, v20
	v_mov_b32_e32 v7, v29
	v_cmp_gt_u64_e32 vcc, s[56:57], v[6:7]
	v_and_b32_sdwa v11, v20, s50 dst_sel:DWORD dst_unused:UNUSED_PAD src0_sel:BYTE_3 src1_sel:DWORD
                                        ; implicit-def: $vgpr1
	s_and_saveexec_b64 s[20:21], vcc
	s_xor_b64 s[88:89], exec, s[20:21]
	s_cbranch_execz .LBB2_3137
; %bb.3128:                             ;   in Loop: Header=BB2_2448 Depth=2
	v_mov_b32_e32 v1, 0
	v_cmp_ne_u32_e32 vcc, 0, v20
	s_and_saveexec_b64 s[90:91], vcc
	s_cbranch_execz .LBB2_3136
; %bb.3129:                             ;   in Loop: Header=BB2_2448 Depth=2
	v_bfe_u32 v1, v20, 23, 8
	v_cmp_gt_u32_e64 s[20:21], s51, v1
	v_sub_u32_e32 v6, 0x79, v1
	v_cmp_eq_u32_e32 vcc, 0, v1
	v_cndmask_b32_e64 v6, 0, v6, s[20:21]
	v_cndmask_b32_e32 v6, v6, v58, vcc
	v_and_b32_e32 v7, 0x7fffff, v20
	v_add_u32_e32 v9, 20, v6
	v_or_b32_e32 v8, 0x800000, v7
	v_lshlrev_b64 v[22:23], v9, -1
	v_add_u32_e32 v9, 19, v6
	v_cndmask_b32_e32 v7, v8, v7, vcc
	v_lshlrev_b64 v[54:55], v9, 1
	v_mov_b32_e32 v8, v29
	v_bfi_b32 v23, v23, 0, 0
	v_bfi_b32 v22, v22, 0, v7
	v_cmp_eq_u64_e64 s[20:21], v[22:23], v[54:55]
	v_lshrrev_b64 v[54:55], v6, v[7:8]
	v_mov_b32_e32 v39, v54
	v_mov_b32_e32 v40, v55
	s_and_saveexec_b64 s[92:93], s[20:21]
; %bb.3130:                             ;   in Loop: Header=BB2_2448 Depth=2
	v_bfe_u32 v7, v54, 20, 1
	v_add_co_u32_e64 v7, s[20:21], v54, v7
	v_add_co_u32_e64 v39, s[20:21], -1, v7
; %bb.3131:                             ;   in Loop: Header=BB2_2448 Depth=2
	s_or_b64 exec, exec, s[92:93]
	v_add_u32_e32 v1, 0xffffff81, v1
	v_cndmask_b32_e32 v1, v1, v59, vcc
	v_lshrrev_b32_e32 v7, 23, v54
	v_add3_u32 v7, v6, v1, v7
	v_add_u32_e32 v6, 6, v7
	v_and_b32_e32 v1, 0xfffff, v39
	v_add_u32_e32 v54, v1, v54
	v_mov_b32_e32 v55, v29
	v_cmp_ne_u32_e32 vcc, 0, v6
                                        ; implicit-def: $vgpr1
	s_and_saveexec_b64 s[20:21], vcc
	s_xor_b64 s[20:21], exec, s[20:21]
; %bb.3132:                             ;   in Loop: Header=BB2_2448 Depth=2
	v_cmp_lt_u64_e32 vcc, s[58:59], v[54:55]
	v_add_u32_e32 v1, 7, v7
	v_cndmask_b32_e32 v1, v6, v1, vcc
	v_cndmask_b32_e64 v6, 0, 1, vcc
	v_lshrrev_b64 v[54:55], v6, v[54:55]
; %bb.3133:                             ;   in Loop: Header=BB2_2448 Depth=2
	s_andn2_saveexec_b64 s[20:21], s[20:21]
; %bb.3134:                             ;   in Loop: Header=BB2_2448 Depth=2
	v_bfe_u32 v1, v54, 23, 1
; %bb.3135:                             ;   in Loop: Header=BB2_2448 Depth=2
	s_or_b64 exec, exec, s[20:21]
	v_lshrrev_b64 v[6:7], 20, v[54:55]
	v_cmp_gt_i32_e32 vcc, 16, v1
	v_cndmask_b32_e32 v7, 0, v7, vcc
	v_cndmask_b32_e32 v6, 7, v6, vcc
	v_cmp_eq_u32_e32 vcc, 0, v1
	v_min_i32_e32 v1, 15, v1
	v_cmp_eq_u64_e64 s[20:21], 0, v[6:7]
	v_lshlrev_b32_e32 v1, 3, v1
	v_and_b32_e32 v1, 0xf8, v1
	v_and_or_b32 v1, v6, 7, v1
	s_and_b64 s[20:21], vcc, s[20:21]
	v_cndmask_b32_e64 v1, v1, 0, s[20:21]
	v_or_b32_e32 v1, v1, v11
.LBB2_3136:                             ;   in Loop: Header=BB2_2448 Depth=2
	s_or_b64 exec, exec, s[90:91]
                                        ; implicit-def: $vgpr11
.LBB2_3137:                             ;   in Loop: Header=BB2_2448 Depth=2
	s_andn2_saveexec_b64 s[20:21], s[88:89]
; %bb.3138:                             ;   in Loop: Header=BB2_2448 Depth=2
	v_or_b32_e32 v1, 0x7e, v11
; %bb.3139:                             ;   in Loop: Header=BB2_2448 Depth=2
	s_or_b64 exec, exec, s[20:21]
                                        ; implicit-def: $vgpr20
.LBB2_3140:                             ;   in Loop: Header=BB2_2448 Depth=2
	s_andn2_saveexec_b64 s[20:21], s[78:79]
; %bb.3141:                             ;   in Loop: Header=BB2_2448 Depth=2
	v_or_b32_sdwa v1, v20, s39 dst_sel:DWORD dst_unused:UNUSED_PAD src0_sel:BYTE_3 src1_sel:DWORD
; %bb.3142:                             ;   in Loop: Header=BB2_2448 Depth=2
	s_or_b64 exec, exec, s[20:21]
	v_lshrrev_b16_e32 v11, 8, v5
	v_cmp_ne_u16_e32 vcc, 0, v11
	v_mov_b32_e32 v20, 0
	s_and_saveexec_b64 s[20:21], vcc
	s_cbranch_execz .LBB2_3148
; %bb.3143:                             ;   in Loop: Header=BB2_2448 Depth=2
	v_cmp_ne_u16_e32 vcc, s50, v11
	v_bfrev_b32_e32 v20, 1
	s_and_saveexec_b64 s[78:79], vcc
	s_cbranch_execz .LBB2_3147
; %bb.3144:                             ;   in Loop: Header=BB2_2448 Depth=2
	v_and_b32_e32 v6, 0x7f, v11
	v_cmp_ne_u32_e32 vcc, s39, v6
	v_mov_b32_e32 v20, 0x7f800001
	s_and_saveexec_b64 s[88:89], vcc
	s_cbranch_execz .LBB2_3146
; %bb.3145:                             ;   in Loop: Header=BB2_2448 Depth=2
	v_and_b32_e32 v8, 7, v11
	v_lshrrev_b32_e32 v9, 3, v6
	v_cmp_gt_u32_e32 vcc, 8, v6
	v_ffbh_u32_e32 v6, v8
	v_min_u32_e32 v20, 32, v6
	v_subrev_u32_e32 v6, 28, v20
	v_lshlrev_b64 v[6:7], v6, v[11:12]
	v_sub_u32_e32 v7, 29, v20
	v_and_b32_e32 v6, 7, v6
	v_cndmask_b32_e32 v7, v9, v7, vcc
	v_cndmask_b32_e32 v6, v8, v6, vcc
	v_lshlrev_b32_e32 v5, 16, v5
	v_lshlrev_b32_e32 v6, 20, v6
	v_and_b32_e32 v5, 0x80000000, v5
	v_lshl_add_u32 v7, v7, 23, v57
	v_or3_b32 v20, v5, v7, v6
.LBB2_3146:                             ;   in Loop: Header=BB2_2448 Depth=2
	s_or_b64 exec, exec, s[88:89]
.LBB2_3147:                             ;   in Loop: Header=BB2_2448 Depth=2
	s_or_b64 exec, exec, s[78:79]
.LBB2_3148:                             ;   in Loop: Header=BB2_2448 Depth=2
	s_or_b64 exec, exec, s[20:21]
	v_lshrrev_b16_e32 v10, 8, v10
	v_cmp_lt_i16_e32 vcc, s39, v10
	s_mov_b64 s[20:21], 0
	s_and_saveexec_b64 s[78:79], vcc
	s_xor_b64 s[78:79], exec, s[78:79]
	s_cbranch_execnz .LBB2_3248
; %bb.3149:                             ;   in Loop: Header=BB2_2448 Depth=2
	s_or_saveexec_b64 s[78:79], s[78:79]
	v_bfrev_b32_e32 v5, 1
	s_xor_b64 exec, exec, s[78:79]
	s_cbranch_execnz .LBB2_3251
.LBB2_3150:                             ;   in Loop: Header=BB2_2448 Depth=2
	s_or_b64 exec, exec, s[78:79]
	s_and_saveexec_b64 s[78:79], s[20:21]
	s_cbranch_execz .LBB2_3152
.LBB2_3151:                             ;   in Loop: Header=BB2_2448 Depth=2
	v_and_b32_e32 v7, 7, v10
	v_ffbh_u32_e32 v5, v7
	v_min_u32_e32 v22, 32, v5
	v_mov_b32_e32 v11, v29
	v_subrev_u32_e32 v5, 28, v22
	v_lshlrev_b64 v[5:6], v5, v[10:11]
	v_and_b32_e32 v8, 0x7f, v10
	v_bfe_u32 v9, v10, 3, 4
	v_sub_u32_e32 v6, 29, v22
	v_and_b32_e32 v5, 7, v5
	v_cmp_gt_u32_e32 vcc, 8, v8
	v_cndmask_b32_e32 v6, v9, v6, vcc
	v_cndmask_b32_e32 v5, v7, v5, vcc
	v_lshlrev_b32_e32 v7, 24, v10
	v_lshlrev_b32_e32 v5, 20, v5
	v_and_b32_e32 v7, 0x80000000, v7
	v_lshl_add_u32 v6, v6, 23, v57
	v_or3_b32 v5, v7, v6, v5
	v_cmp_ne_u32_e32 vcc, s39, v8
	v_cndmask_b32_e32 v5, v56, v5, vcc
.LBB2_3152:                             ;   in Loop: Header=BB2_2448 Depth=2
	s_or_b64 exec, exec, s[78:79]
	v_add_f32_e32 v10, v20, v5
	v_and_b32_e32 v5, 0x7f800000, v10
	v_mov_b32_e32 v6, v29
	v_cmp_ne_u64_e32 vcc, s[46:47], v[5:6]
                                        ; implicit-def: $vgpr5
	s_and_saveexec_b64 s[20:21], vcc
	s_xor_b64 s[78:79], exec, s[20:21]
	s_cbranch_execz .LBB2_3166
; %bb.3153:                             ;   in Loop: Header=BB2_2448 Depth=2
	v_and_b32_e32 v5, 0x7fffffff, v10
	v_mov_b32_e32 v6, v29
	v_cmp_gt_u64_e32 vcc, s[56:57], v[5:6]
	v_and_b32_sdwa v20, v10, s50 dst_sel:DWORD dst_unused:UNUSED_PAD src0_sel:BYTE_3 src1_sel:DWORD
                                        ; implicit-def: $vgpr5
	s_and_saveexec_b64 s[20:21], vcc
	s_xor_b64 s[88:89], exec, s[20:21]
	s_cbranch_execz .LBB2_3163
; %bb.3154:                             ;   in Loop: Header=BB2_2448 Depth=2
	v_mov_b32_e32 v5, 0
	v_cmp_ne_u32_e32 vcc, 0, v10
	s_and_saveexec_b64 s[90:91], vcc
	s_cbranch_execz .LBB2_3162
; %bb.3155:                             ;   in Loop: Header=BB2_2448 Depth=2
	v_bfe_u32 v5, v10, 23, 8
	v_cmp_gt_u32_e64 s[20:21], s51, v5
	v_sub_u32_e32 v6, 0x79, v5
	v_cmp_eq_u32_e32 vcc, 0, v5
	v_cndmask_b32_e64 v6, 0, v6, s[20:21]
	v_cndmask_b32_e32 v6, v6, v58, vcc
	v_and_b32_e32 v7, 0x7fffff, v10
	v_add_u32_e32 v9, 20, v6
	v_or_b32_e32 v8, 0x800000, v7
	v_lshlrev_b64 v[9:10], v9, -1
	v_add_u32_e32 v11, 19, v6
	v_cndmask_b32_e32 v7, v8, v7, vcc
	v_lshlrev_b64 v[22:23], v11, 1
	v_mov_b32_e32 v8, v29
	v_bfi_b32 v10, v10, 0, 0
	v_bfi_b32 v9, v9, 0, v7
	v_cmp_eq_u64_e64 s[20:21], v[9:10], v[22:23]
	v_lshrrev_b64 v[10:11], v6, v[7:8]
	v_mov_b32_e32 v55, v11
	v_mov_b32_e32 v54, v10
	s_and_saveexec_b64 s[92:93], s[20:21]
; %bb.3156:                             ;   in Loop: Header=BB2_2448 Depth=2
	v_bfe_u32 v7, v10, 20, 1
	v_add_co_u32_e64 v7, s[20:21], v10, v7
	v_add_co_u32_e64 v54, s[20:21], -1, v7
; %bb.3157:                             ;   in Loop: Header=BB2_2448 Depth=2
	s_or_b64 exec, exec, s[92:93]
	v_add_u32_e32 v5, 0xffffff81, v5
	v_cndmask_b32_e32 v5, v5, v59, vcc
	v_lshrrev_b32_e32 v7, 23, v10
	v_add3_u32 v7, v6, v5, v7
	v_add_u32_e32 v6, 6, v7
	v_and_b32_e32 v5, 0xfffff, v54
	v_add_u32_e32 v10, v5, v10
	v_mov_b32_e32 v11, v29
	v_cmp_ne_u32_e32 vcc, 0, v6
                                        ; implicit-def: $vgpr5
	s_and_saveexec_b64 s[20:21], vcc
	s_xor_b64 s[20:21], exec, s[20:21]
; %bb.3158:                             ;   in Loop: Header=BB2_2448 Depth=2
	v_cmp_lt_u64_e32 vcc, s[58:59], v[10:11]
	v_add_u32_e32 v5, 7, v7
	v_cndmask_b32_e32 v5, v6, v5, vcc
	v_cndmask_b32_e64 v6, 0, 1, vcc
	v_lshrrev_b64 v[10:11], v6, v[10:11]
; %bb.3159:                             ;   in Loop: Header=BB2_2448 Depth=2
	s_andn2_saveexec_b64 s[20:21], s[20:21]
; %bb.3160:                             ;   in Loop: Header=BB2_2448 Depth=2
	v_bfe_u32 v5, v10, 23, 1
; %bb.3161:                             ;   in Loop: Header=BB2_2448 Depth=2
	s_or_b64 exec, exec, s[20:21]
	v_lshrrev_b64 v[6:7], 20, v[10:11]
	v_cmp_gt_i32_e32 vcc, 16, v5
	v_cndmask_b32_e32 v7, 0, v7, vcc
	v_cndmask_b32_e32 v6, 7, v6, vcc
	v_cmp_eq_u32_e32 vcc, 0, v5
	v_min_i32_e32 v5, 15, v5
	v_cmp_eq_u64_e64 s[20:21], 0, v[6:7]
	v_lshlrev_b32_e32 v5, 3, v5
	v_and_b32_e32 v5, 0xf8, v5
	v_and_or_b32 v5, v6, 7, v5
	s_and_b64 s[20:21], vcc, s[20:21]
	v_cndmask_b32_e64 v5, v5, 0, s[20:21]
	v_or_b32_e32 v5, v5, v20
.LBB2_3162:                             ;   in Loop: Header=BB2_2448 Depth=2
	s_or_b64 exec, exec, s[90:91]
                                        ; implicit-def: $vgpr20
.LBB2_3163:                             ;   in Loop: Header=BB2_2448 Depth=2
	s_andn2_saveexec_b64 s[20:21], s[88:89]
; %bb.3164:                             ;   in Loop: Header=BB2_2448 Depth=2
	v_or_b32_e32 v5, 0x7e, v20
; %bb.3165:                             ;   in Loop: Header=BB2_2448 Depth=2
	s_or_b64 exec, exec, s[20:21]
                                        ; implicit-def: $vgpr10
.LBB2_3166:                             ;   in Loop: Header=BB2_2448 Depth=2
	s_andn2_saveexec_b64 s[20:21], s[78:79]
; %bb.3167:                             ;   in Loop: Header=BB2_2448 Depth=2
	v_or_b32_sdwa v5, v10, s39 dst_sel:DWORD dst_unused:UNUSED_PAD src0_sel:BYTE_3 src1_sel:DWORD
; %bb.3168:                             ;   in Loop: Header=BB2_2448 Depth=2
	s_or_b64 exec, exec, s[20:21]
	v_lshrrev_b32_e32 v10, 16, v28
	v_cmp_ne_u16_sdwa s[78:79], v10, v29 src0_sel:BYTE_0 src1_sel:DWORD
	v_mov_b32_e32 v11, 0
	s_and_saveexec_b64 s[20:21], s[78:79]
	s_cbranch_execz .LBB2_3174
; %bb.3169:                             ;   in Loop: Header=BB2_2448 Depth=2
	v_cmp_ne_u16_sdwa s[88:89], v10, s50 src0_sel:BYTE_0 src1_sel:DWORD
	v_bfrev_b32_e32 v11, 1
	s_and_saveexec_b64 s[78:79], s[88:89]
	s_cbranch_execz .LBB2_3173
; %bb.3170:                             ;   in Loop: Header=BB2_2448 Depth=2
	v_bfe_u32 v6, v28, 16, 7
	v_cmp_ne_u32_e32 vcc, s39, v6
	v_mov_b32_e32 v11, 0x7f800001
	s_and_saveexec_b64 s[88:89], vcc
	s_cbranch_execz .LBB2_3172
; %bb.3171:                             ;   in Loop: Header=BB2_2448 Depth=2
	v_and_b32_e32 v8, 7, v10
	v_lshrrev_b32_e32 v9, 3, v6
	v_cmp_gt_u32_e32 vcc, 8, v6
	v_ffbh_u32_e32 v6, v8
	v_min_u32_e32 v11, 32, v6
	v_subrev_u32_e32 v6, 28, v11
	v_lshlrev_b64 v[6:7], v6, v[10:11]
	v_sub_u32_e32 v7, 29, v11
	v_and_b32_e32 v6, 7, v6
	v_cndmask_b32_e32 v7, v9, v7, vcc
	v_cndmask_b32_e32 v6, v8, v6, vcc
	v_lshlrev_b32_e32 v8, 24, v10
	v_lshlrev_b32_e32 v6, 20, v6
	v_and_b32_e32 v8, 0x80000000, v8
	v_lshl_add_u32 v7, v7, 23, v57
	v_or3_b32 v11, v8, v7, v6
.LBB2_3172:                             ;   in Loop: Header=BB2_2448 Depth=2
	s_or_b64 exec, exec, s[88:89]
.LBB2_3173:                             ;   in Loop: Header=BB2_2448 Depth=2
	s_or_b64 exec, exec, s[78:79]
.LBB2_3174:                             ;   in Loop: Header=BB2_2448 Depth=2
	s_or_b64 exec, exec, s[20:21]
	v_lshrrev_b32_e32 v10, 16, v13
	v_cmp_gt_i16_sdwa s[78:79], v10, s39 src0_sel:BYTE_0 src1_sel:DWORD
	s_mov_b64 s[20:21], 0
	s_and_saveexec_b64 s[88:89], s[78:79]
	s_xor_b64 s[78:79], exec, s[88:89]
	s_cbranch_execnz .LBB2_3252
; %bb.3175:                             ;   in Loop: Header=BB2_2448 Depth=2
	s_or_saveexec_b64 s[78:79], s[78:79]
	v_bfrev_b32_e32 v6, 1
	s_xor_b64 exec, exec, s[78:79]
	s_cbranch_execnz .LBB2_3255
.LBB2_3176:                             ;   in Loop: Header=BB2_2448 Depth=2
	s_or_b64 exec, exec, s[78:79]
	s_and_saveexec_b64 s[78:79], s[20:21]
	s_cbranch_execz .LBB2_3178
.LBB2_3177:                             ;   in Loop: Header=BB2_2448 Depth=2
	v_and_b32_e32 v8, 7, v10
	v_ffbh_u32_e32 v6, v8
	v_min_u32_e32 v22, 32, v6
	v_subrev_u32_e32 v6, 28, v22
	v_lshlrev_b64 v[6:7], v6, v[10:11]
	v_and_b32_e32 v9, 0x7f, v10
	v_bfe_u32 v20, v10, 3, 4
	v_sub_u32_e32 v7, 29, v22
	v_and_b32_e32 v6, 7, v6
	v_cmp_gt_u32_e32 vcc, 8, v9
	v_cndmask_b32_e32 v7, v20, v7, vcc
	v_cndmask_b32_e32 v6, v8, v6, vcc
	v_lshlrev_b32_e32 v8, 24, v10
	v_lshlrev_b32_e32 v6, 20, v6
	v_and_b32_e32 v8, 0x80000000, v8
	v_lshl_add_u32 v7, v7, 23, v57
	v_or3_b32 v6, v8, v7, v6
	v_cmp_ne_u32_e32 vcc, s39, v9
	v_cndmask_b32_e32 v6, v56, v6, vcc
.LBB2_3178:                             ;   in Loop: Header=BB2_2448 Depth=2
	s_or_b64 exec, exec, s[78:79]
	v_add_f32_e32 v10, v11, v6
	v_and_b32_e32 v6, 0x7f800000, v10
	v_mov_b32_e32 v7, v29
	v_cmp_ne_u64_e32 vcc, s[46:47], v[6:7]
                                        ; implicit-def: $vgpr20
	s_and_saveexec_b64 s[20:21], vcc
	s_xor_b64 s[78:79], exec, s[20:21]
	s_cbranch_execz .LBB2_3192
; %bb.3179:                             ;   in Loop: Header=BB2_2448 Depth=2
	v_and_b32_e32 v6, 0x7fffffff, v10
	v_mov_b32_e32 v7, v29
	v_cmp_gt_u64_e32 vcc, s[56:57], v[6:7]
	v_and_b32_sdwa v22, v10, s50 dst_sel:DWORD dst_unused:UNUSED_PAD src0_sel:BYTE_3 src1_sel:DWORD
                                        ; implicit-def: $vgpr20
	s_and_saveexec_b64 s[20:21], vcc
	s_xor_b64 s[88:89], exec, s[20:21]
	s_cbranch_execz .LBB2_3189
; %bb.3180:                             ;   in Loop: Header=BB2_2448 Depth=2
	v_mov_b32_e32 v20, 0
	v_cmp_ne_u32_e32 vcc, 0, v10
	s_and_saveexec_b64 s[90:91], vcc
	s_cbranch_execz .LBB2_3188
; %bb.3181:                             ;   in Loop: Header=BB2_2448 Depth=2
	v_bfe_u32 v20, v10, 23, 8
	v_cmp_gt_u32_e64 s[20:21], s51, v20
	v_sub_u32_e32 v6, 0x79, v20
	v_cmp_eq_u32_e32 vcc, 0, v20
	v_cndmask_b32_e64 v6, 0, v6, s[20:21]
	v_cndmask_b32_e32 v6, v6, v58, vcc
	v_and_b32_e32 v7, 0x7fffff, v10
	v_add_u32_e32 v9, 20, v6
	v_or_b32_e32 v8, 0x800000, v7
	v_lshlrev_b64 v[9:10], v9, -1
	v_add_u32_e32 v11, 19, v6
	v_cndmask_b32_e32 v7, v8, v7, vcc
	v_lshlrev_b64 v[54:55], v11, 1
	v_mov_b32_e32 v8, v29
	v_bfi_b32 v10, v10, 0, 0
	v_bfi_b32 v9, v9, 0, v7
	v_cmp_eq_u64_e64 s[20:21], v[9:10], v[54:55]
	v_lshrrev_b64 v[10:11], v6, v[7:8]
	v_mov_b32_e32 v55, v11
	v_mov_b32_e32 v54, v10
	s_and_saveexec_b64 s[92:93], s[20:21]
; %bb.3182:                             ;   in Loop: Header=BB2_2448 Depth=2
	v_bfe_u32 v7, v10, 20, 1
	v_add_co_u32_e64 v7, s[20:21], v10, v7
	v_add_co_u32_e64 v54, s[20:21], -1, v7
; %bb.3183:                             ;   in Loop: Header=BB2_2448 Depth=2
	s_or_b64 exec, exec, s[92:93]
	v_add_u32_e32 v7, 0xffffff81, v20
	v_cndmask_b32_e32 v7, v7, v59, vcc
	v_lshrrev_b32_e32 v8, 23, v10
	v_add3_u32 v8, v6, v7, v8
	v_add_u32_e32 v7, 6, v8
	v_and_b32_e32 v6, 0xfffff, v54
	v_add_u32_e32 v10, v6, v10
	v_mov_b32_e32 v11, v29
	v_cmp_ne_u32_e32 vcc, 0, v7
                                        ; implicit-def: $vgpr6
	s_and_saveexec_b64 s[20:21], vcc
	s_xor_b64 s[20:21], exec, s[20:21]
; %bb.3184:                             ;   in Loop: Header=BB2_2448 Depth=2
	v_cmp_lt_u64_e32 vcc, s[58:59], v[10:11]
	v_add_u32_e32 v6, 7, v8
	v_cndmask_b32_e32 v6, v7, v6, vcc
	v_cndmask_b32_e64 v7, 0, 1, vcc
	v_lshrrev_b64 v[10:11], v7, v[10:11]
; %bb.3185:                             ;   in Loop: Header=BB2_2448 Depth=2
	s_andn2_saveexec_b64 s[20:21], s[20:21]
; %bb.3186:                             ;   in Loop: Header=BB2_2448 Depth=2
	v_bfe_u32 v6, v10, 23, 1
; %bb.3187:                             ;   in Loop: Header=BB2_2448 Depth=2
	s_or_b64 exec, exec, s[20:21]
	v_lshrrev_b64 v[7:8], 20, v[10:11]
	v_cmp_gt_i32_e32 vcc, 16, v6
	v_cndmask_b32_e32 v8, 0, v8, vcc
	v_cndmask_b32_e32 v7, 7, v7, vcc
	v_cmp_eq_u32_e32 vcc, 0, v6
	v_min_i32_e32 v6, 15, v6
	v_cmp_eq_u64_e64 s[20:21], 0, v[7:8]
	v_lshlrev_b32_e32 v6, 3, v6
	v_and_b32_e32 v6, 0xf8, v6
	v_and_or_b32 v6, v7, 7, v6
	s_and_b64 s[20:21], vcc, s[20:21]
	v_cndmask_b32_e64 v6, v6, 0, s[20:21]
	v_or_b32_e32 v20, v6, v22
.LBB2_3188:                             ;   in Loop: Header=BB2_2448 Depth=2
	s_or_b64 exec, exec, s[90:91]
                                        ; implicit-def: $vgpr22
.LBB2_3189:                             ;   in Loop: Header=BB2_2448 Depth=2
	s_andn2_saveexec_b64 s[20:21], s[88:89]
; %bb.3190:                             ;   in Loop: Header=BB2_2448 Depth=2
	v_or_b32_e32 v20, 0x7e, v22
; %bb.3191:                             ;   in Loop: Header=BB2_2448 Depth=2
	s_or_b64 exec, exec, s[20:21]
                                        ; implicit-def: $vgpr10
.LBB2_3192:                             ;   in Loop: Header=BB2_2448 Depth=2
	s_andn2_saveexec_b64 s[20:21], s[78:79]
; %bb.3193:                             ;   in Loop: Header=BB2_2448 Depth=2
	v_or_b32_sdwa v20, v10, s39 dst_sel:DWORD dst_unused:UNUSED_PAD src0_sel:BYTE_3 src1_sel:DWORD
; %bb.3194:                             ;   in Loop: Header=BB2_2448 Depth=2
	s_or_b64 exec, exec, s[20:21]
	v_cmp_lt_u32_e32 vcc, s61, v28
	v_mov_b32_e32 v11, 0
	s_and_saveexec_b64 s[20:21], vcc
	s_cbranch_execz .LBB2_3200
; %bb.3195:                             ;   in Loop: Header=BB2_2448 Depth=2
	v_lshrrev_b32_e32 v10, 24, v28
	v_cmp_ne_u32_sdwa s[88:89], v28, s50 src0_sel:BYTE_3 src1_sel:DWORD
	v_bfrev_b32_e32 v11, 1
	s_and_saveexec_b64 s[78:79], s[88:89]
	s_cbranch_execz .LBB2_3199
; %bb.3196:                             ;   in Loop: Header=BB2_2448 Depth=2
	v_bfe_u32 v6, v28, 24, 7
	v_cmp_ne_u32_e32 vcc, s39, v6
	v_mov_b32_e32 v11, 0x7f800001
	s_and_saveexec_b64 s[88:89], vcc
	s_cbranch_execz .LBB2_3198
; %bb.3197:                             ;   in Loop: Header=BB2_2448 Depth=2
	v_and_b32_e32 v8, 7, v10
	v_lshrrev_b32_e32 v9, 3, v6
	v_cmp_gt_u32_e32 vcc, 8, v6
	v_ffbh_u32_e32 v6, v8
	v_min_u32_e32 v11, 32, v6
	v_subrev_u32_e32 v6, 28, v11
	v_lshlrev_b64 v[6:7], v6, v[10:11]
	v_sub_u32_e32 v7, 29, v11
	v_and_b32_e32 v6, 7, v6
	v_cndmask_b32_e32 v6, v8, v6, vcc
	v_mov_b32_e32 v8, 24
	v_cndmask_b32_e32 v7, v9, v7, vcc
	v_lshlrev_b32_sdwa v8, v8, v28 dst_sel:DWORD dst_unused:UNUSED_PAD src0_sel:DWORD src1_sel:BYTE_3
	v_lshlrev_b32_e32 v6, 20, v6
	v_and_b32_e32 v8, 0x80000000, v8
	v_lshl_add_u32 v7, v7, 23, v57
	v_or3_b32 v11, v8, v7, v6
.LBB2_3198:                             ;   in Loop: Header=BB2_2448 Depth=2
	s_or_b64 exec, exec, s[88:89]
.LBB2_3199:                             ;   in Loop: Header=BB2_2448 Depth=2
	s_or_b64 exec, exec, s[78:79]
.LBB2_3200:                             ;   in Loop: Header=BB2_2448 Depth=2
	s_or_b64 exec, exec, s[20:21]
	v_bfe_u32 v9, v13, 24, 3
	v_ffbh_u32_e32 v7, v9
	v_min_u32_e32 v23, 32, v7
	v_lshrrev_b32_e32 v6, 24, v13
	v_subrev_u32_e32 v7, 28, v23
	v_lshlrev_b64 v[7:8], v7, v[6:7]
	v_bfe_u32 v10, v13, 24, 7
	v_bfe_u32 v22, v6, 3, 4
	v_sub_u32_e32 v8, 29, v23
	v_and_b32_e32 v7, 7, v7
	v_cmp_gt_u32_e32 vcc, 8, v10
	v_cndmask_b32_e32 v8, v22, v8, vcc
	v_cndmask_b32_e32 v7, v9, v7, vcc
	v_lshlrev_b32_e32 v7, 20, v7
	v_and_b32_e32 v9, 0x80000000, v13
	v_lshl_add_u32 v8, v8, 23, v57
	v_or3_b32 v7, v9, v8, v7
	v_cmp_ne_u32_e32 vcc, s39, v10
	v_cndmask_b32_e32 v7, v56, v7, vcc
	v_cmp_ne_u32_e32 vcc, s50, v6
	v_cndmask_b32_e32 v6, v61, v7, vcc
	v_cmp_lt_u64_e32 vcc, s[60:61], v[12:13]
                                        ; implicit-def: $vgpr10
	v_cndmask_b32_e32 v6, 0, v6, vcc
	v_add_f32_e32 v11, v6, v11
	v_and_b32_e32 v28, 0x7f800000, v11
	v_cmp_ne_u64_e32 vcc, s[46:47], v[28:29]
	s_and_saveexec_b64 s[20:21], vcc
	s_xor_b64 s[78:79], exec, s[20:21]
	s_cbranch_execz .LBB2_3214
; %bb.3201:                             ;   in Loop: Header=BB2_2448 Depth=2
	v_and_b32_e32 v28, 0x7fffffff, v11
	v_cmp_gt_u64_e32 vcc, s[56:57], v[28:29]
	v_and_b32_sdwa v13, v11, s50 dst_sel:DWORD dst_unused:UNUSED_PAD src0_sel:BYTE_3 src1_sel:DWORD
                                        ; implicit-def: $vgpr10
	s_and_saveexec_b64 s[20:21], vcc
	s_xor_b64 s[88:89], exec, s[20:21]
	s_cbranch_execz .LBB2_3211
; %bb.3202:                             ;   in Loop: Header=BB2_2448 Depth=2
	v_mov_b32_e32 v10, 0
	v_cmp_ne_u32_e32 vcc, 0, v11
	s_and_saveexec_b64 s[90:91], vcc
	s_cbranch_execz .LBB2_3210
; %bb.3203:                             ;   in Loop: Header=BB2_2448 Depth=2
	v_bfe_u32 v22, v11, 23, 8
	v_cmp_gt_u32_e64 s[20:21], s51, v22
	v_sub_u32_e32 v6, 0x79, v22
	v_and_b32_e32 v7, 0x7fffff, v11
	v_cmp_eq_u32_e32 vcc, 0, v22
	v_cndmask_b32_e64 v6, 0, v6, s[20:21]
	v_or_b32_e32 v8, 0x800000, v7
	v_cndmask_b32_e32 v6, v6, v58, vcc
	v_cndmask_b32_e32 v28, v8, v7, vcc
	v_add_u32_e32 v7, 20, v6
	v_lshlrev_b64 v[7:8], v7, -1
	v_add_u32_e32 v9, 19, v6
	v_lshlrev_b64 v[9:10], v9, 1
	v_bfi_b32 v8, v8, 0, 0
	v_bfi_b32 v7, v7, 0, v28
	v_cmp_eq_u64_e64 s[20:21], v[7:8], v[9:10]
	v_lshrrev_b64 v[10:11], v6, v[28:29]
	v_mov_b32_e32 v12, v11
	v_mov_b32_e32 v11, v10
	s_and_saveexec_b64 s[92:93], s[20:21]
; %bb.3204:                             ;   in Loop: Header=BB2_2448 Depth=2
	v_bfe_u32 v7, v10, 20, 1
	v_add_co_u32_e64 v7, s[20:21], v10, v7
	v_add_co_u32_e64 v11, s[20:21], -1, v7
; %bb.3205:                             ;   in Loop: Header=BB2_2448 Depth=2
	s_or_b64 exec, exec, s[92:93]
	v_add_u32_e32 v7, 0xffffff81, v22
	v_cndmask_b32_e32 v7, v7, v59, vcc
	v_lshrrev_b32_e32 v8, 23, v10
	v_add3_u32 v8, v6, v7, v8
	v_add_u32_e32 v7, 6, v8
	v_and_b32_e32 v6, 0xfffff, v11
	v_add_u32_e32 v28, v6, v10
	v_cmp_ne_u32_e32 vcc, 0, v7
                                        ; implicit-def: $vgpr10_vgpr11
                                        ; implicit-def: $vgpr6
	s_and_saveexec_b64 s[20:21], vcc
	s_xor_b64 s[20:21], exec, s[20:21]
; %bb.3206:                             ;   in Loop: Header=BB2_2448 Depth=2
	v_cmp_lt_u64_e32 vcc, s[58:59], v[28:29]
	v_add_u32_e32 v6, 7, v8
	v_cndmask_b32_e32 v6, v7, v6, vcc
	v_cndmask_b32_e64 v7, 0, 1, vcc
	v_lshrrev_b64 v[10:11], v7, v[28:29]
; %bb.3207:                             ;   in Loop: Header=BB2_2448 Depth=2
	s_andn2_saveexec_b64 s[20:21], s[20:21]
; %bb.3208:                             ;   in Loop: Header=BB2_2448 Depth=2
	v_mov_b32_e32 v10, v28
	v_bfe_u32 v6, v28, 23, 1
	v_mov_b32_e32 v11, v29
; %bb.3209:                             ;   in Loop: Header=BB2_2448 Depth=2
	s_or_b64 exec, exec, s[20:21]
	v_lshrrev_b64 v[7:8], 20, v[10:11]
	v_cmp_gt_i32_e32 vcc, 16, v6
	v_cndmask_b32_e32 v8, 0, v8, vcc
	v_cndmask_b32_e32 v7, 7, v7, vcc
	v_cmp_eq_u32_e32 vcc, 0, v6
	v_min_i32_e32 v6, 15, v6
	v_cmp_eq_u64_e64 s[20:21], 0, v[7:8]
	v_lshlrev_b32_e32 v6, 3, v6
	v_and_b32_e32 v6, 0xf8, v6
	v_and_or_b32 v6, v7, 7, v6
	s_and_b64 s[20:21], vcc, s[20:21]
	v_cndmask_b32_e64 v6, v6, 0, s[20:21]
	v_or_b32_e32 v10, v6, v13
.LBB2_3210:                             ;   in Loop: Header=BB2_2448 Depth=2
	s_or_b64 exec, exec, s[90:91]
                                        ; implicit-def: $vgpr13
.LBB2_3211:                             ;   in Loop: Header=BB2_2448 Depth=2
	s_andn2_saveexec_b64 s[20:21], s[88:89]
; %bb.3212:                             ;   in Loop: Header=BB2_2448 Depth=2
	v_or_b32_e32 v10, 0x7e, v13
; %bb.3213:                             ;   in Loop: Header=BB2_2448 Depth=2
	s_or_b64 exec, exec, s[20:21]
                                        ; implicit-def: $vgpr11
.LBB2_3214:                             ;   in Loop: Header=BB2_2448 Depth=2
	s_andn2_saveexec_b64 s[20:21], s[78:79]
	s_cbranch_execz .LBB2_2447
; %bb.3215:                             ;   in Loop: Header=BB2_2448 Depth=2
	v_or_b32_sdwa v10, v11, s39 dst_sel:DWORD dst_unused:UNUSED_PAD src0_sel:BYTE_3 src1_sel:DWORD
	s_branch .LBB2_2447
.LBB2_3216:                             ;   in Loop: Header=BB2_2448 Depth=2
	v_cmp_eq_u16_sdwa s[90:91], v10, s50 src0_sel:BYTE_0 src1_sel:DWORD
	s_mov_b64 s[20:21], -1
	s_and_saveexec_b64 s[88:89], s[90:91]
; %bb.3217:                             ;   in Loop: Header=BB2_2448 Depth=2
	s_xor_b64 s[20:21], exec, -1
; %bb.3218:                             ;   in Loop: Header=BB2_2448 Depth=2
	s_or_b64 exec, exec, s[88:89]
	s_and_b64 s[20:21], s[20:21], exec
	s_or_saveexec_b64 s[78:79], s[78:79]
	v_bfrev_b32_e32 v0, 1
	s_xor_b64 exec, exec, s[78:79]
	s_cbranch_execz .LBB2_2816
.LBB2_3219:                             ;   in Loop: Header=BB2_2448 Depth=2
	v_cmp_ne_u16_sdwa s[88:89], v10, v29 src0_sel:BYTE_0 src1_sel:DWORD
	s_andn2_b64 s[20:21], s[20:21], exec
	s_and_b64 s[88:89], s[88:89], exec
	v_mov_b32_e32 v0, 0
	s_or_b64 s[20:21], s[20:21], s[88:89]
	s_or_b64 exec, exec, s[78:79]
	s_and_saveexec_b64 s[78:79], s[20:21]
	s_cbranch_execnz .LBB2_2817
	s_branch .LBB2_2818
.LBB2_3220:                             ;   in Loop: Header=BB2_2448 Depth=2
	v_cmp_eq_u16_e32 vcc, s50, v54
	s_mov_b64 s[20:21], -1
	s_and_saveexec_b64 s[88:89], vcc
; %bb.3221:                             ;   in Loop: Header=BB2_2448 Depth=2
	s_xor_b64 s[20:21], exec, -1
; %bb.3222:                             ;   in Loop: Header=BB2_2448 Depth=2
	s_or_b64 exec, exec, s[88:89]
	s_and_b64 s[20:21], s[20:21], exec
	s_or_saveexec_b64 s[78:79], s[78:79]
	v_bfrev_b32_e32 v3, 1
	s_xor_b64 exec, exec, s[78:79]
	s_cbranch_execz .LBB2_2842
.LBB2_3223:                             ;   in Loop: Header=BB2_2448 Depth=2
	v_cmp_ne_u16_e32 vcc, 0, v54
	s_andn2_b64 s[20:21], s[20:21], exec
	s_and_b64 s[88:89], vcc, exec
	v_mov_b32_e32 v3, 0
	s_or_b64 s[20:21], s[20:21], s[88:89]
	s_or_b64 exec, exec, s[78:79]
	s_and_saveexec_b64 s[78:79], s[20:21]
	s_cbranch_execnz .LBB2_2843
	s_branch .LBB2_2844
.LBB2_3224:                             ;   in Loop: Header=BB2_2448 Depth=2
	v_cmp_eq_u16_sdwa s[90:91], v30, s50 src0_sel:BYTE_0 src1_sel:DWORD
	s_mov_b64 s[20:21], -1
	s_and_saveexec_b64 s[88:89], s[90:91]
; %bb.3225:                             ;   in Loop: Header=BB2_2448 Depth=2
	s_xor_b64 s[20:21], exec, -1
; %bb.3226:                             ;   in Loop: Header=BB2_2448 Depth=2
	s_or_b64 exec, exec, s[88:89]
	s_and_b64 s[20:21], s[20:21], exec
	s_or_saveexec_b64 s[78:79], s[78:79]
	v_bfrev_b32_e32 v4, 1
	s_xor_b64 exec, exec, s[78:79]
	s_cbranch_execz .LBB2_2868
.LBB2_3227:                             ;   in Loop: Header=BB2_2448 Depth=2
	v_cmp_ne_u16_sdwa s[88:89], v30, v29 src0_sel:BYTE_0 src1_sel:DWORD
	s_andn2_b64 s[20:21], s[20:21], exec
	s_and_b64 s[88:89], s[88:89], exec
	v_mov_b32_e32 v4, 0
	s_or_b64 s[20:21], s[20:21], s[88:89]
	s_or_b64 exec, exec, s[78:79]
	s_and_saveexec_b64 s[78:79], s[20:21]
	s_cbranch_execnz .LBB2_2869
	s_branch .LBB2_2870
.LBB2_3228:                             ;   in Loop: Header=BB2_2448 Depth=2
	v_cmp_eq_u16_e32 vcc, s50, v54
	s_mov_b64 s[20:21], -1
	s_and_saveexec_b64 s[88:89], vcc
; %bb.3229:                             ;   in Loop: Header=BB2_2448 Depth=2
	s_xor_b64 s[20:21], exec, -1
; %bb.3230:                             ;   in Loop: Header=BB2_2448 Depth=2
	s_or_b64 exec, exec, s[88:89]
	s_and_b64 s[20:21], s[20:21], exec
	s_or_saveexec_b64 s[78:79], s[78:79]
	v_bfrev_b32_e32 v4, 1
	s_xor_b64 exec, exec, s[78:79]
	s_cbranch_execz .LBB2_2946
.LBB2_3231:                             ;   in Loop: Header=BB2_2448 Depth=2
	v_cmp_ne_u16_e32 vcc, 0, v54
	s_andn2_b64 s[20:21], s[20:21], exec
	s_and_b64 s[88:89], vcc, exec
	v_mov_b32_e32 v4, 0
	s_or_b64 s[20:21], s[20:21], s[88:89]
	s_or_b64 exec, exec, s[78:79]
	s_and_saveexec_b64 s[78:79], s[20:21]
	s_cbranch_execnz .LBB2_2947
	s_branch .LBB2_2948
.LBB2_3232:                             ;   in Loop: Header=BB2_2448 Depth=2
	v_cmp_eq_u16_sdwa s[90:91], v30, s50 src0_sel:BYTE_0 src1_sel:DWORD
	s_mov_b64 s[20:21], -1
	s_and_saveexec_b64 s[88:89], s[90:91]
; %bb.3233:                             ;   in Loop: Header=BB2_2448 Depth=2
	s_xor_b64 s[20:21], exec, -1
; %bb.3234:                             ;   in Loop: Header=BB2_2448 Depth=2
	s_or_b64 exec, exec, s[88:89]
	s_and_b64 s[20:21], s[20:21], exec
	s_or_saveexec_b64 s[78:79], s[78:79]
	v_bfrev_b32_e32 v5, 1
	s_xor_b64 exec, exec, s[78:79]
	s_cbranch_execz .LBB2_2972
.LBB2_3235:                             ;   in Loop: Header=BB2_2448 Depth=2
	v_cmp_ne_u16_sdwa s[88:89], v30, v29 src0_sel:BYTE_0 src1_sel:DWORD
	s_andn2_b64 s[20:21], s[20:21], exec
	s_and_b64 s[88:89], s[88:89], exec
	v_mov_b32_e32 v5, 0
	s_or_b64 s[20:21], s[20:21], s[88:89]
	s_or_b64 exec, exec, s[78:79]
	s_and_saveexec_b64 s[78:79], s[20:21]
	s_cbranch_execnz .LBB2_2973
	s_branch .LBB2_2974
.LBB2_3236:                             ;   in Loop: Header=BB2_2448 Depth=2
	v_cmp_eq_u16_sdwa s[90:91], v12, s50 src0_sel:BYTE_0 src1_sel:DWORD
	s_mov_b64 s[20:21], -1
	s_and_saveexec_b64 s[88:89], s[90:91]
; %bb.3237:                             ;   in Loop: Header=BB2_2448 Depth=2
	s_xor_b64 s[20:21], exec, -1
; %bb.3238:                             ;   in Loop: Header=BB2_2448 Depth=2
	s_or_b64 exec, exec, s[88:89]
	s_and_b64 s[20:21], s[20:21], exec
	s_or_saveexec_b64 s[78:79], s[78:79]
	v_bfrev_b32_e32 v6, 1
	s_xor_b64 exec, exec, s[78:79]
	s_cbranch_execz .LBB2_3020
.LBB2_3239:                             ;   in Loop: Header=BB2_2448 Depth=2
	v_cmp_ne_u16_sdwa s[88:89], v12, v29 src0_sel:BYTE_0 src1_sel:DWORD
	s_andn2_b64 s[20:21], s[20:21], exec
	s_and_b64 s[88:89], s[88:89], exec
	v_mov_b32_e32 v6, 0
	s_or_b64 s[20:21], s[20:21], s[88:89]
	s_or_b64 exec, exec, s[78:79]
	s_and_saveexec_b64 s[78:79], s[20:21]
	s_cbranch_execnz .LBB2_3021
	s_branch .LBB2_3022
.LBB2_3240:                             ;   in Loop: Header=BB2_2448 Depth=2
	v_cmp_eq_u16_e32 vcc, s50, v10
	s_mov_b64 s[20:21], -1
	s_and_saveexec_b64 s[88:89], vcc
; %bb.3241:                             ;   in Loop: Header=BB2_2448 Depth=2
	s_xor_b64 s[20:21], exec, -1
; %bb.3242:                             ;   in Loop: Header=BB2_2448 Depth=2
	s_or_b64 exec, exec, s[88:89]
	s_and_b64 s[20:21], s[20:21], exec
	s_or_saveexec_b64 s[78:79], s[78:79]
	v_bfrev_b32_e32 v4, 1
	s_xor_b64 exec, exec, s[78:79]
	s_cbranch_execz .LBB2_3046
.LBB2_3243:                             ;   in Loop: Header=BB2_2448 Depth=2
	v_cmp_ne_u16_e32 vcc, 0, v10
	s_andn2_b64 s[20:21], s[20:21], exec
	s_and_b64 s[88:89], vcc, exec
	v_mov_b32_e32 v4, 0
	s_or_b64 s[20:21], s[20:21], s[88:89]
	s_or_b64 exec, exec, s[78:79]
	s_and_saveexec_b64 s[78:79], s[20:21]
	s_cbranch_execnz .LBB2_3047
	s_branch .LBB2_3048
.LBB2_3244:                             ;   in Loop: Header=BB2_2448 Depth=2
	v_cmp_eq_u16_sdwa s[90:91], v10, s50 src0_sel:BYTE_0 src1_sel:DWORD
	s_mov_b64 s[20:21], -1
	s_and_saveexec_b64 s[88:89], s[90:91]
; %bb.3245:                             ;   in Loop: Header=BB2_2448 Depth=2
	s_xor_b64 s[20:21], exec, -1
; %bb.3246:                             ;   in Loop: Header=BB2_2448 Depth=2
	s_or_b64 exec, exec, s[88:89]
	s_and_b64 s[20:21], s[20:21], exec
	s_or_saveexec_b64 s[78:79], s[78:79]
	v_bfrev_b32_e32 v5, 1
	s_xor_b64 exec, exec, s[78:79]
	s_cbranch_execz .LBB2_3072
.LBB2_3247:                             ;   in Loop: Header=BB2_2448 Depth=2
	v_cmp_ne_u16_sdwa s[88:89], v10, v29 src0_sel:BYTE_0 src1_sel:DWORD
	s_andn2_b64 s[20:21], s[20:21], exec
	s_and_b64 s[88:89], s[88:89], exec
	v_mov_b32_e32 v5, 0
	s_or_b64 s[20:21], s[20:21], s[88:89]
	s_or_b64 exec, exec, s[78:79]
	s_and_saveexec_b64 s[78:79], s[20:21]
	s_cbranch_execnz .LBB2_3073
	s_branch .LBB2_3074
.LBB2_3248:                             ;   in Loop: Header=BB2_2448 Depth=2
	v_cmp_eq_u16_e32 vcc, s50, v10
	s_mov_b64 s[20:21], -1
	s_and_saveexec_b64 s[88:89], vcc
; %bb.3249:                             ;   in Loop: Header=BB2_2448 Depth=2
	s_xor_b64 s[20:21], exec, -1
; %bb.3250:                             ;   in Loop: Header=BB2_2448 Depth=2
	s_or_b64 exec, exec, s[88:89]
	s_and_b64 s[20:21], s[20:21], exec
	s_or_saveexec_b64 s[78:79], s[78:79]
	v_bfrev_b32_e32 v5, 1
	s_xor_b64 exec, exec, s[78:79]
	s_cbranch_execz .LBB2_3150
.LBB2_3251:                             ;   in Loop: Header=BB2_2448 Depth=2
	v_cmp_ne_u16_e32 vcc, 0, v10
	s_andn2_b64 s[20:21], s[20:21], exec
	s_and_b64 s[88:89], vcc, exec
	v_mov_b32_e32 v5, 0
	s_or_b64 s[20:21], s[20:21], s[88:89]
	s_or_b64 exec, exec, s[78:79]
	s_and_saveexec_b64 s[78:79], s[20:21]
	s_cbranch_execnz .LBB2_3151
	s_branch .LBB2_3152
.LBB2_3252:                             ;   in Loop: Header=BB2_2448 Depth=2
	v_cmp_eq_u16_sdwa s[90:91], v10, s50 src0_sel:BYTE_0 src1_sel:DWORD
	s_mov_b64 s[20:21], -1
	s_and_saveexec_b64 s[88:89], s[90:91]
; %bb.3253:                             ;   in Loop: Header=BB2_2448 Depth=2
	s_xor_b64 s[20:21], exec, -1
; %bb.3254:                             ;   in Loop: Header=BB2_2448 Depth=2
	s_or_b64 exec, exec, s[88:89]
	s_and_b64 s[20:21], s[20:21], exec
	s_or_saveexec_b64 s[78:79], s[78:79]
	v_bfrev_b32_e32 v6, 1
	s_xor_b64 exec, exec, s[78:79]
	s_cbranch_execz .LBB2_3176
.LBB2_3255:                             ;   in Loop: Header=BB2_2448 Depth=2
	v_cmp_ne_u16_sdwa s[88:89], v10, v29 src0_sel:BYTE_0 src1_sel:DWORD
	s_andn2_b64 s[20:21], s[20:21], exec
	s_and_b64 s[88:89], s[88:89], exec
	v_mov_b32_e32 v6, 0
	s_or_b64 s[20:21], s[20:21], s[88:89]
	s_or_b64 exec, exec, s[78:79]
	s_and_saveexec_b64 s[78:79], s[20:21]
	s_cbranch_execnz .LBB2_3177
	s_branch .LBB2_3178
.LBB2_3256:                             ;   in Loop: Header=BB2_2373 Depth=1
	s_or_b64 exec, exec, s[76:77]
	buffer_load_dword v52, off, s[0:3], s33 offset:144 ; 4-byte Folded Reload
	buffer_load_dword v50, off, s[0:3], s33 offset:148 ; 4-byte Folded Reload
	;; [unrolled: 1-line block ×8, first 2 shown]
.LBB2_3257:                             ;   in Loop: Header=BB2_2373 Depth=1
	s_or_b64 exec, exec, s[74:75]
	s_waitcnt vmcnt(5)
	v_and_b32_e32 v0, 15, v51
	s_waitcnt vmcnt(0)
	v_cndmask_b32_e64 v4, v3, v0, s[18:19]
	v_mov_b32_e32 v53, 0
	v_cmp_ne_u32_e32 vcc, 0, v4
	s_mov_b64 s[74:75], 0
                                        ; implicit-def: $vgpr14
	s_and_saveexec_b64 s[20:21], vcc
	s_cbranch_execz .LBB2_4071
; %bb.3258:                             ;   in Loop: Header=BB2_2373 Depth=1
	buffer_load_dword v1, off, s[0:3], s33 offset:176 ; 4-byte Folded Reload
	v_and_b32_e32 v0, 0x3f0, v51
	v_cndmask_b32_e64 v0, 0, v0, s[18:19]
	v_cmp_lt_i32_e32 vcc, 0, v16
	v_and_or_b32 v53, v51, s52, v0
	v_cndmask_b32_e32 v0, 0, v2, vcc
	v_sub_u32_e32 v0, v0, v16
	s_waitcnt vmcnt(0)
	v_lshl_or_b32 v0, v0, 6, v1
	v_ashrrev_i32_e32 v1, 31, v0
	v_lshrrev_b32_e32 v1, 26, v1
	v_add_u32_e32 v1, v0, v1
	v_ashrrev_i32_e32 v3, 6, v1
	v_and_b32_e32 v1, 0xffffffc0, v1
	v_sub_u32_e32 v1, v0, v1
	v_lshlrev_b32_e32 v0, 4, v1
	v_lshl_add_u32 v0, v3, 10, v0
	v_sub_u32_e32 v17, v4, v0
	v_sub_u32_e32 v16, 0, v3
	v_cmp_lt_i32_e32 vcc, 15, v17
	s_and_saveexec_b64 s[74:75], vcc
	s_cbranch_execz .LBB2_4070
; %bb.3259:                             ;   in Loop: Header=BB2_2373 Depth=1
	v_add_u32_e32 v3, v0, v53
	buffer_store_dword v1, off, s[0:3], s33 offset:204 ; 4-byte Folded Spill
	buffer_store_dword v4, off, s[0:3], s33 offset:200 ; 4-byte Folded Spill
	;; [unrolled: 1-line block ×4, first 2 shown]
	s_trap 2
	ds_read_b64 v[0:1], v0
	v_add_co_u32_e32 v48, vcc, v3, v7
	buffer_store_dword v7, off, s[0:3], s33 offset:136 ; 4-byte Folded Spill
	s_nop 0
	buffer_store_dword v8, off, s[0:3], s33 offset:140 ; 4-byte Folded Spill
	v_ashrrev_i32_e32 v4, 31, v3
	s_waitcnt lgkmcnt(0)
	v_readfirstlane_b32 s18, v0
	s_and_b32 s19, s18, 7
	s_flbit_i32_b32 s19, s19
	s_min_u32 s19, s19, 32
	s_and_b32 s76, s18, 0x7f
	s_bfe_u32 s77, s18, 0x40003
	s_sub_i32 s78, s19, 28
	s_sub_i32 s19, 29, s19
	s_cmp_lt_u32 s76, 8
	s_cselect_b32 s78, s78, 0
	s_cselect_b32 s19, s19, s77
	s_lshl_b32 s77, s18, 24
	s_lshl_b32 s19, s19, 23
	s_and_b32 s77, s77, 0x80000000
	s_add_i32 s19, s19, 0x3c000000
	s_or_b32 s19, s77, s19
	s_cmpk_lg_i32 s76, 0x7f
	s_mov_b64 s[76:77], 0
	v_addc_co_u32_e32 v49, vcc, v4, v8, vcc
	v_add_co_u32_e32 v50, vcc, v0, v3
	v_addc_co_u32_e32 v51, vcc, v1, v4, vcc
	v_add_co_u32_e32 v52, vcc, v3, v5
	buffer_store_dword v5, off, s[0:3], s33 offset:128 ; 4-byte Folded Spill
	s_nop 0
	buffer_store_dword v6, off, s[0:3], s33 offset:132 ; 4-byte Folded Spill
	v_lshlrev_b64 v[0:1], s78, v[0:1]
	v_lshlrev_b32_e32 v0, 20, v0
	v_and_b32_e32 v0, 0x700000, v0
	v_or_b32_e32 v0, s19, v0
	v_addc_co_u32_e32 v53, vcc, v4, v6, vcc
	s_cselect_b64 vcc, -1, 0
	v_cndmask_b32_e32 v0, v56, v0, vcc
	s_and_b32 s94, s18, 0xff
	buffer_store_dword v0, off, s[0:3], s33 offset:84 ; 4-byte Folded Spill
	s_branch .LBB2_3261
.LBB2_3260:                             ;   in Loop: Header=BB2_3261 Depth=2
	s_or_b64 exec, exec, s[18:19]
	v_lshl_or_b32 v6, v37, 8, v35
	v_lshlrev_b32_e32 v7, 16, v38
	v_lshlrev_b32_e32 v8, 24, v30
	v_or3_b32 v7, v6, v7, v8
	v_lshl_or_b32 v0, v14, 8, v0
	v_lshlrev_b32_e32 v6, 16, v46
	v_lshlrev_b32_e32 v8, 24, v36
	v_add_co_u32_e32 v48, vcc, v48, v42
	v_or3_b32 v6, v0, v6, v8
	v_lshl_or_b32 v0, v21, 8, v15
	v_lshlrev_b32_e32 v8, 16, v26
	v_lshlrev_b32_e32 v4, 24, v4
	v_addc_co_u32_e32 v49, vcc, 0, v49, vcc
	v_or3_b32 v8, v0, v8, v4
	v_lshlrev_b32_e32 v0, 24, v10
	v_lshlrev_b32_e32 v4, 16, v5
	v_lshl_or_b32 v1, v3, 8, v1
	v_add_co_u32_e32 v50, vcc, v50, v42
	v_or3_b32 v9, v1, v4, v0
	v_addc_co_u32_e32 v51, vcc, 0, v51, vcc
	global_store_dwordx4 v[52:53], v[6:9], off glc slc
	v_add_co_u32_e32 v52, vcc, v52, v42
	v_addc_co_u32_e32 v53, vcc, 0, v53, vcc
	v_sub_u32_e32 v17, v17, v42
	v_cmp_gt_i32_e32 vcc, 16, v17
	s_or_b64 s[76:77], vcc, s[76:77]
	v_sub_u32_e32 v16, v16, v2
	s_andn2_b64 exec, exec, s[76:77]
	s_cbranch_execz .LBB2_4069
.LBB2_3261:                             ;   Parent Loop BB2_2373 Depth=1
                                        ; =>  This Inner Loop Header: Depth=2
	s_cmpk_lt_i32 s94, 0x80
	s_cbranch_scc1 .LBB2_3265
; %bb.3262:                             ;   in Loop: Header=BB2_3261 Depth=2
	s_and_b32 s18, 0xffff, s94
	s_cmpk_eq_i32 s18, 0x80
	s_mov_b64 s[18:19], -1
	s_cbranch_scc0 .LBB2_3264
; %bb.3263:                             ;   in Loop: Header=BB2_3261 Depth=2
	s_mov_b64 s[18:19], 0
.LBB2_3264:                             ;   in Loop: Header=BB2_3261 Depth=2
	s_brev_b32 s88, 1
	s_branch .LBB2_3267
.LBB2_3265:                             ;   in Loop: Header=BB2_3261 Depth=2
	s_mov_b64 s[18:19], 0
	s_brev_b32 s88, 1
	s_cbranch_execz .LBB2_3267
; %bb.3266:                             ;   in Loop: Header=BB2_3261 Depth=2
	s_and_b32 s18, 0xffff, s94
	s_cmp_lg_u32 s18, 0
	s_mov_b32 s88, 0
	s_cselect_b64 s[18:19], -1, 0
.LBB2_3267:                             ;   in Loop: Header=BB2_3261 Depth=2
	s_andn2_b64 vcc, exec, s[18:19]
	v_mov_b32_e32 v14, s88
	s_cbranch_vccnz .LBB2_3269
; %bb.3268:                             ;   in Loop: Header=BB2_3261 Depth=2
	buffer_load_dword v14, off, s[0:3], s33 offset:84 ; 4-byte Folded Reload
.LBB2_3269:                             ;   in Loop: Header=BB2_3261 Depth=2
	global_load_dwordx4 v[10:13], v[48:49], off glc slc
	v_mov_b32_e32 v0, 0
	s_waitcnt vmcnt(0)
	v_cmp_ne_u16_sdwa s[78:79], v10, v29 src0_sel:BYTE_0 src1_sel:DWORD
	s_and_saveexec_b64 s[18:19], s[78:79]
	s_cbranch_execz .LBB2_3275
; %bb.3270:                             ;   in Loop: Header=BB2_3261 Depth=2
	v_cmp_ne_u16_sdwa s[88:89], v10, s50 src0_sel:BYTE_0 src1_sel:DWORD
	v_bfrev_b32_e32 v0, 1
	s_and_saveexec_b64 s[78:79], s[88:89]
	s_cbranch_execz .LBB2_3274
; %bb.3271:                             ;   in Loop: Header=BB2_3261 Depth=2
	v_and_b32_e32 v1, 0x7f, v10
	v_cmp_ne_u32_e32 vcc, s39, v1
	v_mov_b32_e32 v0, 0x7f800001
	s_and_saveexec_b64 s[88:89], vcc
	s_cbranch_execz .LBB2_3273
; %bb.3272:                             ;   in Loop: Header=BB2_3261 Depth=2
	v_and_b32_e32 v0, 7, v10
	v_ffbh_u32_e32 v0, v0
	v_min_u32_e32 v0, 32, v0
	v_lshrrev_b32_e32 v3, 3, v1
	v_cmp_gt_u32_e32 vcc, 8, v1
	v_subrev_u32_e32 v1, 28, v0
	v_sub_u32_e32 v0, 29, v0
	v_cndmask_b32_e32 v3, v3, v0, vcc
	v_cndmask_b32_e32 v0, 0, v1, vcc
	v_lshlrev_b64 v[0:1], v0, v[10:11]
	v_lshlrev_b32_e32 v1, 24, v10
	v_lshlrev_b32_e32 v0, 20, v0
	v_and_b32_e32 v0, 0x700000, v0
	v_and_b32_e32 v1, 0x80000000, v1
	v_lshl_add_u32 v3, v3, 23, v57
	v_or3_b32 v0, v1, v3, v0
.LBB2_3273:                             ;   in Loop: Header=BB2_3261 Depth=2
	s_or_b64 exec, exec, s[88:89]
.LBB2_3274:                             ;   in Loop: Header=BB2_3261 Depth=2
	s_or_b64 exec, exec, s[78:79]
.LBB2_3275:                             ;   in Loop: Header=BB2_3261 Depth=2
	s_or_b64 exec, exec, s[18:19]
	v_mul_f32_e32 v3, v14, v0
	v_and_b32_e32 v28, 0x7f800000, v3
	v_cmp_ne_u64_e32 vcc, s[46:47], v[28:29]
                                        ; implicit-def: $vgpr0
	s_and_saveexec_b64 s[18:19], vcc
	s_xor_b64 s[78:79], exec, s[18:19]
	s_cbranch_execz .LBB2_3289
; %bb.3276:                             ;   in Loop: Header=BB2_3261 Depth=2
	v_and_b32_e32 v28, 0x7fffffff, v3
	v_cmp_gt_u64_e32 vcc, s[56:57], v[28:29]
	v_and_b32_sdwa v1, v3, s50 dst_sel:DWORD dst_unused:UNUSED_PAD src0_sel:BYTE_3 src1_sel:DWORD
                                        ; implicit-def: $vgpr0
	s_and_saveexec_b64 s[18:19], vcc
	s_xor_b64 s[88:89], exec, s[18:19]
	s_cbranch_execz .LBB2_3286
; %bb.3277:                             ;   in Loop: Header=BB2_3261 Depth=2
	v_mov_b32_e32 v0, 0
	v_cmp_ne_u32_e32 vcc, 0, v3
	s_and_saveexec_b64 s[90:91], vcc
	s_cbranch_execz .LBB2_3285
; %bb.3278:                             ;   in Loop: Header=BB2_3261 Depth=2
	v_bfe_u32 v0, v3, 23, 8
	v_and_b32_e32 v4, 0x7fffff, v3
	v_cmp_gt_u32_e64 s[18:19], s51, v0
	v_sub_u32_e32 v3, 0x79, v0
	v_cmp_eq_u32_e32 vcc, 0, v0
	v_cndmask_b32_e64 v3, 0, v3, s[18:19]
	v_or_b32_e32 v5, 0x800000, v4
	v_cndmask_b32_e32 v3, v3, v58, vcc
	v_cndmask_b32_e32 v28, v5, v4, vcc
	v_add_u32_e32 v4, 20, v3
	v_lshlrev_b64 v[4:5], v4, -1
	v_add_u32_e32 v6, 19, v3
	v_lshlrev_b64 v[6:7], v6, 1
	v_bfi_b32 v5, v5, 0, 0
	v_bfi_b32 v4, v4, 0, v28
	v_lshrrev_b64 v[54:55], v3, v[28:29]
	v_cmp_eq_u64_e64 s[18:19], v[4:5], v[6:7]
	v_mov_b32_e32 v39, v54
	v_mov_b32_e32 v40, v55
	s_and_saveexec_b64 s[92:93], s[18:19]
; %bb.3279:                             ;   in Loop: Header=BB2_3261 Depth=2
	v_bfe_u32 v4, v54, 20, 1
	v_add_co_u32_e64 v4, s[18:19], v54, v4
	v_add_co_u32_e64 v39, s[18:19], -1, v4
; %bb.3280:                             ;   in Loop: Header=BB2_3261 Depth=2
	s_or_b64 exec, exec, s[92:93]
	v_add_u32_e32 v0, 0xffffff81, v0
	v_cndmask_b32_e32 v0, v0, v59, vcc
	v_lshrrev_b32_e32 v4, 23, v54
	v_add3_u32 v4, v3, v0, v4
	v_add_u32_e32 v3, 6, v4
	v_and_b32_e32 v0, 0xfffff, v39
	v_add_u32_e32 v28, v0, v54
	v_cmp_ne_u32_e32 vcc, 0, v3
                                        ; implicit-def: $vgpr54_vgpr55
                                        ; implicit-def: $vgpr0
	s_and_saveexec_b64 s[18:19], vcc
	s_xor_b64 s[18:19], exec, s[18:19]
; %bb.3281:                             ;   in Loop: Header=BB2_3261 Depth=2
	v_cmp_lt_u64_e32 vcc, s[58:59], v[28:29]
	v_add_u32_e32 v0, 7, v4
	v_cndmask_b32_e32 v0, v3, v0, vcc
	v_cndmask_b32_e64 v3, 0, 1, vcc
	v_lshrrev_b64 v[54:55], v3, v[28:29]
; %bb.3282:                             ;   in Loop: Header=BB2_3261 Depth=2
	s_andn2_saveexec_b64 s[18:19], s[18:19]
; %bb.3283:                             ;   in Loop: Header=BB2_3261 Depth=2
	v_mov_b32_e32 v55, v29
	v_bfe_u32 v0, v28, 23, 1
	v_mov_b32_e32 v54, v28
; %bb.3284:                             ;   in Loop: Header=BB2_3261 Depth=2
	s_or_b64 exec, exec, s[18:19]
	v_lshrrev_b64 v[3:4], 20, v[54:55]
	v_cmp_gt_i32_e32 vcc, 16, v0
	v_cndmask_b32_e32 v4, 0, v4, vcc
	v_cndmask_b32_e32 v3, 7, v3, vcc
	v_cmp_eq_u32_e32 vcc, 0, v0
	v_min_i32_e32 v0, 15, v0
	v_cmp_eq_u64_e64 s[18:19], 0, v[3:4]
	v_lshlrev_b32_e32 v0, 3, v0
	v_and_b32_e32 v0, 0xf8, v0
	v_and_or_b32 v0, v3, 7, v0
	s_and_b64 s[18:19], vcc, s[18:19]
	v_cndmask_b32_e64 v0, v0, 0, s[18:19]
	v_or_b32_e32 v0, v0, v1
.LBB2_3285:                             ;   in Loop: Header=BB2_3261 Depth=2
	s_or_b64 exec, exec, s[90:91]
                                        ; implicit-def: $vgpr1
.LBB2_3286:                             ;   in Loop: Header=BB2_3261 Depth=2
	s_andn2_saveexec_b64 s[18:19], s[88:89]
; %bb.3287:                             ;   in Loop: Header=BB2_3261 Depth=2
	v_or_b32_e32 v0, 0x7e, v1
; %bb.3288:                             ;   in Loop: Header=BB2_3261 Depth=2
	s_or_b64 exec, exec, s[18:19]
                                        ; implicit-def: $vgpr3
.LBB2_3289:                             ;   in Loop: Header=BB2_3261 Depth=2
	s_andn2_saveexec_b64 s[18:19], s[78:79]
; %bb.3290:                             ;   in Loop: Header=BB2_3261 Depth=2
	v_or_b32_sdwa v0, v3, s39 dst_sel:DWORD dst_unused:UNUSED_PAD src0_sel:BYTE_3 src1_sel:DWORD
; %bb.3291:                             ;   in Loop: Header=BB2_3261 Depth=2
	s_or_b64 exec, exec, s[18:19]
	v_lshrrev_b16_e32 v28, 8, v10
	v_cmp_ne_u16_e32 vcc, 0, v28
	v_mov_b32_e32 v1, 0
	s_and_saveexec_b64 s[18:19], vcc
	s_cbranch_execz .LBB2_3297
; %bb.3292:                             ;   in Loop: Header=BB2_3261 Depth=2
	v_cmp_ne_u16_e32 vcc, s50, v28
	v_bfrev_b32_e32 v1, 1
	s_and_saveexec_b64 s[78:79], vcc
	s_cbranch_execz .LBB2_3296
; %bb.3293:                             ;   in Loop: Header=BB2_3261 Depth=2
	v_and_b32_e32 v3, 0x7f, v28
	v_cmp_ne_u32_e32 vcc, s39, v3
	v_mov_b32_e32 v1, 0x7f800001
	s_and_saveexec_b64 s[88:89], vcc
	s_cbranch_execz .LBB2_3295
; %bb.3294:                             ;   in Loop: Header=BB2_3261 Depth=2
	v_and_b32_e32 v1, 7, v28
	v_lshrrev_b32_e32 v5, 3, v3
	v_cmp_gt_u32_e32 vcc, 8, v3
	v_ffbh_u32_e32 v3, v1
	v_min_u32_e32 v6, 32, v3
	v_subrev_u32_e32 v3, 28, v6
	v_lshlrev_b64 v[3:4], v3, v[28:29]
	v_sub_u32_e32 v4, 29, v6
	v_and_b32_e32 v3, 7, v3
	v_cndmask_b32_e32 v4, v5, v4, vcc
	v_cndmask_b32_e32 v1, v1, v3, vcc
	v_lshlrev_b32_e32 v3, 16, v10
	v_lshlrev_b32_e32 v1, 20, v1
	v_and_b32_e32 v3, 0x80000000, v3
	v_lshl_add_u32 v4, v4, 23, v57
	v_or3_b32 v1, v3, v4, v1
.LBB2_3295:                             ;   in Loop: Header=BB2_3261 Depth=2
	s_or_b64 exec, exec, s[88:89]
.LBB2_3296:                             ;   in Loop: Header=BB2_3261 Depth=2
	s_or_b64 exec, exec, s[78:79]
.LBB2_3297:                             ;   in Loop: Header=BB2_3261 Depth=2
	s_or_b64 exec, exec, s[18:19]
	v_mul_f32_e32 v3, v14, v1
	v_and_b32_e32 v28, 0x7f800000, v3
	v_cmp_ne_u64_e32 vcc, s[46:47], v[28:29]
                                        ; implicit-def: $vgpr36
	s_and_saveexec_b64 s[18:19], vcc
	s_xor_b64 s[78:79], exec, s[18:19]
	s_cbranch_execz .LBB2_3311
; %bb.3298:                             ;   in Loop: Header=BB2_3261 Depth=2
	v_and_b32_e32 v28, 0x7fffffff, v3
	v_cmp_gt_u64_e32 vcc, s[56:57], v[28:29]
	v_and_b32_sdwa v1, v3, s50 dst_sel:DWORD dst_unused:UNUSED_PAD src0_sel:BYTE_3 src1_sel:DWORD
                                        ; implicit-def: $vgpr36
	s_and_saveexec_b64 s[18:19], vcc
	s_xor_b64 s[88:89], exec, s[18:19]
	s_cbranch_execz .LBB2_3308
; %bb.3299:                             ;   in Loop: Header=BB2_3261 Depth=2
	v_mov_b32_e32 v36, 0
	v_cmp_ne_u32_e32 vcc, 0, v3
	s_and_saveexec_b64 s[90:91], vcc
	s_cbranch_execz .LBB2_3307
; %bb.3300:                             ;   in Loop: Header=BB2_3261 Depth=2
	v_and_b32_e32 v5, 0x7fffff, v3
	v_bfe_u32 v3, v3, 23, 8
	v_cmp_gt_u32_e64 s[18:19], s51, v3
	v_sub_u32_e32 v4, 0x79, v3
	v_cmp_eq_u32_e32 vcc, 0, v3
	v_cndmask_b32_e64 v4, 0, v4, s[18:19]
	v_or_b32_e32 v6, 0x800000, v5
	v_cndmask_b32_e32 v4, v4, v58, vcc
	v_cndmask_b32_e32 v28, v6, v5, vcc
	v_add_u32_e32 v5, 20, v4
	v_lshlrev_b64 v[5:6], v5, -1
	v_add_u32_e32 v7, 19, v4
	v_lshlrev_b64 v[7:8], v7, 1
	v_bfi_b32 v6, v6, 0, 0
	v_bfi_b32 v5, v5, 0, v28
	v_lshrrev_b64 v[54:55], v4, v[28:29]
	v_cmp_eq_u64_e64 s[18:19], v[5:6], v[7:8]
	v_mov_b32_e32 v39, v54
	v_mov_b32_e32 v40, v55
	s_and_saveexec_b64 s[92:93], s[18:19]
; %bb.3301:                             ;   in Loop: Header=BB2_3261 Depth=2
	v_bfe_u32 v5, v54, 20, 1
	v_add_co_u32_e64 v5, s[18:19], v54, v5
	v_add_co_u32_e64 v39, s[18:19], -1, v5
; %bb.3302:                             ;   in Loop: Header=BB2_3261 Depth=2
	s_or_b64 exec, exec, s[92:93]
	v_add_u32_e32 v3, 0xffffff81, v3
	v_cndmask_b32_e32 v3, v3, v59, vcc
	v_lshrrev_b32_e32 v5, 23, v54
	v_add3_u32 v5, v4, v3, v5
	v_add_u32_e32 v4, 6, v5
	v_and_b32_e32 v3, 0xfffff, v39
	v_add_u32_e32 v28, v3, v54
	v_cmp_ne_u32_e32 vcc, 0, v4
                                        ; implicit-def: $vgpr54_vgpr55
                                        ; implicit-def: $vgpr3
	s_and_saveexec_b64 s[18:19], vcc
	s_xor_b64 s[18:19], exec, s[18:19]
; %bb.3303:                             ;   in Loop: Header=BB2_3261 Depth=2
	v_cmp_lt_u64_e32 vcc, s[58:59], v[28:29]
	v_add_u32_e32 v3, 7, v5
	v_cndmask_b32_e32 v3, v4, v3, vcc
	v_cndmask_b32_e64 v4, 0, 1, vcc
	v_lshrrev_b64 v[54:55], v4, v[28:29]
; %bb.3304:                             ;   in Loop: Header=BB2_3261 Depth=2
	s_andn2_saveexec_b64 s[18:19], s[18:19]
; %bb.3305:                             ;   in Loop: Header=BB2_3261 Depth=2
	v_mov_b32_e32 v55, v29
	v_bfe_u32 v3, v28, 23, 1
	v_mov_b32_e32 v54, v28
; %bb.3306:                             ;   in Loop: Header=BB2_3261 Depth=2
	s_or_b64 exec, exec, s[18:19]
	v_lshrrev_b64 v[4:5], 20, v[54:55]
	v_cmp_gt_i32_e32 vcc, 16, v3
	v_cndmask_b32_e32 v5, 0, v5, vcc
	v_cndmask_b32_e32 v4, 7, v4, vcc
	v_cmp_eq_u32_e32 vcc, 0, v3
	v_min_i32_e32 v3, 15, v3
	v_cmp_eq_u64_e64 s[18:19], 0, v[4:5]
	v_lshlrev_b32_e32 v3, 3, v3
	v_and_b32_e32 v3, 0xf8, v3
	v_and_or_b32 v3, v4, 7, v3
	s_and_b64 s[18:19], vcc, s[18:19]
	v_cndmask_b32_e64 v3, v3, 0, s[18:19]
	v_or_b32_e32 v36, v3, v1
.LBB2_3307:                             ;   in Loop: Header=BB2_3261 Depth=2
	s_or_b64 exec, exec, s[90:91]
                                        ; implicit-def: $vgpr1
.LBB2_3308:                             ;   in Loop: Header=BB2_3261 Depth=2
	s_andn2_saveexec_b64 s[18:19], s[88:89]
; %bb.3309:                             ;   in Loop: Header=BB2_3261 Depth=2
	v_or_b32_e32 v36, 0x7e, v1
; %bb.3310:                             ;   in Loop: Header=BB2_3261 Depth=2
	s_or_b64 exec, exec, s[18:19]
                                        ; implicit-def: $vgpr3
.LBB2_3311:                             ;   in Loop: Header=BB2_3261 Depth=2
	s_andn2_saveexec_b64 s[18:19], s[78:79]
; %bb.3312:                             ;   in Loop: Header=BB2_3261 Depth=2
	v_or_b32_sdwa v36, v3, s39 dst_sel:DWORD dst_unused:UNUSED_PAD src0_sel:BYTE_3 src1_sel:DWORD
; %bb.3313:                             ;   in Loop: Header=BB2_3261 Depth=2
	s_or_b64 exec, exec, s[18:19]
	v_lshrrev_b32_e32 v28, 16, v10
	v_cmp_ne_u16_sdwa s[78:79], v28, v29 src0_sel:BYTE_0 src1_sel:DWORD
	v_mov_b32_e32 v1, 0
	s_and_saveexec_b64 s[18:19], s[78:79]
	s_cbranch_execz .LBB2_3319
; %bb.3314:                             ;   in Loop: Header=BB2_3261 Depth=2
	v_cmp_ne_u16_sdwa s[88:89], v28, s50 src0_sel:BYTE_0 src1_sel:DWORD
	v_bfrev_b32_e32 v1, 1
	s_and_saveexec_b64 s[78:79], s[88:89]
	s_cbranch_execz .LBB2_3318
; %bb.3315:                             ;   in Loop: Header=BB2_3261 Depth=2
	v_bfe_u32 v3, v10, 16, 7
	v_cmp_ne_u32_e32 vcc, s39, v3
	v_mov_b32_e32 v1, 0x7f800001
	s_and_saveexec_b64 s[88:89], vcc
	s_cbranch_execz .LBB2_3317
; %bb.3316:                             ;   in Loop: Header=BB2_3261 Depth=2
	v_and_b32_e32 v1, 7, v28
	v_lshrrev_b32_e32 v5, 3, v3
	v_cmp_gt_u32_e32 vcc, 8, v3
	v_ffbh_u32_e32 v3, v1
	v_min_u32_e32 v6, 32, v3
	v_subrev_u32_e32 v3, 28, v6
	v_lshlrev_b64 v[3:4], v3, v[28:29]
	v_sub_u32_e32 v4, 29, v6
	v_and_b32_e32 v3, 7, v3
	v_cndmask_b32_e32 v4, v5, v4, vcc
	v_cndmask_b32_e32 v1, v1, v3, vcc
	v_lshlrev_b32_e32 v3, 24, v28
	v_lshlrev_b32_e32 v1, 20, v1
	v_and_b32_e32 v3, 0x80000000, v3
	v_lshl_add_u32 v4, v4, 23, v57
	v_or3_b32 v1, v3, v4, v1
.LBB2_3317:                             ;   in Loop: Header=BB2_3261 Depth=2
	s_or_b64 exec, exec, s[88:89]
.LBB2_3318:                             ;   in Loop: Header=BB2_3261 Depth=2
	s_or_b64 exec, exec, s[78:79]
.LBB2_3319:                             ;   in Loop: Header=BB2_3261 Depth=2
	s_or_b64 exec, exec, s[18:19]
	v_mul_f32_e32 v3, v14, v1
	v_and_b32_e32 v28, 0x7f800000, v3
	v_cmp_ne_u64_e32 vcc, s[46:47], v[28:29]
                                        ; implicit-def: $vgpr46
	s_and_saveexec_b64 s[18:19], vcc
	s_xor_b64 s[78:79], exec, s[18:19]
	s_cbranch_execz .LBB2_3333
; %bb.3320:                             ;   in Loop: Header=BB2_3261 Depth=2
	v_and_b32_e32 v28, 0x7fffffff, v3
	v_cmp_gt_u64_e32 vcc, s[56:57], v[28:29]
	v_and_b32_sdwa v1, v3, s50 dst_sel:DWORD dst_unused:UNUSED_PAD src0_sel:BYTE_3 src1_sel:DWORD
                                        ; implicit-def: $vgpr46
	s_and_saveexec_b64 s[18:19], vcc
	s_xor_b64 s[88:89], exec, s[18:19]
	s_cbranch_execz .LBB2_3330
; %bb.3321:                             ;   in Loop: Header=BB2_3261 Depth=2
	v_mov_b32_e32 v46, 0
	v_cmp_ne_u32_e32 vcc, 0, v3
	s_and_saveexec_b64 s[90:91], vcc
	s_cbranch_execz .LBB2_3329
; %bb.3322:                             ;   in Loop: Header=BB2_3261 Depth=2
	v_and_b32_e32 v5, 0x7fffff, v3
	v_bfe_u32 v3, v3, 23, 8
	v_cmp_gt_u32_e64 s[18:19], s51, v3
	v_sub_u32_e32 v4, 0x79, v3
	v_cmp_eq_u32_e32 vcc, 0, v3
	v_cndmask_b32_e64 v4, 0, v4, s[18:19]
	v_or_b32_e32 v6, 0x800000, v5
	v_cndmask_b32_e32 v4, v4, v58, vcc
	v_cndmask_b32_e32 v28, v6, v5, vcc
	v_add_u32_e32 v5, 20, v4
	v_lshlrev_b64 v[5:6], v5, -1
	v_add_u32_e32 v7, 19, v4
	v_lshlrev_b64 v[7:8], v7, 1
	v_bfi_b32 v6, v6, 0, 0
	v_bfi_b32 v5, v5, 0, v28
	v_lshrrev_b64 v[54:55], v4, v[28:29]
	v_cmp_eq_u64_e64 s[18:19], v[5:6], v[7:8]
	v_mov_b32_e32 v39, v54
	v_mov_b32_e32 v40, v55
	s_and_saveexec_b64 s[92:93], s[18:19]
; %bb.3323:                             ;   in Loop: Header=BB2_3261 Depth=2
	v_bfe_u32 v5, v54, 20, 1
	v_add_co_u32_e64 v5, s[18:19], v54, v5
	v_add_co_u32_e64 v39, s[18:19], -1, v5
; %bb.3324:                             ;   in Loop: Header=BB2_3261 Depth=2
	s_or_b64 exec, exec, s[92:93]
	v_add_u32_e32 v3, 0xffffff81, v3
	v_cndmask_b32_e32 v3, v3, v59, vcc
	v_lshrrev_b32_e32 v5, 23, v54
	v_add3_u32 v5, v4, v3, v5
	v_add_u32_e32 v4, 6, v5
	v_and_b32_e32 v3, 0xfffff, v39
	v_add_u32_e32 v28, v3, v54
	v_cmp_ne_u32_e32 vcc, 0, v4
                                        ; implicit-def: $vgpr54_vgpr55
                                        ; implicit-def: $vgpr3
	s_and_saveexec_b64 s[18:19], vcc
	s_xor_b64 s[18:19], exec, s[18:19]
; %bb.3325:                             ;   in Loop: Header=BB2_3261 Depth=2
	v_cmp_lt_u64_e32 vcc, s[58:59], v[28:29]
	v_add_u32_e32 v3, 7, v5
	v_cndmask_b32_e32 v3, v4, v3, vcc
	v_cndmask_b32_e64 v4, 0, 1, vcc
	v_lshrrev_b64 v[54:55], v4, v[28:29]
; %bb.3326:                             ;   in Loop: Header=BB2_3261 Depth=2
	s_andn2_saveexec_b64 s[18:19], s[18:19]
; %bb.3327:                             ;   in Loop: Header=BB2_3261 Depth=2
	v_mov_b32_e32 v55, v29
	v_bfe_u32 v3, v28, 23, 1
	v_mov_b32_e32 v54, v28
; %bb.3328:                             ;   in Loop: Header=BB2_3261 Depth=2
	s_or_b64 exec, exec, s[18:19]
	v_lshrrev_b64 v[4:5], 20, v[54:55]
	v_cmp_gt_i32_e32 vcc, 16, v3
	v_cndmask_b32_e32 v5, 0, v5, vcc
	v_cndmask_b32_e32 v4, 7, v4, vcc
	v_cmp_eq_u32_e32 vcc, 0, v3
	v_min_i32_e32 v3, 15, v3
	v_cmp_eq_u64_e64 s[18:19], 0, v[4:5]
	v_lshlrev_b32_e32 v3, 3, v3
	v_and_b32_e32 v3, 0xf8, v3
	v_and_or_b32 v3, v4, 7, v3
	s_and_b64 s[18:19], vcc, s[18:19]
	v_cndmask_b32_e64 v3, v3, 0, s[18:19]
	v_or_b32_e32 v46, v3, v1
.LBB2_3329:                             ;   in Loop: Header=BB2_3261 Depth=2
	s_or_b64 exec, exec, s[90:91]
                                        ; implicit-def: $vgpr1
.LBB2_3330:                             ;   in Loop: Header=BB2_3261 Depth=2
	s_andn2_saveexec_b64 s[18:19], s[88:89]
; %bb.3331:                             ;   in Loop: Header=BB2_3261 Depth=2
	v_or_b32_e32 v46, 0x7e, v1
; %bb.3332:                             ;   in Loop: Header=BB2_3261 Depth=2
	s_or_b64 exec, exec, s[18:19]
                                        ; implicit-def: $vgpr3
.LBB2_3333:                             ;   in Loop: Header=BB2_3261 Depth=2
	s_andn2_saveexec_b64 s[18:19], s[78:79]
; %bb.3334:                             ;   in Loop: Header=BB2_3261 Depth=2
	v_or_b32_sdwa v46, v3, s39 dst_sel:DWORD dst_unused:UNUSED_PAD src0_sel:BYTE_3 src1_sel:DWORD
; %bb.3335:                             ;   in Loop: Header=BB2_3261 Depth=2
	s_or_b64 exec, exec, s[18:19]
	v_cmp_lt_u32_e32 vcc, s61, v10
	v_mov_b32_e32 v1, 0
	s_and_saveexec_b64 s[18:19], vcc
	s_cbranch_execz .LBB2_3341
; %bb.3336:                             ;   in Loop: Header=BB2_3261 Depth=2
	v_lshrrev_b32_e32 v28, 24, v10
	v_cmp_ne_u32_e32 vcc, s50, v28
	v_bfrev_b32_e32 v1, 1
	s_and_saveexec_b64 s[78:79], vcc
	s_cbranch_execz .LBB2_3340
; %bb.3337:                             ;   in Loop: Header=BB2_3261 Depth=2
	v_bfe_u32 v3, v10, 24, 7
	v_cmp_ne_u32_e32 vcc, s39, v3
	v_mov_b32_e32 v1, 0x7f800001
	s_and_saveexec_b64 s[88:89], vcc
	s_cbranch_execz .LBB2_3339
; %bb.3338:                             ;   in Loop: Header=BB2_3261 Depth=2
	v_and_b32_e32 v1, 7, v28
	v_lshrrev_b32_e32 v5, 3, v3
	v_cmp_gt_u32_e32 vcc, 8, v3
	v_ffbh_u32_e32 v3, v1
	v_min_u32_e32 v6, 32, v3
	v_subrev_u32_e32 v3, 28, v6
	v_lshlrev_b64 v[3:4], v3, v[28:29]
	v_sub_u32_e32 v4, 29, v6
	v_and_b32_e32 v3, 7, v3
	v_cndmask_b32_e32 v4, v5, v4, vcc
	v_cndmask_b32_e32 v1, v1, v3, vcc
	v_lshlrev_b32_e32 v3, 24, v28
	v_lshlrev_b32_e32 v1, 20, v1
	v_and_b32_e32 v3, 0x80000000, v3
	v_lshl_add_u32 v4, v4, 23, v57
	v_or3_b32 v1, v3, v4, v1
.LBB2_3339:                             ;   in Loop: Header=BB2_3261 Depth=2
	s_or_b64 exec, exec, s[88:89]
.LBB2_3340:                             ;   in Loop: Header=BB2_3261 Depth=2
	s_or_b64 exec, exec, s[78:79]
.LBB2_3341:                             ;   in Loop: Header=BB2_3261 Depth=2
	s_or_b64 exec, exec, s[18:19]
	v_mul_f32_e32 v3, v14, v1
	v_and_b32_e32 v28, 0x7f800000, v3
	v_cmp_ne_u64_e32 vcc, s[46:47], v[28:29]
                                        ; implicit-def: $vgpr47
	s_and_saveexec_b64 s[18:19], vcc
	s_xor_b64 s[78:79], exec, s[18:19]
	s_cbranch_execz .LBB2_3355
; %bb.3342:                             ;   in Loop: Header=BB2_3261 Depth=2
	v_and_b32_e32 v28, 0x7fffffff, v3
	v_cmp_gt_u64_e32 vcc, s[56:57], v[28:29]
	v_and_b32_sdwa v1, v3, s50 dst_sel:DWORD dst_unused:UNUSED_PAD src0_sel:BYTE_3 src1_sel:DWORD
                                        ; implicit-def: $vgpr47
	s_and_saveexec_b64 s[18:19], vcc
	s_xor_b64 s[88:89], exec, s[18:19]
	s_cbranch_execz .LBB2_3352
; %bb.3343:                             ;   in Loop: Header=BB2_3261 Depth=2
	v_mov_b32_e32 v47, 0
	v_cmp_ne_u32_e32 vcc, 0, v3
	s_and_saveexec_b64 s[90:91], vcc
	s_cbranch_execz .LBB2_3351
; %bb.3344:                             ;   in Loop: Header=BB2_3261 Depth=2
	v_and_b32_e32 v5, 0x7fffff, v3
	v_bfe_u32 v3, v3, 23, 8
	v_cmp_gt_u32_e64 s[18:19], s51, v3
	v_sub_u32_e32 v4, 0x79, v3
	v_cmp_eq_u32_e32 vcc, 0, v3
	v_cndmask_b32_e64 v4, 0, v4, s[18:19]
	v_or_b32_e32 v6, 0x800000, v5
	v_cndmask_b32_e32 v4, v4, v58, vcc
	v_cndmask_b32_e32 v28, v6, v5, vcc
	v_add_u32_e32 v5, 20, v4
	v_lshlrev_b64 v[5:6], v5, -1
	v_add_u32_e32 v7, 19, v4
	v_lshlrev_b64 v[7:8], v7, 1
	v_bfi_b32 v6, v6, 0, 0
	v_bfi_b32 v5, v5, 0, v28
	v_lshrrev_b64 v[54:55], v4, v[28:29]
	v_cmp_eq_u64_e64 s[18:19], v[5:6], v[7:8]
	v_mov_b32_e32 v39, v54
	v_mov_b32_e32 v40, v55
	s_and_saveexec_b64 s[92:93], s[18:19]
; %bb.3345:                             ;   in Loop: Header=BB2_3261 Depth=2
	v_bfe_u32 v5, v54, 20, 1
	v_add_co_u32_e64 v5, s[18:19], v54, v5
	v_add_co_u32_e64 v39, s[18:19], -1, v5
; %bb.3346:                             ;   in Loop: Header=BB2_3261 Depth=2
	s_or_b64 exec, exec, s[92:93]
	v_add_u32_e32 v3, 0xffffff81, v3
	v_cndmask_b32_e32 v3, v3, v59, vcc
	v_lshrrev_b32_e32 v5, 23, v54
	v_add3_u32 v5, v4, v3, v5
	v_add_u32_e32 v4, 6, v5
	v_and_b32_e32 v3, 0xfffff, v39
	v_add_u32_e32 v28, v3, v54
	v_cmp_ne_u32_e32 vcc, 0, v4
                                        ; implicit-def: $vgpr54_vgpr55
                                        ; implicit-def: $vgpr3
	s_and_saveexec_b64 s[18:19], vcc
	s_xor_b64 s[18:19], exec, s[18:19]
; %bb.3347:                             ;   in Loop: Header=BB2_3261 Depth=2
	v_cmp_lt_u64_e32 vcc, s[58:59], v[28:29]
	v_add_u32_e32 v3, 7, v5
	v_cndmask_b32_e32 v3, v4, v3, vcc
	v_cndmask_b32_e64 v4, 0, 1, vcc
	v_lshrrev_b64 v[54:55], v4, v[28:29]
; %bb.3348:                             ;   in Loop: Header=BB2_3261 Depth=2
	s_andn2_saveexec_b64 s[18:19], s[18:19]
; %bb.3349:                             ;   in Loop: Header=BB2_3261 Depth=2
	v_mov_b32_e32 v55, v29
	v_bfe_u32 v3, v28, 23, 1
	v_mov_b32_e32 v54, v28
; %bb.3350:                             ;   in Loop: Header=BB2_3261 Depth=2
	s_or_b64 exec, exec, s[18:19]
	v_lshrrev_b64 v[4:5], 20, v[54:55]
	v_cmp_gt_i32_e32 vcc, 16, v3
	v_cndmask_b32_e32 v5, 0, v5, vcc
	v_cndmask_b32_e32 v4, 7, v4, vcc
	v_cmp_eq_u32_e32 vcc, 0, v3
	v_min_i32_e32 v3, 15, v3
	v_cmp_eq_u64_e64 s[18:19], 0, v[4:5]
	v_lshlrev_b32_e32 v3, 3, v3
	v_and_b32_e32 v3, 0xf8, v3
	v_and_or_b32 v3, v4, 7, v3
	s_and_b64 s[18:19], vcc, s[18:19]
	v_cndmask_b32_e64 v3, v3, 0, s[18:19]
	v_or_b32_e32 v47, v3, v1
.LBB2_3351:                             ;   in Loop: Header=BB2_3261 Depth=2
	s_or_b64 exec, exec, s[90:91]
                                        ; implicit-def: $vgpr1
.LBB2_3352:                             ;   in Loop: Header=BB2_3261 Depth=2
	s_andn2_saveexec_b64 s[18:19], s[88:89]
; %bb.3353:                             ;   in Loop: Header=BB2_3261 Depth=2
	v_or_b32_e32 v47, 0x7e, v1
; %bb.3354:                             ;   in Loop: Header=BB2_3261 Depth=2
	s_or_b64 exec, exec, s[18:19]
                                        ; implicit-def: $vgpr3
.LBB2_3355:                             ;   in Loop: Header=BB2_3261 Depth=2
	s_andn2_saveexec_b64 s[18:19], s[78:79]
; %bb.3356:                             ;   in Loop: Header=BB2_3261 Depth=2
	v_or_b32_sdwa v47, v3, s39 dst_sel:DWORD dst_unused:UNUSED_PAD src0_sel:BYTE_3 src1_sel:DWORD
; %bb.3357:                             ;   in Loop: Header=BB2_3261 Depth=2
	s_or_b64 exec, exec, s[18:19]
	v_mov_b32_e32 v28, v11
	v_cmp_ne_u16_sdwa s[78:79], v11, v29 src0_sel:BYTE_0 src1_sel:DWORD
	v_mov_b32_e32 v1, 0
	s_and_saveexec_b64 s[18:19], s[78:79]
	s_cbranch_execz .LBB2_3363
; %bb.3358:                             ;   in Loop: Header=BB2_3261 Depth=2
	v_cmp_ne_u16_sdwa s[88:89], v11, s50 src0_sel:BYTE_0 src1_sel:DWORD
	v_bfrev_b32_e32 v1, 1
	s_and_saveexec_b64 s[78:79], s[88:89]
	s_cbranch_execz .LBB2_3362
; %bb.3359:                             ;   in Loop: Header=BB2_3261 Depth=2
	v_and_b32_e32 v3, 0x7f, v11
	v_cmp_ne_u32_e32 vcc, s39, v3
	v_mov_b32_e32 v1, 0x7f800001
	s_and_saveexec_b64 s[88:89], vcc
	s_cbranch_execz .LBB2_3361
; %bb.3360:                             ;   in Loop: Header=BB2_3261 Depth=2
	v_and_b32_e32 v1, 7, v11
	v_ffbh_u32_e32 v1, v1
	v_min_u32_e32 v1, 32, v1
	v_lshrrev_b32_e32 v4, 3, v3
	v_cmp_gt_u32_e32 vcc, 8, v3
	v_subrev_u32_e32 v3, 28, v1
	v_sub_u32_e32 v1, 29, v1
	v_cndmask_b32_e32 v3, 0, v3, vcc
	v_cndmask_b32_e32 v1, v4, v1, vcc
	v_lshlrev_b64 v[3:4], v3, v[28:29]
	v_lshlrev_b32_e32 v4, 24, v28
	v_lshlrev_b32_e32 v3, 20, v3
	v_and_b32_e32 v3, 0x700000, v3
	v_and_b32_e32 v4, 0x80000000, v4
	v_lshl_add_u32 v1, v1, 23, v57
	v_or3_b32 v1, v4, v1, v3
.LBB2_3361:                             ;   in Loop: Header=BB2_3261 Depth=2
	s_or_b64 exec, exec, s[88:89]
.LBB2_3362:                             ;   in Loop: Header=BB2_3261 Depth=2
	s_or_b64 exec, exec, s[78:79]
.LBB2_3363:                             ;   in Loop: Header=BB2_3261 Depth=2
	s_or_b64 exec, exec, s[18:19]
	v_mul_f32_e32 v3, v14, v1
	v_and_b32_e32 v4, 0x7f800000, v3
	v_mov_b32_e32 v5, v29
	v_cmp_ne_u64_e32 vcc, s[46:47], v[4:5]
                                        ; implicit-def: $vgpr41
	s_and_saveexec_b64 s[18:19], vcc
	s_xor_b64 s[78:79], exec, s[18:19]
	s_cbranch_execz .LBB2_3377
; %bb.3364:                             ;   in Loop: Header=BB2_3261 Depth=2
	v_and_b32_e32 v4, 0x7fffffff, v3
	v_mov_b32_e32 v5, v29
	v_cmp_gt_u64_e32 vcc, s[56:57], v[4:5]
	v_and_b32_sdwa v1, v3, s50 dst_sel:DWORD dst_unused:UNUSED_PAD src0_sel:BYTE_3 src1_sel:DWORD
                                        ; implicit-def: $vgpr41
	s_and_saveexec_b64 s[18:19], vcc
	s_xor_b64 s[88:89], exec, s[18:19]
	s_cbranch_execz .LBB2_3374
; %bb.3365:                             ;   in Loop: Header=BB2_3261 Depth=2
	v_mov_b32_e32 v41, 0
	v_cmp_ne_u32_e32 vcc, 0, v3
	s_and_saveexec_b64 s[90:91], vcc
	s_cbranch_execz .LBB2_3373
; %bb.3366:                             ;   in Loop: Header=BB2_3261 Depth=2
	v_and_b32_e32 v5, 0x7fffff, v3
	v_bfe_u32 v3, v3, 23, 8
	v_cmp_gt_u32_e64 s[18:19], s51, v3
	v_sub_u32_e32 v4, 0x79, v3
	v_cmp_eq_u32_e32 vcc, 0, v3
	v_cndmask_b32_e64 v4, 0, v4, s[18:19]
	v_cndmask_b32_e32 v4, v4, v58, vcc
	v_add_u32_e32 v7, 20, v4
	v_or_b32_e32 v6, 0x800000, v5
	v_lshlrev_b64 v[7:8], v7, -1
	v_add_u32_e32 v9, 19, v4
	v_cndmask_b32_e32 v5, v6, v5, vcc
	v_mov_b32_e32 v6, v29
	v_lshlrev_b64 v[20:21], v9, 1
	v_bfi_b32 v8, v8, 0, 0
	v_bfi_b32 v7, v7, 0, v5
	v_lshrrev_b64 v[54:55], v4, v[5:6]
	v_cmp_eq_u64_e64 s[18:19], v[7:8], v[20:21]
	v_mov_b32_e32 v39, v54
	v_mov_b32_e32 v40, v55
	s_and_saveexec_b64 s[92:93], s[18:19]
; %bb.3367:                             ;   in Loop: Header=BB2_3261 Depth=2
	v_bfe_u32 v5, v54, 20, 1
	v_add_co_u32_e64 v5, s[18:19], v54, v5
	v_add_co_u32_e64 v39, s[18:19], -1, v5
; %bb.3368:                             ;   in Loop: Header=BB2_3261 Depth=2
	s_or_b64 exec, exec, s[92:93]
	v_add_u32_e32 v3, 0xffffff81, v3
	v_cndmask_b32_e32 v3, v3, v59, vcc
	v_lshrrev_b32_e32 v5, 23, v54
	v_add3_u32 v5, v4, v3, v5
	v_add_u32_e32 v4, 6, v5
	v_and_b32_e32 v3, 0xfffff, v39
	v_add_u32_e32 v54, v3, v54
	v_mov_b32_e32 v55, v29
	v_cmp_ne_u32_e32 vcc, 0, v4
                                        ; implicit-def: $vgpr3
	s_and_saveexec_b64 s[18:19], vcc
	s_xor_b64 s[18:19], exec, s[18:19]
; %bb.3369:                             ;   in Loop: Header=BB2_3261 Depth=2
	v_cmp_lt_u64_e32 vcc, s[58:59], v[54:55]
	v_add_u32_e32 v3, 7, v5
	v_cndmask_b32_e32 v3, v4, v3, vcc
	v_cndmask_b32_e64 v4, 0, 1, vcc
	v_lshrrev_b64 v[54:55], v4, v[54:55]
; %bb.3370:                             ;   in Loop: Header=BB2_3261 Depth=2
	s_andn2_saveexec_b64 s[18:19], s[18:19]
; %bb.3371:                             ;   in Loop: Header=BB2_3261 Depth=2
	v_bfe_u32 v3, v54, 23, 1
; %bb.3372:                             ;   in Loop: Header=BB2_3261 Depth=2
	s_or_b64 exec, exec, s[18:19]
	v_lshrrev_b64 v[4:5], 20, v[54:55]
	v_cmp_gt_i32_e32 vcc, 16, v3
	v_cndmask_b32_e32 v5, 0, v5, vcc
	v_cndmask_b32_e32 v4, 7, v4, vcc
	v_cmp_eq_u32_e32 vcc, 0, v3
	v_min_i32_e32 v3, 15, v3
	v_cmp_eq_u64_e64 s[18:19], 0, v[4:5]
	v_lshlrev_b32_e32 v3, 3, v3
	v_and_b32_e32 v3, 0xf8, v3
	v_and_or_b32 v3, v4, 7, v3
	s_and_b64 s[18:19], vcc, s[18:19]
	v_cndmask_b32_e64 v3, v3, 0, s[18:19]
	v_or_b32_e32 v41, v3, v1
.LBB2_3373:                             ;   in Loop: Header=BB2_3261 Depth=2
	s_or_b64 exec, exec, s[90:91]
                                        ; implicit-def: $vgpr1
.LBB2_3374:                             ;   in Loop: Header=BB2_3261 Depth=2
	s_andn2_saveexec_b64 s[18:19], s[88:89]
; %bb.3375:                             ;   in Loop: Header=BB2_3261 Depth=2
	v_or_b32_e32 v41, 0x7e, v1
; %bb.3376:                             ;   in Loop: Header=BB2_3261 Depth=2
	s_or_b64 exec, exec, s[18:19]
                                        ; implicit-def: $vgpr3
.LBB2_3377:                             ;   in Loop: Header=BB2_3261 Depth=2
	s_andn2_saveexec_b64 s[18:19], s[78:79]
; %bb.3378:                             ;   in Loop: Header=BB2_3261 Depth=2
	v_or_b32_sdwa v41, v3, s39 dst_sel:DWORD dst_unused:UNUSED_PAD src0_sel:BYTE_3 src1_sel:DWORD
; %bb.3379:                             ;   in Loop: Header=BB2_3261 Depth=2
	s_or_b64 exec, exec, s[18:19]
	v_lshrrev_b16_e32 v30, 8, v28
	v_cmp_ne_u16_e32 vcc, 0, v30
	v_mov_b32_e32 v1, 0
	s_and_saveexec_b64 s[18:19], vcc
	s_cbranch_execz .LBB2_3385
; %bb.3380:                             ;   in Loop: Header=BB2_3261 Depth=2
	v_cmp_ne_u16_e32 vcc, s50, v30
	v_bfrev_b32_e32 v1, 1
	s_and_saveexec_b64 s[78:79], vcc
	s_cbranch_execz .LBB2_3384
; %bb.3381:                             ;   in Loop: Header=BB2_3261 Depth=2
	v_and_b32_e32 v3, 0x7f, v30
	v_cmp_ne_u32_e32 vcc, s39, v3
	v_mov_b32_e32 v1, 0x7f800001
	s_and_saveexec_b64 s[88:89], vcc
	s_cbranch_execz .LBB2_3383
; %bb.3382:                             ;   in Loop: Header=BB2_3261 Depth=2
	v_and_b32_e32 v1, 7, v30
	v_lshrrev_b32_e32 v5, 3, v3
	v_cmp_gt_u32_e32 vcc, 8, v3
	v_ffbh_u32_e32 v3, v1
	v_min_u32_e32 v6, 32, v3
	v_subrev_u32_e32 v3, 28, v6
	v_lshlrev_b64 v[3:4], v3, v[30:31]
	v_sub_u32_e32 v4, 29, v6
	v_and_b32_e32 v3, 7, v3
	v_cndmask_b32_e32 v4, v5, v4, vcc
	v_cndmask_b32_e32 v1, v1, v3, vcc
	v_lshlrev_b32_e32 v3, 16, v28
	v_lshlrev_b32_e32 v1, 20, v1
	v_and_b32_e32 v3, 0x80000000, v3
	v_lshl_add_u32 v4, v4, 23, v57
	v_or3_b32 v1, v3, v4, v1
.LBB2_3383:                             ;   in Loop: Header=BB2_3261 Depth=2
	s_or_b64 exec, exec, s[88:89]
.LBB2_3384:                             ;   in Loop: Header=BB2_3261 Depth=2
	s_or_b64 exec, exec, s[78:79]
.LBB2_3385:                             ;   in Loop: Header=BB2_3261 Depth=2
	s_or_b64 exec, exec, s[18:19]
	v_mul_f32_e32 v3, v14, v1
	v_and_b32_e32 v28, 0x7f800000, v3
	v_cmp_ne_u64_e32 vcc, s[46:47], v[28:29]
                                        ; implicit-def: $vgpr35
	s_and_saveexec_b64 s[18:19], vcc
	s_xor_b64 s[78:79], exec, s[18:19]
	s_cbranch_execz .LBB2_3399
; %bb.3386:                             ;   in Loop: Header=BB2_3261 Depth=2
	v_and_b32_e32 v28, 0x7fffffff, v3
	v_cmp_gt_u64_e32 vcc, s[56:57], v[28:29]
	v_and_b32_sdwa v1, v3, s50 dst_sel:DWORD dst_unused:UNUSED_PAD src0_sel:BYTE_3 src1_sel:DWORD
                                        ; implicit-def: $vgpr35
	s_and_saveexec_b64 s[18:19], vcc
	s_xor_b64 s[88:89], exec, s[18:19]
	s_cbranch_execz .LBB2_3396
; %bb.3387:                             ;   in Loop: Header=BB2_3261 Depth=2
	v_mov_b32_e32 v35, 0
	v_cmp_ne_u32_e32 vcc, 0, v3
	s_and_saveexec_b64 s[90:91], vcc
	s_cbranch_execz .LBB2_3395
; %bb.3388:                             ;   in Loop: Header=BB2_3261 Depth=2
	v_and_b32_e32 v5, 0x7fffff, v3
	v_bfe_u32 v3, v3, 23, 8
	v_cmp_gt_u32_e64 s[18:19], s51, v3
	v_sub_u32_e32 v4, 0x79, v3
	v_cmp_eq_u32_e32 vcc, 0, v3
	v_cndmask_b32_e64 v4, 0, v4, s[18:19]
	v_or_b32_e32 v6, 0x800000, v5
	v_cndmask_b32_e32 v4, v4, v58, vcc
	v_cndmask_b32_e32 v28, v6, v5, vcc
	v_add_u32_e32 v5, 20, v4
	v_lshlrev_b64 v[5:6], v5, -1
	v_add_u32_e32 v7, 19, v4
	v_lshlrev_b64 v[7:8], v7, 1
	v_bfi_b32 v6, v6, 0, 0
	v_bfi_b32 v5, v5, 0, v28
	v_lshrrev_b64 v[54:55], v4, v[28:29]
	v_cmp_eq_u64_e64 s[18:19], v[5:6], v[7:8]
	v_mov_b32_e32 v39, v54
	v_mov_b32_e32 v40, v55
	s_and_saveexec_b64 s[92:93], s[18:19]
; %bb.3389:                             ;   in Loop: Header=BB2_3261 Depth=2
	v_bfe_u32 v5, v54, 20, 1
	v_add_co_u32_e64 v5, s[18:19], v54, v5
	v_add_co_u32_e64 v39, s[18:19], -1, v5
; %bb.3390:                             ;   in Loop: Header=BB2_3261 Depth=2
	s_or_b64 exec, exec, s[92:93]
	v_add_u32_e32 v3, 0xffffff81, v3
	v_cndmask_b32_e32 v3, v3, v59, vcc
	v_lshrrev_b32_e32 v5, 23, v54
	v_add3_u32 v5, v4, v3, v5
	v_add_u32_e32 v4, 6, v5
	v_and_b32_e32 v3, 0xfffff, v39
	v_add_u32_e32 v28, v3, v54
	v_cmp_ne_u32_e32 vcc, 0, v4
                                        ; implicit-def: $vgpr54_vgpr55
                                        ; implicit-def: $vgpr3
	s_and_saveexec_b64 s[18:19], vcc
	s_xor_b64 s[18:19], exec, s[18:19]
; %bb.3391:                             ;   in Loop: Header=BB2_3261 Depth=2
	v_cmp_lt_u64_e32 vcc, s[58:59], v[28:29]
	v_add_u32_e32 v3, 7, v5
	v_cndmask_b32_e32 v3, v4, v3, vcc
	v_cndmask_b32_e64 v4, 0, 1, vcc
	v_lshrrev_b64 v[54:55], v4, v[28:29]
; %bb.3392:                             ;   in Loop: Header=BB2_3261 Depth=2
	s_andn2_saveexec_b64 s[18:19], s[18:19]
; %bb.3393:                             ;   in Loop: Header=BB2_3261 Depth=2
	v_mov_b32_e32 v55, v29
	v_bfe_u32 v3, v28, 23, 1
	v_mov_b32_e32 v54, v28
; %bb.3394:                             ;   in Loop: Header=BB2_3261 Depth=2
	s_or_b64 exec, exec, s[18:19]
	v_lshrrev_b64 v[4:5], 20, v[54:55]
	v_cmp_gt_i32_e32 vcc, 16, v3
	v_cndmask_b32_e32 v5, 0, v5, vcc
	v_cndmask_b32_e32 v4, 7, v4, vcc
	v_cmp_eq_u32_e32 vcc, 0, v3
	v_min_i32_e32 v3, 15, v3
	v_cmp_eq_u64_e64 s[18:19], 0, v[4:5]
	v_lshlrev_b32_e32 v3, 3, v3
	v_and_b32_e32 v3, 0xf8, v3
	v_and_or_b32 v3, v4, 7, v3
	s_and_b64 s[18:19], vcc, s[18:19]
	v_cndmask_b32_e64 v3, v3, 0, s[18:19]
	v_or_b32_e32 v35, v3, v1
.LBB2_3395:                             ;   in Loop: Header=BB2_3261 Depth=2
	s_or_b64 exec, exec, s[90:91]
                                        ; implicit-def: $vgpr1
.LBB2_3396:                             ;   in Loop: Header=BB2_3261 Depth=2
	s_andn2_saveexec_b64 s[18:19], s[88:89]
; %bb.3397:                             ;   in Loop: Header=BB2_3261 Depth=2
	v_or_b32_e32 v35, 0x7e, v1
; %bb.3398:                             ;   in Loop: Header=BB2_3261 Depth=2
	s_or_b64 exec, exec, s[18:19]
                                        ; implicit-def: $vgpr3
.LBB2_3399:                             ;   in Loop: Header=BB2_3261 Depth=2
	s_andn2_saveexec_b64 s[18:19], s[78:79]
; %bb.3400:                             ;   in Loop: Header=BB2_3261 Depth=2
	v_or_b32_sdwa v35, v3, s39 dst_sel:DWORD dst_unused:UNUSED_PAD src0_sel:BYTE_3 src1_sel:DWORD
; %bb.3401:                             ;   in Loop: Header=BB2_3261 Depth=2
	s_or_b64 exec, exec, s[18:19]
	v_lshrrev_b32_e32 v28, 16, v11
	v_cmp_ne_u16_sdwa s[78:79], v28, v29 src0_sel:BYTE_0 src1_sel:DWORD
	v_mov_b32_e32 v1, 0
	s_and_saveexec_b64 s[18:19], s[78:79]
	s_cbranch_execz .LBB2_3407
; %bb.3402:                             ;   in Loop: Header=BB2_3261 Depth=2
	v_cmp_ne_u16_sdwa s[88:89], v28, s50 src0_sel:BYTE_0 src1_sel:DWORD
	v_bfrev_b32_e32 v1, 1
	s_and_saveexec_b64 s[78:79], s[88:89]
	s_cbranch_execz .LBB2_3406
; %bb.3403:                             ;   in Loop: Header=BB2_3261 Depth=2
	v_bfe_u32 v3, v11, 16, 7
	v_cmp_ne_u32_e32 vcc, s39, v3
	v_mov_b32_e32 v1, 0x7f800001
	s_and_saveexec_b64 s[88:89], vcc
	s_cbranch_execz .LBB2_3405
; %bb.3404:                             ;   in Loop: Header=BB2_3261 Depth=2
	v_and_b32_e32 v1, 7, v28
	v_lshrrev_b32_e32 v5, 3, v3
	v_cmp_gt_u32_e32 vcc, 8, v3
	v_ffbh_u32_e32 v3, v1
	v_min_u32_e32 v6, 32, v3
	v_subrev_u32_e32 v3, 28, v6
	v_lshlrev_b64 v[3:4], v3, v[28:29]
	v_sub_u32_e32 v4, 29, v6
	v_and_b32_e32 v3, 7, v3
	v_cndmask_b32_e32 v4, v5, v4, vcc
	v_cndmask_b32_e32 v1, v1, v3, vcc
	v_lshlrev_b32_e32 v3, 24, v28
	v_lshlrev_b32_e32 v1, 20, v1
	v_and_b32_e32 v3, 0x80000000, v3
	v_lshl_add_u32 v4, v4, 23, v57
	v_or3_b32 v1, v3, v4, v1
.LBB2_3405:                             ;   in Loop: Header=BB2_3261 Depth=2
	s_or_b64 exec, exec, s[88:89]
.LBB2_3406:                             ;   in Loop: Header=BB2_3261 Depth=2
	s_or_b64 exec, exec, s[78:79]
.LBB2_3407:                             ;   in Loop: Header=BB2_3261 Depth=2
	s_or_b64 exec, exec, s[18:19]
	v_mul_f32_e32 v3, v14, v1
	v_and_b32_e32 v28, 0x7f800000, v3
	v_cmp_ne_u64_e32 vcc, s[46:47], v[28:29]
                                        ; implicit-def: $vgpr37
	s_and_saveexec_b64 s[18:19], vcc
	s_xor_b64 s[78:79], exec, s[18:19]
	s_cbranch_execz .LBB2_3421
; %bb.3408:                             ;   in Loop: Header=BB2_3261 Depth=2
	v_and_b32_e32 v28, 0x7fffffff, v3
	v_cmp_gt_u64_e32 vcc, s[56:57], v[28:29]
	v_and_b32_sdwa v1, v3, s50 dst_sel:DWORD dst_unused:UNUSED_PAD src0_sel:BYTE_3 src1_sel:DWORD
                                        ; implicit-def: $vgpr37
	s_and_saveexec_b64 s[18:19], vcc
	s_xor_b64 s[88:89], exec, s[18:19]
	s_cbranch_execz .LBB2_3418
; %bb.3409:                             ;   in Loop: Header=BB2_3261 Depth=2
	v_mov_b32_e32 v37, 0
	v_cmp_ne_u32_e32 vcc, 0, v3
	s_and_saveexec_b64 s[90:91], vcc
	s_cbranch_execz .LBB2_3417
; %bb.3410:                             ;   in Loop: Header=BB2_3261 Depth=2
	v_and_b32_e32 v5, 0x7fffff, v3
	v_bfe_u32 v3, v3, 23, 8
	v_cmp_gt_u32_e64 s[18:19], s51, v3
	v_sub_u32_e32 v4, 0x79, v3
	v_cmp_eq_u32_e32 vcc, 0, v3
	v_cndmask_b32_e64 v4, 0, v4, s[18:19]
	v_or_b32_e32 v6, 0x800000, v5
	v_cndmask_b32_e32 v4, v4, v58, vcc
	v_cndmask_b32_e32 v28, v6, v5, vcc
	v_add_u32_e32 v5, 20, v4
	v_lshlrev_b64 v[5:6], v5, -1
	v_add_u32_e32 v7, 19, v4
	v_lshlrev_b64 v[7:8], v7, 1
	v_bfi_b32 v6, v6, 0, 0
	v_bfi_b32 v5, v5, 0, v28
	v_lshrrev_b64 v[54:55], v4, v[28:29]
	v_cmp_eq_u64_e64 s[18:19], v[5:6], v[7:8]
	v_mov_b32_e32 v39, v54
	v_mov_b32_e32 v40, v55
	s_and_saveexec_b64 s[92:93], s[18:19]
; %bb.3411:                             ;   in Loop: Header=BB2_3261 Depth=2
	v_bfe_u32 v5, v54, 20, 1
	v_add_co_u32_e64 v5, s[18:19], v54, v5
	v_add_co_u32_e64 v39, s[18:19], -1, v5
; %bb.3412:                             ;   in Loop: Header=BB2_3261 Depth=2
	s_or_b64 exec, exec, s[92:93]
	v_add_u32_e32 v3, 0xffffff81, v3
	v_cndmask_b32_e32 v3, v3, v59, vcc
	v_lshrrev_b32_e32 v5, 23, v54
	v_add3_u32 v5, v4, v3, v5
	v_add_u32_e32 v4, 6, v5
	v_and_b32_e32 v3, 0xfffff, v39
	v_add_u32_e32 v28, v3, v54
	v_cmp_ne_u32_e32 vcc, 0, v4
                                        ; implicit-def: $vgpr54_vgpr55
                                        ; implicit-def: $vgpr3
	s_and_saveexec_b64 s[18:19], vcc
	s_xor_b64 s[18:19], exec, s[18:19]
; %bb.3413:                             ;   in Loop: Header=BB2_3261 Depth=2
	v_cmp_lt_u64_e32 vcc, s[58:59], v[28:29]
	v_add_u32_e32 v3, 7, v5
	v_cndmask_b32_e32 v3, v4, v3, vcc
	v_cndmask_b32_e64 v4, 0, 1, vcc
	v_lshrrev_b64 v[54:55], v4, v[28:29]
; %bb.3414:                             ;   in Loop: Header=BB2_3261 Depth=2
	s_andn2_saveexec_b64 s[18:19], s[18:19]
; %bb.3415:                             ;   in Loop: Header=BB2_3261 Depth=2
	v_mov_b32_e32 v55, v29
	v_bfe_u32 v3, v28, 23, 1
	v_mov_b32_e32 v54, v28
; %bb.3416:                             ;   in Loop: Header=BB2_3261 Depth=2
	s_or_b64 exec, exec, s[18:19]
	v_lshrrev_b64 v[4:5], 20, v[54:55]
	v_cmp_gt_i32_e32 vcc, 16, v3
	v_cndmask_b32_e32 v5, 0, v5, vcc
	v_cndmask_b32_e32 v4, 7, v4, vcc
	v_cmp_eq_u32_e32 vcc, 0, v3
	v_min_i32_e32 v3, 15, v3
	v_cmp_eq_u64_e64 s[18:19], 0, v[4:5]
	v_lshlrev_b32_e32 v3, 3, v3
	v_and_b32_e32 v3, 0xf8, v3
	v_and_or_b32 v3, v4, 7, v3
	s_and_b64 s[18:19], vcc, s[18:19]
	v_cndmask_b32_e64 v3, v3, 0, s[18:19]
	v_or_b32_e32 v37, v3, v1
.LBB2_3417:                             ;   in Loop: Header=BB2_3261 Depth=2
	s_or_b64 exec, exec, s[90:91]
                                        ; implicit-def: $vgpr1
.LBB2_3418:                             ;   in Loop: Header=BB2_3261 Depth=2
	s_andn2_saveexec_b64 s[18:19], s[88:89]
; %bb.3419:                             ;   in Loop: Header=BB2_3261 Depth=2
	v_or_b32_e32 v37, 0x7e, v1
; %bb.3420:                             ;   in Loop: Header=BB2_3261 Depth=2
	s_or_b64 exec, exec, s[18:19]
                                        ; implicit-def: $vgpr3
.LBB2_3421:                             ;   in Loop: Header=BB2_3261 Depth=2
	s_andn2_saveexec_b64 s[18:19], s[78:79]
; %bb.3422:                             ;   in Loop: Header=BB2_3261 Depth=2
	v_or_b32_sdwa v37, v3, s39 dst_sel:DWORD dst_unused:UNUSED_PAD src0_sel:BYTE_3 src1_sel:DWORD
; %bb.3423:                             ;   in Loop: Header=BB2_3261 Depth=2
	s_or_b64 exec, exec, s[18:19]
	v_cmp_lt_u64_e32 vcc, s[60:61], v[10:11]
	v_mov_b32_e32 v1, 0
	s_and_saveexec_b64 s[18:19], vcc
	s_cbranch_execz .LBB2_3429
; %bb.3424:                             ;   in Loop: Header=BB2_3261 Depth=2
	v_lshrrev_b32_e32 v10, 24, v11
	v_cmp_ne_u32_e32 vcc, s50, v10
	v_bfrev_b32_e32 v1, 1
	s_and_saveexec_b64 s[78:79], vcc
	s_cbranch_execz .LBB2_3428
; %bb.3425:                             ;   in Loop: Header=BB2_3261 Depth=2
	v_bfe_u32 v3, v11, 24, 7
	v_cmp_ne_u32_e32 vcc, s39, v3
	v_mov_b32_e32 v1, 0x7f800001
	s_and_saveexec_b64 s[88:89], vcc
	s_cbranch_execz .LBB2_3427
; %bb.3426:                             ;   in Loop: Header=BB2_3261 Depth=2
	v_and_b32_e32 v1, 7, v10
	v_lshrrev_b32_e32 v5, 3, v3
	v_cmp_gt_u32_e32 vcc, 8, v3
	v_ffbh_u32_e32 v3, v1
	v_min_u32_e32 v6, 32, v3
	v_subrev_u32_e32 v3, 28, v6
	v_lshlrev_b64 v[3:4], v3, v[10:11]
	v_sub_u32_e32 v4, 29, v6
	v_and_b32_e32 v3, 7, v3
	v_cndmask_b32_e32 v4, v5, v4, vcc
	v_cndmask_b32_e32 v1, v1, v3, vcc
	v_lshlrev_b32_e32 v3, 24, v10
	v_lshlrev_b32_e32 v1, 20, v1
	v_and_b32_e32 v3, 0x80000000, v3
	v_lshl_add_u32 v4, v4, 23, v57
	v_or3_b32 v1, v3, v4, v1
.LBB2_3427:                             ;   in Loop: Header=BB2_3261 Depth=2
	s_or_b64 exec, exec, s[88:89]
.LBB2_3428:                             ;   in Loop: Header=BB2_3261 Depth=2
	s_or_b64 exec, exec, s[78:79]
.LBB2_3429:                             ;   in Loop: Header=BB2_3261 Depth=2
	s_or_b64 exec, exec, s[18:19]
	v_mul_f32_e32 v3, v14, v1
	v_and_b32_e32 v28, 0x7f800000, v3
	v_cmp_ne_u64_e32 vcc, s[46:47], v[28:29]
                                        ; implicit-def: $vgpr38
	s_and_saveexec_b64 s[18:19], vcc
	s_xor_b64 s[78:79], exec, s[18:19]
	s_cbranch_execz .LBB2_3443
; %bb.3430:                             ;   in Loop: Header=BB2_3261 Depth=2
	v_and_b32_e32 v28, 0x7fffffff, v3
	v_cmp_gt_u64_e32 vcc, s[56:57], v[28:29]
	v_and_b32_sdwa v1, v3, s50 dst_sel:DWORD dst_unused:UNUSED_PAD src0_sel:BYTE_3 src1_sel:DWORD
                                        ; implicit-def: $vgpr38
	s_and_saveexec_b64 s[18:19], vcc
	s_xor_b64 s[88:89], exec, s[18:19]
	s_cbranch_execz .LBB2_3440
; %bb.3431:                             ;   in Loop: Header=BB2_3261 Depth=2
	v_mov_b32_e32 v38, 0
	v_cmp_ne_u32_e32 vcc, 0, v3
	s_and_saveexec_b64 s[90:91], vcc
	s_cbranch_execz .LBB2_3439
; %bb.3432:                             ;   in Loop: Header=BB2_3261 Depth=2
	v_and_b32_e32 v5, 0x7fffff, v3
	v_bfe_u32 v3, v3, 23, 8
	v_cmp_gt_u32_e64 s[18:19], s51, v3
	v_sub_u32_e32 v4, 0x79, v3
	v_cmp_eq_u32_e32 vcc, 0, v3
	v_cndmask_b32_e64 v4, 0, v4, s[18:19]
	v_or_b32_e32 v6, 0x800000, v5
	v_cndmask_b32_e32 v4, v4, v58, vcc
	v_cndmask_b32_e32 v28, v6, v5, vcc
	v_add_u32_e32 v5, 20, v4
	v_lshlrev_b64 v[5:6], v5, -1
	v_add_u32_e32 v7, 19, v4
	v_lshlrev_b64 v[7:8], v7, 1
	v_lshrrev_b64 v[10:11], v4, v[28:29]
	v_bfi_b32 v6, v6, 0, 0
	v_bfi_b32 v5, v5, 0, v28
	v_cmp_eq_u64_e64 s[18:19], v[5:6], v[7:8]
	v_mov_b32_e32 v55, v11
	v_mov_b32_e32 v54, v10
	s_and_saveexec_b64 s[92:93], s[18:19]
; %bb.3433:                             ;   in Loop: Header=BB2_3261 Depth=2
	v_bfe_u32 v5, v10, 20, 1
	v_add_co_u32_e64 v5, s[18:19], v10, v5
	v_add_co_u32_e64 v54, s[18:19], -1, v5
; %bb.3434:                             ;   in Loop: Header=BB2_3261 Depth=2
	s_or_b64 exec, exec, s[92:93]
	v_add_u32_e32 v3, 0xffffff81, v3
	v_cndmask_b32_e32 v3, v3, v59, vcc
	v_lshrrev_b32_e32 v5, 23, v10
	v_add3_u32 v5, v4, v3, v5
	v_add_u32_e32 v4, 6, v5
	v_and_b32_e32 v3, 0xfffff, v54
	v_add_u32_e32 v28, v3, v10
	v_cmp_ne_u32_e32 vcc, 0, v4
                                        ; implicit-def: $vgpr10_vgpr11
                                        ; implicit-def: $vgpr3
	s_and_saveexec_b64 s[18:19], vcc
	s_xor_b64 s[18:19], exec, s[18:19]
; %bb.3435:                             ;   in Loop: Header=BB2_3261 Depth=2
	v_cmp_lt_u64_e32 vcc, s[58:59], v[28:29]
	v_add_u32_e32 v3, 7, v5
	v_cndmask_b32_e32 v3, v4, v3, vcc
	v_cndmask_b32_e64 v4, 0, 1, vcc
	v_lshrrev_b64 v[10:11], v4, v[28:29]
; %bb.3436:                             ;   in Loop: Header=BB2_3261 Depth=2
	s_andn2_saveexec_b64 s[18:19], s[18:19]
; %bb.3437:                             ;   in Loop: Header=BB2_3261 Depth=2
	v_mov_b32_e32 v10, v28
	v_bfe_u32 v3, v28, 23, 1
	v_mov_b32_e32 v11, v29
; %bb.3438:                             ;   in Loop: Header=BB2_3261 Depth=2
	s_or_b64 exec, exec, s[18:19]
	v_lshrrev_b64 v[4:5], 20, v[10:11]
	v_cmp_gt_i32_e32 vcc, 16, v3
	v_cndmask_b32_e32 v5, 0, v5, vcc
	v_cndmask_b32_e32 v4, 7, v4, vcc
	v_cmp_eq_u32_e32 vcc, 0, v3
	v_min_i32_e32 v3, 15, v3
	v_cmp_eq_u64_e64 s[18:19], 0, v[4:5]
	v_lshlrev_b32_e32 v3, 3, v3
	v_and_b32_e32 v3, 0xf8, v3
	v_and_or_b32 v3, v4, 7, v3
	s_and_b64 s[18:19], vcc, s[18:19]
	v_cndmask_b32_e64 v3, v3, 0, s[18:19]
	v_or_b32_e32 v38, v3, v1
.LBB2_3439:                             ;   in Loop: Header=BB2_3261 Depth=2
	s_or_b64 exec, exec, s[90:91]
                                        ; implicit-def: $vgpr1
.LBB2_3440:                             ;   in Loop: Header=BB2_3261 Depth=2
	s_andn2_saveexec_b64 s[18:19], s[88:89]
; %bb.3441:                             ;   in Loop: Header=BB2_3261 Depth=2
	v_or_b32_e32 v38, 0x7e, v1
; %bb.3442:                             ;   in Loop: Header=BB2_3261 Depth=2
	s_or_b64 exec, exec, s[18:19]
                                        ; implicit-def: $vgpr3
.LBB2_3443:                             ;   in Loop: Header=BB2_3261 Depth=2
	s_andn2_saveexec_b64 s[18:19], s[78:79]
; %bb.3444:                             ;   in Loop: Header=BB2_3261 Depth=2
	v_or_b32_sdwa v38, v3, s39 dst_sel:DWORD dst_unused:UNUSED_PAD src0_sel:BYTE_3 src1_sel:DWORD
; %bb.3445:                             ;   in Loop: Header=BB2_3261 Depth=2
	s_or_b64 exec, exec, s[18:19]
	v_cmp_ne_u16_sdwa s[78:79], v12, v29 src0_sel:BYTE_0 src1_sel:DWORD
	v_mov_b32_e32 v1, 0
	s_and_saveexec_b64 s[18:19], s[78:79]
	s_cbranch_execz .LBB2_3451
; %bb.3446:                             ;   in Loop: Header=BB2_3261 Depth=2
	v_cmp_ne_u16_sdwa s[88:89], v12, s50 src0_sel:BYTE_0 src1_sel:DWORD
	v_bfrev_b32_e32 v1, 1
	s_and_saveexec_b64 s[78:79], s[88:89]
	s_cbranch_execz .LBB2_3450
; %bb.3447:                             ;   in Loop: Header=BB2_3261 Depth=2
	v_and_b32_e32 v3, 0x7f, v12
	v_cmp_ne_u32_e32 vcc, s39, v3
	v_mov_b32_e32 v1, 0x7f800001
	s_and_saveexec_b64 s[88:89], vcc
	s_cbranch_execz .LBB2_3449
; %bb.3448:                             ;   in Loop: Header=BB2_3261 Depth=2
	v_and_b32_e32 v1, 7, v12
	v_ffbh_u32_e32 v1, v1
	v_min_u32_e32 v1, 32, v1
	v_lshrrev_b32_e32 v4, 3, v3
	v_cmp_gt_u32_e32 vcc, 8, v3
	v_subrev_u32_e32 v3, 28, v1
	v_sub_u32_e32 v1, 29, v1
	v_cndmask_b32_e32 v3, 0, v3, vcc
	v_cndmask_b32_e32 v1, v4, v1, vcc
	v_lshlrev_b64 v[3:4], v3, v[12:13]
	v_lshlrev_b32_e32 v4, 24, v12
	v_lshlrev_b32_e32 v3, 20, v3
	v_and_b32_e32 v3, 0x700000, v3
	v_and_b32_e32 v4, 0x80000000, v4
	v_lshl_add_u32 v1, v1, 23, v57
	v_or3_b32 v1, v4, v1, v3
.LBB2_3449:                             ;   in Loop: Header=BB2_3261 Depth=2
	s_or_b64 exec, exec, s[88:89]
.LBB2_3450:                             ;   in Loop: Header=BB2_3261 Depth=2
	s_or_b64 exec, exec, s[78:79]
.LBB2_3451:                             ;   in Loop: Header=BB2_3261 Depth=2
	s_or_b64 exec, exec, s[18:19]
	v_mul_f32_e32 v3, v14, v1
	v_and_b32_e32 v28, 0x7f800000, v3
	v_cmp_ne_u64_e32 vcc, s[46:47], v[28:29]
                                        ; implicit-def: $vgpr15
	s_and_saveexec_b64 s[18:19], vcc
	s_xor_b64 s[78:79], exec, s[18:19]
	s_cbranch_execz .LBB2_3465
; %bb.3452:                             ;   in Loop: Header=BB2_3261 Depth=2
	v_and_b32_e32 v28, 0x7fffffff, v3
	v_cmp_gt_u64_e32 vcc, s[56:57], v[28:29]
	v_and_b32_sdwa v1, v3, s50 dst_sel:DWORD dst_unused:UNUSED_PAD src0_sel:BYTE_3 src1_sel:DWORD
                                        ; implicit-def: $vgpr15
	s_and_saveexec_b64 s[18:19], vcc
	s_xor_b64 s[88:89], exec, s[18:19]
	s_cbranch_execz .LBB2_3462
; %bb.3453:                             ;   in Loop: Header=BB2_3261 Depth=2
	v_mov_b32_e32 v15, 0
	v_cmp_ne_u32_e32 vcc, 0, v3
	s_and_saveexec_b64 s[90:91], vcc
	s_cbranch_execz .LBB2_3461
; %bb.3454:                             ;   in Loop: Header=BB2_3261 Depth=2
	v_and_b32_e32 v5, 0x7fffff, v3
	v_bfe_u32 v3, v3, 23, 8
	v_cmp_gt_u32_e64 s[18:19], s51, v3
	v_sub_u32_e32 v4, 0x79, v3
	v_cmp_eq_u32_e32 vcc, 0, v3
	v_cndmask_b32_e64 v4, 0, v4, s[18:19]
	v_or_b32_e32 v6, 0x800000, v5
	v_cndmask_b32_e32 v4, v4, v58, vcc
	v_cndmask_b32_e32 v28, v6, v5, vcc
	v_add_u32_e32 v5, 20, v4
	v_lshlrev_b64 v[5:6], v5, -1
	v_add_u32_e32 v7, 19, v4
	v_lshlrev_b64 v[7:8], v7, 1
	v_lshrrev_b64 v[10:11], v4, v[28:29]
	v_bfi_b32 v6, v6, 0, 0
	v_bfi_b32 v5, v5, 0, v28
	v_cmp_eq_u64_e64 s[18:19], v[5:6], v[7:8]
	v_mov_b32_e32 v55, v11
	v_mov_b32_e32 v54, v10
	s_and_saveexec_b64 s[92:93], s[18:19]
; %bb.3455:                             ;   in Loop: Header=BB2_3261 Depth=2
	v_bfe_u32 v5, v10, 20, 1
	v_add_co_u32_e64 v5, s[18:19], v10, v5
	v_add_co_u32_e64 v54, s[18:19], -1, v5
; %bb.3456:                             ;   in Loop: Header=BB2_3261 Depth=2
	s_or_b64 exec, exec, s[92:93]
	v_add_u32_e32 v3, 0xffffff81, v3
	v_cndmask_b32_e32 v3, v3, v59, vcc
	v_lshrrev_b32_e32 v5, 23, v10
	v_add3_u32 v5, v4, v3, v5
	v_add_u32_e32 v4, 6, v5
	v_and_b32_e32 v3, 0xfffff, v54
	v_add_u32_e32 v28, v3, v10
	v_cmp_ne_u32_e32 vcc, 0, v4
                                        ; implicit-def: $vgpr10_vgpr11
                                        ; implicit-def: $vgpr3
	s_and_saveexec_b64 s[18:19], vcc
	s_xor_b64 s[18:19], exec, s[18:19]
; %bb.3457:                             ;   in Loop: Header=BB2_3261 Depth=2
	v_cmp_lt_u64_e32 vcc, s[58:59], v[28:29]
	v_add_u32_e32 v3, 7, v5
	v_cndmask_b32_e32 v3, v4, v3, vcc
	v_cndmask_b32_e64 v4, 0, 1, vcc
	v_lshrrev_b64 v[10:11], v4, v[28:29]
; %bb.3458:                             ;   in Loop: Header=BB2_3261 Depth=2
	s_andn2_saveexec_b64 s[18:19], s[18:19]
; %bb.3459:                             ;   in Loop: Header=BB2_3261 Depth=2
	v_mov_b32_e32 v10, v28
	v_bfe_u32 v3, v28, 23, 1
	v_mov_b32_e32 v11, v29
; %bb.3460:                             ;   in Loop: Header=BB2_3261 Depth=2
	s_or_b64 exec, exec, s[18:19]
	v_lshrrev_b64 v[4:5], 20, v[10:11]
	v_cmp_gt_i32_e32 vcc, 16, v3
	v_cndmask_b32_e32 v5, 0, v5, vcc
	v_cndmask_b32_e32 v4, 7, v4, vcc
	v_cmp_eq_u32_e32 vcc, 0, v3
	v_min_i32_e32 v3, 15, v3
	v_cmp_eq_u64_e64 s[18:19], 0, v[4:5]
	v_lshlrev_b32_e32 v3, 3, v3
	v_and_b32_e32 v3, 0xf8, v3
	v_and_or_b32 v3, v4, 7, v3
	s_and_b64 s[18:19], vcc, s[18:19]
	v_cndmask_b32_e64 v3, v3, 0, s[18:19]
	v_or_b32_e32 v15, v3, v1
.LBB2_3461:                             ;   in Loop: Header=BB2_3261 Depth=2
	s_or_b64 exec, exec, s[90:91]
                                        ; implicit-def: $vgpr1
.LBB2_3462:                             ;   in Loop: Header=BB2_3261 Depth=2
	s_andn2_saveexec_b64 s[18:19], s[88:89]
; %bb.3463:                             ;   in Loop: Header=BB2_3261 Depth=2
	v_or_b32_e32 v15, 0x7e, v1
; %bb.3464:                             ;   in Loop: Header=BB2_3261 Depth=2
	s_or_b64 exec, exec, s[18:19]
                                        ; implicit-def: $vgpr3
.LBB2_3465:                             ;   in Loop: Header=BB2_3261 Depth=2
	s_andn2_saveexec_b64 s[18:19], s[78:79]
; %bb.3466:                             ;   in Loop: Header=BB2_3261 Depth=2
	v_or_b32_sdwa v15, v3, s39 dst_sel:DWORD dst_unused:UNUSED_PAD src0_sel:BYTE_3 src1_sel:DWORD
; %bb.3467:                             ;   in Loop: Header=BB2_3261 Depth=2
	s_or_b64 exec, exec, s[18:19]
	v_lshrrev_b16_e32 v10, 8, v12
	v_cmp_ne_u16_e32 vcc, 0, v10
	v_mov_b32_e32 v1, 0
	s_and_saveexec_b64 s[18:19], vcc
	s_cbranch_execz .LBB2_3473
; %bb.3468:                             ;   in Loop: Header=BB2_3261 Depth=2
	v_cmp_ne_u16_e32 vcc, s50, v10
	v_bfrev_b32_e32 v1, 1
	s_and_saveexec_b64 s[78:79], vcc
	s_cbranch_execz .LBB2_3472
; %bb.3469:                             ;   in Loop: Header=BB2_3261 Depth=2
	v_and_b32_e32 v3, 0x7f, v10
	v_cmp_ne_u32_e32 vcc, s39, v3
	v_mov_b32_e32 v1, 0x7f800001
	s_and_saveexec_b64 s[88:89], vcc
	s_cbranch_execz .LBB2_3471
; %bb.3470:                             ;   in Loop: Header=BB2_3261 Depth=2
	v_and_b32_e32 v1, 7, v10
	v_lshrrev_b32_e32 v5, 3, v3
	v_cmp_gt_u32_e32 vcc, 8, v3
	v_ffbh_u32_e32 v3, v1
	v_min_u32_e32 v6, 32, v3
	v_subrev_u32_e32 v3, 28, v6
	v_lshlrev_b64 v[3:4], v3, v[10:11]
	v_sub_u32_e32 v4, 29, v6
	v_and_b32_e32 v3, 7, v3
	v_cndmask_b32_e32 v4, v5, v4, vcc
	v_cndmask_b32_e32 v1, v1, v3, vcc
	v_lshlrev_b32_e32 v3, 16, v12
	v_lshlrev_b32_e32 v1, 20, v1
	v_and_b32_e32 v3, 0x80000000, v3
	v_lshl_add_u32 v4, v4, 23, v57
	v_or3_b32 v1, v3, v4, v1
.LBB2_3471:                             ;   in Loop: Header=BB2_3261 Depth=2
	s_or_b64 exec, exec, s[88:89]
.LBB2_3472:                             ;   in Loop: Header=BB2_3261 Depth=2
	s_or_b64 exec, exec, s[78:79]
.LBB2_3473:                             ;   in Loop: Header=BB2_3261 Depth=2
	s_or_b64 exec, exec, s[18:19]
	v_mul_f32_e32 v3, v14, v1
	v_and_b32_e32 v28, 0x7f800000, v3
	v_cmp_ne_u64_e32 vcc, s[46:47], v[28:29]
                                        ; implicit-def: $vgpr31
	s_and_saveexec_b64 s[18:19], vcc
	s_xor_b64 s[78:79], exec, s[18:19]
	s_cbranch_execz .LBB2_3487
; %bb.3474:                             ;   in Loop: Header=BB2_3261 Depth=2
	v_and_b32_e32 v28, 0x7fffffff, v3
	v_cmp_gt_u64_e32 vcc, s[56:57], v[28:29]
	v_and_b32_sdwa v1, v3, s50 dst_sel:DWORD dst_unused:UNUSED_PAD src0_sel:BYTE_3 src1_sel:DWORD
                                        ; implicit-def: $vgpr31
	s_and_saveexec_b64 s[18:19], vcc
	s_xor_b64 s[88:89], exec, s[18:19]
	s_cbranch_execz .LBB2_3484
; %bb.3475:                             ;   in Loop: Header=BB2_3261 Depth=2
	v_mov_b32_e32 v31, 0
	v_cmp_ne_u32_e32 vcc, 0, v3
	s_and_saveexec_b64 s[90:91], vcc
	s_cbranch_execz .LBB2_3483
; %bb.3476:                             ;   in Loop: Header=BB2_3261 Depth=2
	v_and_b32_e32 v5, 0x7fffff, v3
	v_bfe_u32 v3, v3, 23, 8
	v_cmp_gt_u32_e64 s[18:19], s51, v3
	v_sub_u32_e32 v4, 0x79, v3
	v_cmp_eq_u32_e32 vcc, 0, v3
	v_cndmask_b32_e64 v4, 0, v4, s[18:19]
	v_or_b32_e32 v6, 0x800000, v5
	v_cndmask_b32_e32 v4, v4, v58, vcc
	v_cndmask_b32_e32 v28, v6, v5, vcc
	v_add_u32_e32 v5, 20, v4
	v_lshlrev_b64 v[5:6], v5, -1
	v_add_u32_e32 v7, 19, v4
	v_lshlrev_b64 v[7:8], v7, 1
	v_lshrrev_b64 v[10:11], v4, v[28:29]
	v_bfi_b32 v6, v6, 0, 0
	v_bfi_b32 v5, v5, 0, v28
	v_cmp_eq_u64_e64 s[18:19], v[5:6], v[7:8]
	v_mov_b32_e32 v55, v11
	v_mov_b32_e32 v54, v10
	s_and_saveexec_b64 s[92:93], s[18:19]
; %bb.3477:                             ;   in Loop: Header=BB2_3261 Depth=2
	v_bfe_u32 v5, v10, 20, 1
	v_add_co_u32_e64 v5, s[18:19], v10, v5
	v_add_co_u32_e64 v54, s[18:19], -1, v5
; %bb.3478:                             ;   in Loop: Header=BB2_3261 Depth=2
	s_or_b64 exec, exec, s[92:93]
	v_add_u32_e32 v3, 0xffffff81, v3
	v_cndmask_b32_e32 v3, v3, v59, vcc
	v_lshrrev_b32_e32 v5, 23, v10
	v_add3_u32 v5, v4, v3, v5
	v_add_u32_e32 v4, 6, v5
	v_and_b32_e32 v3, 0xfffff, v54
	v_add_u32_e32 v28, v3, v10
	v_cmp_ne_u32_e32 vcc, 0, v4
                                        ; implicit-def: $vgpr10_vgpr11
                                        ; implicit-def: $vgpr3
	s_and_saveexec_b64 s[18:19], vcc
	s_xor_b64 s[18:19], exec, s[18:19]
; %bb.3479:                             ;   in Loop: Header=BB2_3261 Depth=2
	v_cmp_lt_u64_e32 vcc, s[58:59], v[28:29]
	v_add_u32_e32 v3, 7, v5
	v_cndmask_b32_e32 v3, v4, v3, vcc
	v_cndmask_b32_e64 v4, 0, 1, vcc
	v_lshrrev_b64 v[10:11], v4, v[28:29]
; %bb.3480:                             ;   in Loop: Header=BB2_3261 Depth=2
	s_andn2_saveexec_b64 s[18:19], s[18:19]
; %bb.3481:                             ;   in Loop: Header=BB2_3261 Depth=2
	v_mov_b32_e32 v10, v28
	v_bfe_u32 v3, v28, 23, 1
	v_mov_b32_e32 v11, v29
; %bb.3482:                             ;   in Loop: Header=BB2_3261 Depth=2
	s_or_b64 exec, exec, s[18:19]
	v_lshrrev_b64 v[4:5], 20, v[10:11]
	v_cmp_gt_i32_e32 vcc, 16, v3
	v_cndmask_b32_e32 v5, 0, v5, vcc
	v_cndmask_b32_e32 v4, 7, v4, vcc
	v_cmp_eq_u32_e32 vcc, 0, v3
	v_min_i32_e32 v3, 15, v3
	v_cmp_eq_u64_e64 s[18:19], 0, v[4:5]
	v_lshlrev_b32_e32 v3, 3, v3
	v_and_b32_e32 v3, 0xf8, v3
	v_and_or_b32 v3, v4, 7, v3
	s_and_b64 s[18:19], vcc, s[18:19]
	v_cndmask_b32_e64 v3, v3, 0, s[18:19]
	v_or_b32_e32 v31, v3, v1
.LBB2_3483:                             ;   in Loop: Header=BB2_3261 Depth=2
	s_or_b64 exec, exec, s[90:91]
                                        ; implicit-def: $vgpr1
.LBB2_3484:                             ;   in Loop: Header=BB2_3261 Depth=2
	s_andn2_saveexec_b64 s[18:19], s[88:89]
; %bb.3485:                             ;   in Loop: Header=BB2_3261 Depth=2
	v_or_b32_e32 v31, 0x7e, v1
; %bb.3486:                             ;   in Loop: Header=BB2_3261 Depth=2
	s_or_b64 exec, exec, s[18:19]
                                        ; implicit-def: $vgpr3
.LBB2_3487:                             ;   in Loop: Header=BB2_3261 Depth=2
	s_andn2_saveexec_b64 s[18:19], s[78:79]
; %bb.3488:                             ;   in Loop: Header=BB2_3261 Depth=2
	v_or_b32_sdwa v31, v3, s39 dst_sel:DWORD dst_unused:UNUSED_PAD src0_sel:BYTE_3 src1_sel:DWORD
; %bb.3489:                             ;   in Loop: Header=BB2_3261 Depth=2
	s_or_b64 exec, exec, s[18:19]
	v_lshrrev_b32_e32 v10, 16, v12
	v_cmp_ne_u16_sdwa s[78:79], v10, v29 src0_sel:BYTE_0 src1_sel:DWORD
	v_mov_b32_e32 v1, 0
	s_and_saveexec_b64 s[18:19], s[78:79]
	s_cbranch_execz .LBB2_3495
; %bb.3490:                             ;   in Loop: Header=BB2_3261 Depth=2
	v_cmp_ne_u16_sdwa s[88:89], v10, s50 src0_sel:BYTE_0 src1_sel:DWORD
	v_bfrev_b32_e32 v1, 1
	s_and_saveexec_b64 s[78:79], s[88:89]
	s_cbranch_execz .LBB2_3494
; %bb.3491:                             ;   in Loop: Header=BB2_3261 Depth=2
	v_bfe_u32 v3, v12, 16, 7
	v_cmp_ne_u32_e32 vcc, s39, v3
	v_mov_b32_e32 v1, 0x7f800001
	s_and_saveexec_b64 s[88:89], vcc
	s_cbranch_execz .LBB2_3493
; %bb.3492:                             ;   in Loop: Header=BB2_3261 Depth=2
	v_and_b32_e32 v1, 7, v10
	v_lshrrev_b32_e32 v5, 3, v3
	v_cmp_gt_u32_e32 vcc, 8, v3
	v_ffbh_u32_e32 v3, v1
	v_min_u32_e32 v6, 32, v3
	v_subrev_u32_e32 v3, 28, v6
	v_lshlrev_b64 v[3:4], v3, v[10:11]
	v_sub_u32_e32 v4, 29, v6
	v_and_b32_e32 v3, 7, v3
	v_cndmask_b32_e32 v4, v5, v4, vcc
	v_cndmask_b32_e32 v1, v1, v3, vcc
	v_lshlrev_b32_e32 v3, 24, v10
	v_lshlrev_b32_e32 v1, 20, v1
	v_and_b32_e32 v3, 0x80000000, v3
	v_lshl_add_u32 v4, v4, 23, v57
	v_or3_b32 v1, v3, v4, v1
.LBB2_3493:                             ;   in Loop: Header=BB2_3261 Depth=2
	s_or_b64 exec, exec, s[88:89]
.LBB2_3494:                             ;   in Loop: Header=BB2_3261 Depth=2
	s_or_b64 exec, exec, s[78:79]
.LBB2_3495:                             ;   in Loop: Header=BB2_3261 Depth=2
	s_or_b64 exec, exec, s[18:19]
	v_mul_f32_e32 v3, v14, v1
	v_and_b32_e32 v28, 0x7f800000, v3
	v_cmp_ne_u64_e32 vcc, s[46:47], v[28:29]
                                        ; implicit-def: $vgpr21
	s_and_saveexec_b64 s[18:19], vcc
	s_xor_b64 s[78:79], exec, s[18:19]
	s_cbranch_execz .LBB2_3509
; %bb.3496:                             ;   in Loop: Header=BB2_3261 Depth=2
	v_and_b32_e32 v28, 0x7fffffff, v3
	v_cmp_gt_u64_e32 vcc, s[56:57], v[28:29]
	v_and_b32_sdwa v1, v3, s50 dst_sel:DWORD dst_unused:UNUSED_PAD src0_sel:BYTE_3 src1_sel:DWORD
                                        ; implicit-def: $vgpr21
	s_and_saveexec_b64 s[18:19], vcc
	s_xor_b64 s[88:89], exec, s[18:19]
	s_cbranch_execz .LBB2_3506
; %bb.3497:                             ;   in Loop: Header=BB2_3261 Depth=2
	v_mov_b32_e32 v21, 0
	v_cmp_ne_u32_e32 vcc, 0, v3
	s_and_saveexec_b64 s[90:91], vcc
	s_cbranch_execz .LBB2_3505
; %bb.3498:                             ;   in Loop: Header=BB2_3261 Depth=2
	v_and_b32_e32 v5, 0x7fffff, v3
	v_bfe_u32 v3, v3, 23, 8
	v_cmp_gt_u32_e64 s[18:19], s51, v3
	v_sub_u32_e32 v4, 0x79, v3
	v_cmp_eq_u32_e32 vcc, 0, v3
	v_cndmask_b32_e64 v4, 0, v4, s[18:19]
	v_or_b32_e32 v6, 0x800000, v5
	v_cndmask_b32_e32 v4, v4, v58, vcc
	v_cndmask_b32_e32 v28, v6, v5, vcc
	v_add_u32_e32 v5, 20, v4
	v_lshlrev_b64 v[5:6], v5, -1
	v_add_u32_e32 v7, 19, v4
	v_lshlrev_b64 v[7:8], v7, 1
	v_lshrrev_b64 v[10:11], v4, v[28:29]
	v_bfi_b32 v6, v6, 0, 0
	v_bfi_b32 v5, v5, 0, v28
	v_cmp_eq_u64_e64 s[18:19], v[5:6], v[7:8]
	v_mov_b32_e32 v55, v11
	v_mov_b32_e32 v54, v10
	s_and_saveexec_b64 s[92:93], s[18:19]
; %bb.3499:                             ;   in Loop: Header=BB2_3261 Depth=2
	v_bfe_u32 v5, v10, 20, 1
	v_add_co_u32_e64 v5, s[18:19], v10, v5
	v_add_co_u32_e64 v54, s[18:19], -1, v5
; %bb.3500:                             ;   in Loop: Header=BB2_3261 Depth=2
	s_or_b64 exec, exec, s[92:93]
	v_add_u32_e32 v3, 0xffffff81, v3
	v_cndmask_b32_e32 v3, v3, v59, vcc
	v_lshrrev_b32_e32 v5, 23, v10
	v_add3_u32 v5, v4, v3, v5
	v_add_u32_e32 v4, 6, v5
	v_and_b32_e32 v3, 0xfffff, v54
	v_add_u32_e32 v28, v3, v10
	v_cmp_ne_u32_e32 vcc, 0, v4
                                        ; implicit-def: $vgpr10_vgpr11
                                        ; implicit-def: $vgpr3
	s_and_saveexec_b64 s[18:19], vcc
	s_xor_b64 s[18:19], exec, s[18:19]
; %bb.3501:                             ;   in Loop: Header=BB2_3261 Depth=2
	v_cmp_lt_u64_e32 vcc, s[58:59], v[28:29]
	v_add_u32_e32 v3, 7, v5
	v_cndmask_b32_e32 v3, v4, v3, vcc
	v_cndmask_b32_e64 v4, 0, 1, vcc
	v_lshrrev_b64 v[10:11], v4, v[28:29]
; %bb.3502:                             ;   in Loop: Header=BB2_3261 Depth=2
	s_andn2_saveexec_b64 s[18:19], s[18:19]
; %bb.3503:                             ;   in Loop: Header=BB2_3261 Depth=2
	v_mov_b32_e32 v10, v28
	v_bfe_u32 v3, v28, 23, 1
	v_mov_b32_e32 v11, v29
; %bb.3504:                             ;   in Loop: Header=BB2_3261 Depth=2
	s_or_b64 exec, exec, s[18:19]
	v_lshrrev_b64 v[4:5], 20, v[10:11]
	v_cmp_gt_i32_e32 vcc, 16, v3
	v_cndmask_b32_e32 v5, 0, v5, vcc
	v_cndmask_b32_e32 v4, 7, v4, vcc
	v_cmp_eq_u32_e32 vcc, 0, v3
	v_min_i32_e32 v3, 15, v3
	v_cmp_eq_u64_e64 s[18:19], 0, v[4:5]
	v_lshlrev_b32_e32 v3, 3, v3
	v_and_b32_e32 v3, 0xf8, v3
	v_and_or_b32 v3, v4, 7, v3
	s_and_b64 s[18:19], vcc, s[18:19]
	v_cndmask_b32_e64 v3, v3, 0, s[18:19]
	v_or_b32_e32 v21, v3, v1
.LBB2_3505:                             ;   in Loop: Header=BB2_3261 Depth=2
	s_or_b64 exec, exec, s[90:91]
                                        ; implicit-def: $vgpr1
.LBB2_3506:                             ;   in Loop: Header=BB2_3261 Depth=2
	s_andn2_saveexec_b64 s[18:19], s[88:89]
; %bb.3507:                             ;   in Loop: Header=BB2_3261 Depth=2
	v_or_b32_e32 v21, 0x7e, v1
; %bb.3508:                             ;   in Loop: Header=BB2_3261 Depth=2
	s_or_b64 exec, exec, s[18:19]
                                        ; implicit-def: $vgpr3
.LBB2_3509:                             ;   in Loop: Header=BB2_3261 Depth=2
	s_andn2_saveexec_b64 s[18:19], s[78:79]
; %bb.3510:                             ;   in Loop: Header=BB2_3261 Depth=2
	v_or_b32_sdwa v21, v3, s39 dst_sel:DWORD dst_unused:UNUSED_PAD src0_sel:BYTE_3 src1_sel:DWORD
; %bb.3511:                             ;   in Loop: Header=BB2_3261 Depth=2
	s_or_b64 exec, exec, s[18:19]
	v_cmp_lt_u32_e32 vcc, s61, v12
	v_mov_b32_e32 v1, 0
	s_and_saveexec_b64 s[18:19], vcc
	s_cbranch_execz .LBB2_3517
; %bb.3512:                             ;   in Loop: Header=BB2_3261 Depth=2
	v_lshrrev_b32_e32 v10, 24, v12
	v_cmp_ne_u32_e32 vcc, s50, v10
	v_bfrev_b32_e32 v1, 1
	s_and_saveexec_b64 s[78:79], vcc
	s_cbranch_execz .LBB2_3516
; %bb.3513:                             ;   in Loop: Header=BB2_3261 Depth=2
	v_bfe_u32 v3, v12, 24, 7
	v_cmp_ne_u32_e32 vcc, s39, v3
	v_mov_b32_e32 v1, 0x7f800001
	s_and_saveexec_b64 s[88:89], vcc
	s_cbranch_execz .LBB2_3515
; %bb.3514:                             ;   in Loop: Header=BB2_3261 Depth=2
	v_and_b32_e32 v1, 7, v10
	v_lshrrev_b32_e32 v5, 3, v3
	v_cmp_gt_u32_e32 vcc, 8, v3
	v_ffbh_u32_e32 v3, v1
	v_min_u32_e32 v6, 32, v3
	v_subrev_u32_e32 v3, 28, v6
	v_lshlrev_b64 v[3:4], v3, v[10:11]
	v_sub_u32_e32 v4, 29, v6
	v_and_b32_e32 v3, 7, v3
	v_cndmask_b32_e32 v4, v5, v4, vcc
	v_cndmask_b32_e32 v1, v1, v3, vcc
	v_lshlrev_b32_e32 v3, 24, v10
	v_lshlrev_b32_e32 v1, 20, v1
	v_and_b32_e32 v3, 0x80000000, v3
	v_lshl_add_u32 v4, v4, 23, v57
	v_or3_b32 v1, v3, v4, v1
.LBB2_3515:                             ;   in Loop: Header=BB2_3261 Depth=2
	s_or_b64 exec, exec, s[88:89]
.LBB2_3516:                             ;   in Loop: Header=BB2_3261 Depth=2
	s_or_b64 exec, exec, s[78:79]
.LBB2_3517:                             ;   in Loop: Header=BB2_3261 Depth=2
	s_or_b64 exec, exec, s[18:19]
	v_mul_f32_e32 v3, v14, v1
	v_and_b32_e32 v28, 0x7f800000, v3
	v_cmp_ne_u64_e32 vcc, s[46:47], v[28:29]
                                        ; implicit-def: $vgpr44
	s_and_saveexec_b64 s[18:19], vcc
	s_xor_b64 s[78:79], exec, s[18:19]
	s_cbranch_execz .LBB2_3531
; %bb.3518:                             ;   in Loop: Header=BB2_3261 Depth=2
	v_and_b32_e32 v28, 0x7fffffff, v3
	v_cmp_gt_u64_e32 vcc, s[56:57], v[28:29]
	v_and_b32_sdwa v1, v3, s50 dst_sel:DWORD dst_unused:UNUSED_PAD src0_sel:BYTE_3 src1_sel:DWORD
                                        ; implicit-def: $vgpr44
	s_and_saveexec_b64 s[18:19], vcc
	s_xor_b64 s[88:89], exec, s[18:19]
	s_cbranch_execz .LBB2_3528
; %bb.3519:                             ;   in Loop: Header=BB2_3261 Depth=2
	v_mov_b32_e32 v44, 0
	v_cmp_ne_u32_e32 vcc, 0, v3
	s_and_saveexec_b64 s[90:91], vcc
	s_cbranch_execz .LBB2_3527
; %bb.3520:                             ;   in Loop: Header=BB2_3261 Depth=2
	v_and_b32_e32 v5, 0x7fffff, v3
	v_bfe_u32 v3, v3, 23, 8
	v_cmp_gt_u32_e64 s[18:19], s51, v3
	v_sub_u32_e32 v4, 0x79, v3
	v_cmp_eq_u32_e32 vcc, 0, v3
	v_cndmask_b32_e64 v4, 0, v4, s[18:19]
	v_or_b32_e32 v6, 0x800000, v5
	v_cndmask_b32_e32 v4, v4, v58, vcc
	v_cndmask_b32_e32 v28, v6, v5, vcc
	v_add_u32_e32 v5, 20, v4
	v_lshlrev_b64 v[5:6], v5, -1
	v_add_u32_e32 v7, 19, v4
	v_lshlrev_b64 v[7:8], v7, 1
	v_lshrrev_b64 v[10:11], v4, v[28:29]
	v_bfi_b32 v6, v6, 0, 0
	v_bfi_b32 v5, v5, 0, v28
	v_cmp_eq_u64_e64 s[18:19], v[5:6], v[7:8]
	v_mov_b32_e32 v55, v11
	v_mov_b32_e32 v54, v10
	s_and_saveexec_b64 s[92:93], s[18:19]
; %bb.3521:                             ;   in Loop: Header=BB2_3261 Depth=2
	v_bfe_u32 v5, v10, 20, 1
	v_add_co_u32_e64 v5, s[18:19], v10, v5
	v_add_co_u32_e64 v54, s[18:19], -1, v5
; %bb.3522:                             ;   in Loop: Header=BB2_3261 Depth=2
	s_or_b64 exec, exec, s[92:93]
	v_add_u32_e32 v3, 0xffffff81, v3
	v_cndmask_b32_e32 v3, v3, v59, vcc
	v_lshrrev_b32_e32 v5, 23, v10
	v_add3_u32 v5, v4, v3, v5
	v_add_u32_e32 v4, 6, v5
	v_and_b32_e32 v3, 0xfffff, v54
	v_add_u32_e32 v28, v3, v10
	v_cmp_ne_u32_e32 vcc, 0, v4
                                        ; implicit-def: $vgpr10_vgpr11
                                        ; implicit-def: $vgpr3
	s_and_saveexec_b64 s[18:19], vcc
	s_xor_b64 s[18:19], exec, s[18:19]
; %bb.3523:                             ;   in Loop: Header=BB2_3261 Depth=2
	v_cmp_lt_u64_e32 vcc, s[58:59], v[28:29]
	v_add_u32_e32 v3, 7, v5
	v_cndmask_b32_e32 v3, v4, v3, vcc
	v_cndmask_b32_e64 v4, 0, 1, vcc
	v_lshrrev_b64 v[10:11], v4, v[28:29]
; %bb.3524:                             ;   in Loop: Header=BB2_3261 Depth=2
	s_andn2_saveexec_b64 s[18:19], s[18:19]
; %bb.3525:                             ;   in Loop: Header=BB2_3261 Depth=2
	v_mov_b32_e32 v10, v28
	v_bfe_u32 v3, v28, 23, 1
	v_mov_b32_e32 v11, v29
; %bb.3526:                             ;   in Loop: Header=BB2_3261 Depth=2
	s_or_b64 exec, exec, s[18:19]
	v_lshrrev_b64 v[4:5], 20, v[10:11]
	v_cmp_gt_i32_e32 vcc, 16, v3
	v_cndmask_b32_e32 v5, 0, v5, vcc
	v_cndmask_b32_e32 v4, 7, v4, vcc
	v_cmp_eq_u32_e32 vcc, 0, v3
	v_min_i32_e32 v3, 15, v3
	v_cmp_eq_u64_e64 s[18:19], 0, v[4:5]
	v_lshlrev_b32_e32 v3, 3, v3
	v_and_b32_e32 v3, 0xf8, v3
	v_and_or_b32 v3, v4, 7, v3
	s_and_b64 s[18:19], vcc, s[18:19]
	v_cndmask_b32_e64 v3, v3, 0, s[18:19]
	v_or_b32_e32 v44, v3, v1
.LBB2_3527:                             ;   in Loop: Header=BB2_3261 Depth=2
	s_or_b64 exec, exec, s[90:91]
                                        ; implicit-def: $vgpr1
.LBB2_3528:                             ;   in Loop: Header=BB2_3261 Depth=2
	s_andn2_saveexec_b64 s[18:19], s[88:89]
; %bb.3529:                             ;   in Loop: Header=BB2_3261 Depth=2
	v_or_b32_e32 v44, 0x7e, v1
; %bb.3530:                             ;   in Loop: Header=BB2_3261 Depth=2
	s_or_b64 exec, exec, s[18:19]
                                        ; implicit-def: $vgpr3
.LBB2_3531:                             ;   in Loop: Header=BB2_3261 Depth=2
	s_andn2_saveexec_b64 s[18:19], s[78:79]
; %bb.3532:                             ;   in Loop: Header=BB2_3261 Depth=2
	v_or_b32_sdwa v44, v3, s39 dst_sel:DWORD dst_unused:UNUSED_PAD src0_sel:BYTE_3 src1_sel:DWORD
; %bb.3533:                             ;   in Loop: Header=BB2_3261 Depth=2
	s_or_b64 exec, exec, s[18:19]
	v_mov_b32_e32 v28, v13
	v_cmp_ne_u16_sdwa s[78:79], v13, v29 src0_sel:BYTE_0 src1_sel:DWORD
	v_mov_b32_e32 v1, 0
	s_and_saveexec_b64 s[18:19], s[78:79]
	s_cbranch_execz .LBB2_3539
; %bb.3534:                             ;   in Loop: Header=BB2_3261 Depth=2
	v_cmp_ne_u16_sdwa s[88:89], v13, s50 src0_sel:BYTE_0 src1_sel:DWORD
	v_bfrev_b32_e32 v1, 1
	s_and_saveexec_b64 s[78:79], s[88:89]
	s_cbranch_execz .LBB2_3538
; %bb.3535:                             ;   in Loop: Header=BB2_3261 Depth=2
	v_and_b32_e32 v3, 0x7f, v13
	v_cmp_ne_u32_e32 vcc, s39, v3
	v_mov_b32_e32 v1, 0x7f800001
	s_and_saveexec_b64 s[88:89], vcc
	s_cbranch_execz .LBB2_3537
; %bb.3536:                             ;   in Loop: Header=BB2_3261 Depth=2
	v_and_b32_e32 v1, 7, v13
	v_ffbh_u32_e32 v1, v1
	v_min_u32_e32 v1, 32, v1
	v_lshrrev_b32_e32 v4, 3, v3
	v_cmp_gt_u32_e32 vcc, 8, v3
	v_subrev_u32_e32 v3, 28, v1
	v_sub_u32_e32 v1, 29, v1
	v_cndmask_b32_e32 v3, 0, v3, vcc
	v_cndmask_b32_e32 v1, v4, v1, vcc
	v_lshlrev_b64 v[3:4], v3, v[28:29]
	v_lshlrev_b32_e32 v4, 24, v28
	v_lshlrev_b32_e32 v3, 20, v3
	v_and_b32_e32 v3, 0x700000, v3
	v_and_b32_e32 v4, 0x80000000, v4
	v_lshl_add_u32 v1, v1, 23, v57
	v_or3_b32 v1, v4, v1, v3
.LBB2_3537:                             ;   in Loop: Header=BB2_3261 Depth=2
	s_or_b64 exec, exec, s[88:89]
.LBB2_3538:                             ;   in Loop: Header=BB2_3261 Depth=2
	s_or_b64 exec, exec, s[78:79]
.LBB2_3539:                             ;   in Loop: Header=BB2_3261 Depth=2
	s_or_b64 exec, exec, s[18:19]
	v_mul_f32_e32 v4, v14, v1
	v_and_b32_e32 v5, 0x7f800000, v4
	v_mov_b32_e32 v6, v29
	v_cmp_ne_u64_e32 vcc, s[46:47], v[5:6]
                                        ; implicit-def: $vgpr1
	s_and_saveexec_b64 s[18:19], vcc
	s_xor_b64 s[78:79], exec, s[18:19]
	s_cbranch_execz .LBB2_3553
; %bb.3540:                             ;   in Loop: Header=BB2_3261 Depth=2
	v_and_b32_e32 v5, 0x7fffffff, v4
	v_mov_b32_e32 v6, v29
	v_cmp_gt_u64_e32 vcc, s[56:57], v[5:6]
	v_and_b32_sdwa v3, v4, s50 dst_sel:DWORD dst_unused:UNUSED_PAD src0_sel:BYTE_3 src1_sel:DWORD
                                        ; implicit-def: $vgpr1
	s_and_saveexec_b64 s[18:19], vcc
	s_xor_b64 s[88:89], exec, s[18:19]
	s_cbranch_execz .LBB2_3550
; %bb.3541:                             ;   in Loop: Header=BB2_3261 Depth=2
	v_mov_b32_e32 v1, 0
	v_cmp_ne_u32_e32 vcc, 0, v4
	s_and_saveexec_b64 s[90:91], vcc
	s_cbranch_execz .LBB2_3549
; %bb.3542:                             ;   in Loop: Header=BB2_3261 Depth=2
	v_bfe_u32 v1, v4, 23, 8
	v_and_b32_e32 v5, 0x7fffff, v4
	v_cmp_gt_u32_e64 s[18:19], s51, v1
	v_sub_u32_e32 v4, 0x79, v1
	v_cmp_eq_u32_e32 vcc, 0, v1
	v_cndmask_b32_e64 v4, 0, v4, s[18:19]
	v_cndmask_b32_e32 v4, v4, v58, vcc
	v_add_u32_e32 v7, 20, v4
	v_or_b32_e32 v6, 0x800000, v5
	v_lshlrev_b64 v[7:8], v7, -1
	v_add_u32_e32 v9, 19, v4
	v_cndmask_b32_e32 v5, v6, v5, vcc
	v_lshlrev_b64 v[9:10], v9, 1
	v_mov_b32_e32 v6, v29
	v_bfi_b32 v8, v8, 0, 0
	v_bfi_b32 v7, v7, 0, v5
	v_cmp_eq_u64_e64 s[18:19], v[7:8], v[9:10]
	v_lshrrev_b64 v[10:11], v4, v[5:6]
	v_mov_b32_e32 v55, v11
	v_mov_b32_e32 v54, v10
	s_and_saveexec_b64 s[92:93], s[18:19]
; %bb.3543:                             ;   in Loop: Header=BB2_3261 Depth=2
	v_bfe_u32 v5, v10, 20, 1
	v_add_co_u32_e64 v5, s[18:19], v10, v5
	v_add_co_u32_e64 v54, s[18:19], -1, v5
; %bb.3544:                             ;   in Loop: Header=BB2_3261 Depth=2
	s_or_b64 exec, exec, s[92:93]
	v_add_u32_e32 v1, 0xffffff81, v1
	v_cndmask_b32_e32 v1, v1, v59, vcc
	v_lshrrev_b32_e32 v5, 23, v10
	v_add3_u32 v5, v4, v1, v5
	v_add_u32_e32 v4, 6, v5
	v_and_b32_e32 v1, 0xfffff, v54
	v_add_u32_e32 v10, v1, v10
	v_mov_b32_e32 v11, v29
	v_cmp_ne_u32_e32 vcc, 0, v4
                                        ; implicit-def: $vgpr1
	s_and_saveexec_b64 s[18:19], vcc
	s_xor_b64 s[18:19], exec, s[18:19]
; %bb.3545:                             ;   in Loop: Header=BB2_3261 Depth=2
	v_cmp_lt_u64_e32 vcc, s[58:59], v[10:11]
	v_add_u32_e32 v1, 7, v5
	v_cndmask_b32_e32 v1, v4, v1, vcc
	v_cndmask_b32_e64 v4, 0, 1, vcc
	v_lshrrev_b64 v[10:11], v4, v[10:11]
; %bb.3546:                             ;   in Loop: Header=BB2_3261 Depth=2
	s_andn2_saveexec_b64 s[18:19], s[18:19]
; %bb.3547:                             ;   in Loop: Header=BB2_3261 Depth=2
	v_bfe_u32 v1, v10, 23, 1
; %bb.3548:                             ;   in Loop: Header=BB2_3261 Depth=2
	s_or_b64 exec, exec, s[18:19]
	v_lshrrev_b64 v[4:5], 20, v[10:11]
	v_cmp_gt_i32_e32 vcc, 16, v1
	v_cndmask_b32_e32 v5, 0, v5, vcc
	v_cndmask_b32_e32 v4, 7, v4, vcc
	v_cmp_eq_u32_e32 vcc, 0, v1
	v_min_i32_e32 v1, 15, v1
	v_cmp_eq_u64_e64 s[18:19], 0, v[4:5]
	v_lshlrev_b32_e32 v1, 3, v1
	v_and_b32_e32 v1, 0xf8, v1
	v_and_or_b32 v1, v4, 7, v1
	s_and_b64 s[18:19], vcc, s[18:19]
	v_cndmask_b32_e64 v1, v1, 0, s[18:19]
	v_or_b32_e32 v1, v1, v3
.LBB2_3549:                             ;   in Loop: Header=BB2_3261 Depth=2
	s_or_b64 exec, exec, s[90:91]
                                        ; implicit-def: $vgpr3
.LBB2_3550:                             ;   in Loop: Header=BB2_3261 Depth=2
	s_andn2_saveexec_b64 s[18:19], s[88:89]
; %bb.3551:                             ;   in Loop: Header=BB2_3261 Depth=2
	v_or_b32_e32 v1, 0x7e, v3
; %bb.3552:                             ;   in Loop: Header=BB2_3261 Depth=2
	s_or_b64 exec, exec, s[18:19]
                                        ; implicit-def: $vgpr4
.LBB2_3553:                             ;   in Loop: Header=BB2_3261 Depth=2
	s_andn2_saveexec_b64 s[18:19], s[78:79]
; %bb.3554:                             ;   in Loop: Header=BB2_3261 Depth=2
	v_or_b32_sdwa v1, v4, s39 dst_sel:DWORD dst_unused:UNUSED_PAD src0_sel:BYTE_3 src1_sel:DWORD
; %bb.3555:                             ;   in Loop: Header=BB2_3261 Depth=2
	s_or_b64 exec, exec, s[18:19]
	v_lshrrev_b16_e32 v10, 8, v28
	v_cmp_ne_u16_e32 vcc, 0, v10
	v_mov_b32_e32 v3, 0
	s_and_saveexec_b64 s[18:19], vcc
	s_cbranch_execz .LBB2_3561
; %bb.3556:                             ;   in Loop: Header=BB2_3261 Depth=2
	v_cmp_ne_u16_e32 vcc, s50, v10
	v_bfrev_b32_e32 v3, 1
	s_and_saveexec_b64 s[78:79], vcc
	s_cbranch_execz .LBB2_3560
; %bb.3557:                             ;   in Loop: Header=BB2_3261 Depth=2
	v_and_b32_e32 v4, 0x7f, v10
	v_cmp_ne_u32_e32 vcc, s39, v4
	v_mov_b32_e32 v3, 0x7f800001
	s_and_saveexec_b64 s[88:89], vcc
	s_cbranch_execz .LBB2_3559
; %bb.3558:                             ;   in Loop: Header=BB2_3261 Depth=2
	v_and_b32_e32 v5, 7, v10
	v_ffbh_u32_e32 v3, v5
	v_min_u32_e32 v7, 32, v3
	v_subrev_u32_e32 v3, 28, v7
	v_lshrrev_b32_e32 v6, 3, v4
	v_cmp_gt_u32_e32 vcc, 8, v4
	v_lshlrev_b64 v[3:4], v3, v[10:11]
	v_sub_u32_e32 v4, 29, v7
	v_and_b32_e32 v3, 7, v3
	v_cndmask_b32_e32 v4, v6, v4, vcc
	v_cndmask_b32_e32 v3, v5, v3, vcc
	v_lshlrev_b32_e32 v5, 16, v28
	v_lshlrev_b32_e32 v3, 20, v3
	v_and_b32_e32 v5, 0x80000000, v5
	v_lshl_add_u32 v4, v4, 23, v57
	v_or3_b32 v3, v5, v4, v3
.LBB2_3559:                             ;   in Loop: Header=BB2_3261 Depth=2
	s_or_b64 exec, exec, s[88:89]
.LBB2_3560:                             ;   in Loop: Header=BB2_3261 Depth=2
	s_or_b64 exec, exec, s[78:79]
.LBB2_3561:                             ;   in Loop: Header=BB2_3261 Depth=2
	s_or_b64 exec, exec, s[18:19]
	v_mul_f32_e32 v4, v14, v3
	v_and_b32_e32 v28, 0x7f800000, v4
	v_cmp_ne_u64_e32 vcc, s[46:47], v[28:29]
                                        ; implicit-def: $vgpr60
	s_and_saveexec_b64 s[18:19], vcc
	s_xor_b64 s[78:79], exec, s[18:19]
	s_cbranch_execz .LBB2_3575
; %bb.3562:                             ;   in Loop: Header=BB2_3261 Depth=2
	v_and_b32_e32 v28, 0x7fffffff, v4
	v_cmp_gt_u64_e32 vcc, s[56:57], v[28:29]
	v_and_b32_sdwa v3, v4, s50 dst_sel:DWORD dst_unused:UNUSED_PAD src0_sel:BYTE_3 src1_sel:DWORD
                                        ; implicit-def: $vgpr60
	s_and_saveexec_b64 s[18:19], vcc
	s_xor_b64 s[88:89], exec, s[18:19]
	s_cbranch_execz .LBB2_3572
; %bb.3563:                             ;   in Loop: Header=BB2_3261 Depth=2
	v_mov_b32_e32 v60, 0
	v_cmp_ne_u32_e32 vcc, 0, v4
	s_and_saveexec_b64 s[90:91], vcc
	s_cbranch_execz .LBB2_3571
; %bb.3564:                             ;   in Loop: Header=BB2_3261 Depth=2
	v_and_b32_e32 v6, 0x7fffff, v4
	v_bfe_u32 v4, v4, 23, 8
	v_cmp_gt_u32_e64 s[18:19], s51, v4
	v_sub_u32_e32 v5, 0x79, v4
	v_cmp_eq_u32_e32 vcc, 0, v4
	v_cndmask_b32_e64 v5, 0, v5, s[18:19]
	v_or_b32_e32 v7, 0x800000, v6
	v_cndmask_b32_e32 v5, v5, v58, vcc
	v_cndmask_b32_e32 v28, v7, v6, vcc
	v_add_u32_e32 v6, 20, v5
	v_lshlrev_b64 v[6:7], v6, -1
	v_add_u32_e32 v8, 19, v5
	v_lshlrev_b64 v[8:9], v8, 1
	v_lshrrev_b64 v[10:11], v5, v[28:29]
	v_bfi_b32 v7, v7, 0, 0
	v_bfi_b32 v6, v6, 0, v28
	v_cmp_eq_u64_e64 s[18:19], v[6:7], v[8:9]
	v_mov_b32_e32 v55, v11
	v_mov_b32_e32 v54, v10
	s_and_saveexec_b64 s[92:93], s[18:19]
; %bb.3565:                             ;   in Loop: Header=BB2_3261 Depth=2
	v_bfe_u32 v6, v10, 20, 1
	v_add_co_u32_e64 v6, s[18:19], v10, v6
	v_add_co_u32_e64 v54, s[18:19], -1, v6
; %bb.3566:                             ;   in Loop: Header=BB2_3261 Depth=2
	s_or_b64 exec, exec, s[92:93]
	v_add_u32_e32 v4, 0xffffff81, v4
	v_cndmask_b32_e32 v4, v4, v59, vcc
	v_lshrrev_b32_e32 v6, 23, v10
	v_add3_u32 v6, v5, v4, v6
	v_add_u32_e32 v5, 6, v6
	v_and_b32_e32 v4, 0xfffff, v54
	v_add_u32_e32 v28, v4, v10
	v_cmp_ne_u32_e32 vcc, 0, v5
                                        ; implicit-def: $vgpr10_vgpr11
                                        ; implicit-def: $vgpr4
	s_and_saveexec_b64 s[18:19], vcc
	s_xor_b64 s[18:19], exec, s[18:19]
; %bb.3567:                             ;   in Loop: Header=BB2_3261 Depth=2
	v_cmp_lt_u64_e32 vcc, s[58:59], v[28:29]
	v_add_u32_e32 v4, 7, v6
	v_cndmask_b32_e32 v4, v5, v4, vcc
	v_cndmask_b32_e64 v5, 0, 1, vcc
	v_lshrrev_b64 v[10:11], v5, v[28:29]
; %bb.3568:                             ;   in Loop: Header=BB2_3261 Depth=2
	s_andn2_saveexec_b64 s[18:19], s[18:19]
; %bb.3569:                             ;   in Loop: Header=BB2_3261 Depth=2
	v_mov_b32_e32 v10, v28
	v_bfe_u32 v4, v28, 23, 1
	v_mov_b32_e32 v11, v29
; %bb.3570:                             ;   in Loop: Header=BB2_3261 Depth=2
	s_or_b64 exec, exec, s[18:19]
	v_lshrrev_b64 v[5:6], 20, v[10:11]
	v_cmp_gt_i32_e32 vcc, 16, v4
	v_cndmask_b32_e32 v6, 0, v6, vcc
	v_cndmask_b32_e32 v5, 7, v5, vcc
	v_cmp_eq_u32_e32 vcc, 0, v4
	v_min_i32_e32 v4, 15, v4
	v_cmp_eq_u64_e64 s[18:19], 0, v[5:6]
	v_lshlrev_b32_e32 v4, 3, v4
	v_and_b32_e32 v4, 0xf8, v4
	v_and_or_b32 v4, v5, 7, v4
	s_and_b64 s[18:19], vcc, s[18:19]
	v_cndmask_b32_e64 v4, v4, 0, s[18:19]
	v_or_b32_e32 v60, v4, v3
.LBB2_3571:                             ;   in Loop: Header=BB2_3261 Depth=2
	s_or_b64 exec, exec, s[90:91]
                                        ; implicit-def: $vgpr3
.LBB2_3572:                             ;   in Loop: Header=BB2_3261 Depth=2
	s_andn2_saveexec_b64 s[18:19], s[88:89]
; %bb.3573:                             ;   in Loop: Header=BB2_3261 Depth=2
	v_or_b32_e32 v60, 0x7e, v3
; %bb.3574:                             ;   in Loop: Header=BB2_3261 Depth=2
	s_or_b64 exec, exec, s[18:19]
                                        ; implicit-def: $vgpr4
.LBB2_3575:                             ;   in Loop: Header=BB2_3261 Depth=2
	s_andn2_saveexec_b64 s[18:19], s[78:79]
; %bb.3576:                             ;   in Loop: Header=BB2_3261 Depth=2
	v_or_b32_sdwa v60, v4, s39 dst_sel:DWORD dst_unused:UNUSED_PAD src0_sel:BYTE_3 src1_sel:DWORD
; %bb.3577:                             ;   in Loop: Header=BB2_3261 Depth=2
	s_or_b64 exec, exec, s[18:19]
	v_lshrrev_b32_e32 v10, 16, v13
	v_cmp_ne_u16_sdwa s[78:79], v10, v29 src0_sel:BYTE_0 src1_sel:DWORD
	v_mov_b32_e32 v3, 0
	s_and_saveexec_b64 s[18:19], s[78:79]
	s_cbranch_execz .LBB2_3583
; %bb.3578:                             ;   in Loop: Header=BB2_3261 Depth=2
	v_cmp_ne_u16_sdwa s[88:89], v10, s50 src0_sel:BYTE_0 src1_sel:DWORD
	v_bfrev_b32_e32 v3, 1
	s_and_saveexec_b64 s[78:79], s[88:89]
	s_cbranch_execz .LBB2_3582
; %bb.3579:                             ;   in Loop: Header=BB2_3261 Depth=2
	v_bfe_u32 v4, v13, 16, 7
	v_cmp_ne_u32_e32 vcc, s39, v4
	v_mov_b32_e32 v3, 0x7f800001
	s_and_saveexec_b64 s[88:89], vcc
	s_cbranch_execz .LBB2_3581
; %bb.3580:                             ;   in Loop: Header=BB2_3261 Depth=2
	v_and_b32_e32 v5, 7, v10
	v_ffbh_u32_e32 v3, v5
	v_min_u32_e32 v7, 32, v3
	v_subrev_u32_e32 v3, 28, v7
	v_lshrrev_b32_e32 v6, 3, v4
	v_cmp_gt_u32_e32 vcc, 8, v4
	v_lshlrev_b64 v[3:4], v3, v[10:11]
	v_sub_u32_e32 v4, 29, v7
	v_and_b32_e32 v3, 7, v3
	v_cndmask_b32_e32 v4, v6, v4, vcc
	v_cndmask_b32_e32 v3, v5, v3, vcc
	v_lshlrev_b32_e32 v5, 24, v10
	v_lshlrev_b32_e32 v3, 20, v3
	v_and_b32_e32 v5, 0x80000000, v5
	v_lshl_add_u32 v4, v4, 23, v57
	v_or3_b32 v3, v5, v4, v3
.LBB2_3581:                             ;   in Loop: Header=BB2_3261 Depth=2
	s_or_b64 exec, exec, s[88:89]
.LBB2_3582:                             ;   in Loop: Header=BB2_3261 Depth=2
	s_or_b64 exec, exec, s[78:79]
.LBB2_3583:                             ;   in Loop: Header=BB2_3261 Depth=2
	s_or_b64 exec, exec, s[18:19]
	v_mul_f32_e32 v5, v14, v3
	v_and_b32_e32 v28, 0x7f800000, v5
	v_cmp_ne_u64_e32 vcc, s[46:47], v[28:29]
                                        ; implicit-def: $vgpr3
	s_and_saveexec_b64 s[18:19], vcc
	s_xor_b64 s[78:79], exec, s[18:19]
	s_cbranch_execz .LBB2_3597
; %bb.3584:                             ;   in Loop: Header=BB2_3261 Depth=2
	v_and_b32_e32 v28, 0x7fffffff, v5
	v_cmp_gt_u64_e32 vcc, s[56:57], v[28:29]
	v_and_b32_sdwa v4, v5, s50 dst_sel:DWORD dst_unused:UNUSED_PAD src0_sel:BYTE_3 src1_sel:DWORD
                                        ; implicit-def: $vgpr3
	s_and_saveexec_b64 s[18:19], vcc
	s_xor_b64 s[88:89], exec, s[18:19]
	s_cbranch_execz .LBB2_3594
; %bb.3585:                             ;   in Loop: Header=BB2_3261 Depth=2
	v_mov_b32_e32 v3, 0
	v_cmp_ne_u32_e32 vcc, 0, v5
	s_and_saveexec_b64 s[90:91], vcc
	s_cbranch_execz .LBB2_3593
; %bb.3586:                             ;   in Loop: Header=BB2_3261 Depth=2
	v_bfe_u32 v3, v5, 23, 8
	v_and_b32_e32 v6, 0x7fffff, v5
	v_cmp_gt_u32_e64 s[18:19], s51, v3
	v_sub_u32_e32 v5, 0x79, v3
	v_cmp_eq_u32_e32 vcc, 0, v3
	v_cndmask_b32_e64 v5, 0, v5, s[18:19]
	v_or_b32_e32 v7, 0x800000, v6
	v_cndmask_b32_e32 v5, v5, v58, vcc
	v_cndmask_b32_e32 v28, v7, v6, vcc
	v_add_u32_e32 v6, 20, v5
	v_lshlrev_b64 v[6:7], v6, -1
	v_add_u32_e32 v8, 19, v5
	v_lshlrev_b64 v[8:9], v8, 1
	v_lshrrev_b64 v[10:11], v5, v[28:29]
	v_bfi_b32 v7, v7, 0, 0
	v_bfi_b32 v6, v6, 0, v28
	v_cmp_eq_u64_e64 s[18:19], v[6:7], v[8:9]
	v_mov_b32_e32 v55, v11
	v_mov_b32_e32 v54, v10
	s_and_saveexec_b64 s[92:93], s[18:19]
; %bb.3587:                             ;   in Loop: Header=BB2_3261 Depth=2
	v_bfe_u32 v6, v10, 20, 1
	v_add_co_u32_e64 v6, s[18:19], v10, v6
	v_add_co_u32_e64 v54, s[18:19], -1, v6
; %bb.3588:                             ;   in Loop: Header=BB2_3261 Depth=2
	s_or_b64 exec, exec, s[92:93]
	v_add_u32_e32 v3, 0xffffff81, v3
	v_cndmask_b32_e32 v3, v3, v59, vcc
	v_lshrrev_b32_e32 v6, 23, v10
	v_add3_u32 v6, v5, v3, v6
	v_add_u32_e32 v5, 6, v6
	v_and_b32_e32 v3, 0xfffff, v54
	v_add_u32_e32 v28, v3, v10
	v_cmp_ne_u32_e32 vcc, 0, v5
                                        ; implicit-def: $vgpr10_vgpr11
                                        ; implicit-def: $vgpr3
	s_and_saveexec_b64 s[18:19], vcc
	s_xor_b64 s[18:19], exec, s[18:19]
; %bb.3589:                             ;   in Loop: Header=BB2_3261 Depth=2
	v_cmp_lt_u64_e32 vcc, s[58:59], v[28:29]
	v_add_u32_e32 v3, 7, v6
	v_cndmask_b32_e32 v3, v5, v3, vcc
	v_cndmask_b32_e64 v5, 0, 1, vcc
	v_lshrrev_b64 v[10:11], v5, v[28:29]
; %bb.3590:                             ;   in Loop: Header=BB2_3261 Depth=2
	s_andn2_saveexec_b64 s[18:19], s[18:19]
; %bb.3591:                             ;   in Loop: Header=BB2_3261 Depth=2
	v_mov_b32_e32 v10, v28
	v_bfe_u32 v3, v28, 23, 1
	v_mov_b32_e32 v11, v29
; %bb.3592:                             ;   in Loop: Header=BB2_3261 Depth=2
	s_or_b64 exec, exec, s[18:19]
	v_lshrrev_b64 v[5:6], 20, v[10:11]
	v_cmp_gt_i32_e32 vcc, 16, v3
	v_cndmask_b32_e32 v6, 0, v6, vcc
	v_cndmask_b32_e32 v5, 7, v5, vcc
	v_cmp_eq_u32_e32 vcc, 0, v3
	v_min_i32_e32 v3, 15, v3
	v_cmp_eq_u64_e64 s[18:19], 0, v[5:6]
	v_lshlrev_b32_e32 v3, 3, v3
	v_and_b32_e32 v3, 0xf8, v3
	v_and_or_b32 v3, v5, 7, v3
	s_and_b64 s[18:19], vcc, s[18:19]
	v_cndmask_b32_e64 v3, v3, 0, s[18:19]
	v_or_b32_e32 v3, v3, v4
.LBB2_3593:                             ;   in Loop: Header=BB2_3261 Depth=2
	s_or_b64 exec, exec, s[90:91]
                                        ; implicit-def: $vgpr4
.LBB2_3594:                             ;   in Loop: Header=BB2_3261 Depth=2
	s_andn2_saveexec_b64 s[18:19], s[88:89]
; %bb.3595:                             ;   in Loop: Header=BB2_3261 Depth=2
	v_or_b32_e32 v3, 0x7e, v4
; %bb.3596:                             ;   in Loop: Header=BB2_3261 Depth=2
	s_or_b64 exec, exec, s[18:19]
                                        ; implicit-def: $vgpr5
.LBB2_3597:                             ;   in Loop: Header=BB2_3261 Depth=2
	s_andn2_saveexec_b64 s[18:19], s[78:79]
; %bb.3598:                             ;   in Loop: Header=BB2_3261 Depth=2
	v_or_b32_sdwa v3, v5, s39 dst_sel:DWORD dst_unused:UNUSED_PAD src0_sel:BYTE_3 src1_sel:DWORD
; %bb.3599:                             ;   in Loop: Header=BB2_3261 Depth=2
	s_or_b64 exec, exec, s[18:19]
	v_cmp_lt_u64_e32 vcc, s[60:61], v[12:13]
	v_mov_b32_e32 v4, 0
	s_and_saveexec_b64 s[18:19], vcc
	s_cbranch_execz .LBB2_3605
; %bb.3600:                             ;   in Loop: Header=BB2_3261 Depth=2
	v_lshrrev_b32_e32 v10, 24, v13
	v_cmp_ne_u32_e32 vcc, s50, v10
	v_bfrev_b32_e32 v4, 1
	s_and_saveexec_b64 s[78:79], vcc
	s_cbranch_execz .LBB2_3604
; %bb.3601:                             ;   in Loop: Header=BB2_3261 Depth=2
	v_bfe_u32 v5, v13, 24, 7
	v_cmp_ne_u32_e32 vcc, s39, v5
	v_mov_b32_e32 v4, 0x7f800001
	s_and_saveexec_b64 s[88:89], vcc
	s_cbranch_execz .LBB2_3603
; %bb.3602:                             ;   in Loop: Header=BB2_3261 Depth=2
	v_and_b32_e32 v6, 7, v10
	v_ffbh_u32_e32 v4, v6
	v_min_u32_e32 v8, 32, v4
	v_subrev_u32_e32 v4, 28, v8
	v_lshrrev_b32_e32 v7, 3, v5
	v_cmp_gt_u32_e32 vcc, 8, v5
	v_lshlrev_b64 v[4:5], v4, v[10:11]
	v_sub_u32_e32 v5, 29, v8
	v_and_b32_e32 v4, 7, v4
	v_cndmask_b32_e32 v5, v7, v5, vcc
	v_cndmask_b32_e32 v4, v6, v4, vcc
	v_lshlrev_b32_e32 v6, 24, v10
	v_lshlrev_b32_e32 v4, 20, v4
	v_and_b32_e32 v6, 0x80000000, v6
	v_lshl_add_u32 v5, v5, 23, v57
	v_or3_b32 v4, v6, v5, v4
.LBB2_3603:                             ;   in Loop: Header=BB2_3261 Depth=2
	s_or_b64 exec, exec, s[88:89]
.LBB2_3604:                             ;   in Loop: Header=BB2_3261 Depth=2
	s_or_b64 exec, exec, s[78:79]
.LBB2_3605:                             ;   in Loop: Header=BB2_3261 Depth=2
	s_or_b64 exec, exec, s[18:19]
	v_mul_f32_e32 v5, v14, v4
	v_and_b32_e32 v28, 0x7f800000, v5
	v_cmp_ne_u64_e32 vcc, s[46:47], v[28:29]
                                        ; implicit-def: $vgpr20
	s_and_saveexec_b64 s[18:19], vcc
	s_xor_b64 s[78:79], exec, s[18:19]
	s_cbranch_execz .LBB2_3619
; %bb.3606:                             ;   in Loop: Header=BB2_3261 Depth=2
	v_and_b32_e32 v28, 0x7fffffff, v5
	v_cmp_gt_u64_e32 vcc, s[56:57], v[28:29]
	v_and_b32_sdwa v4, v5, s50 dst_sel:DWORD dst_unused:UNUSED_PAD src0_sel:BYTE_3 src1_sel:DWORD
                                        ; implicit-def: $vgpr20
	s_and_saveexec_b64 s[18:19], vcc
	s_xor_b64 s[88:89], exec, s[18:19]
	s_cbranch_execz .LBB2_3616
; %bb.3607:                             ;   in Loop: Header=BB2_3261 Depth=2
	v_mov_b32_e32 v20, 0
	v_cmp_ne_u32_e32 vcc, 0, v5
	s_and_saveexec_b64 s[90:91], vcc
	s_cbranch_execz .LBB2_3615
; %bb.3608:                             ;   in Loop: Header=BB2_3261 Depth=2
	v_and_b32_e32 v7, 0x7fffff, v5
	v_bfe_u32 v5, v5, 23, 8
	v_cmp_gt_u32_e64 s[18:19], s51, v5
	v_sub_u32_e32 v6, 0x79, v5
	v_cmp_eq_u32_e32 vcc, 0, v5
	v_cndmask_b32_e64 v6, 0, v6, s[18:19]
	v_or_b32_e32 v8, 0x800000, v7
	v_cndmask_b32_e32 v6, v6, v58, vcc
	v_cndmask_b32_e32 v28, v8, v7, vcc
	v_add_u32_e32 v7, 20, v6
	v_lshlrev_b64 v[7:8], v7, -1
	v_add_u32_e32 v9, 19, v6
	v_lshlrev_b64 v[9:10], v9, 1
	v_bfi_b32 v8, v8, 0, 0
	v_bfi_b32 v7, v7, 0, v28
	v_cmp_eq_u64_e64 s[18:19], v[7:8], v[9:10]
	v_lshrrev_b64 v[10:11], v6, v[28:29]
	v_mov_b32_e32 v12, v11
	v_mov_b32_e32 v11, v10
	s_and_saveexec_b64 s[92:93], s[18:19]
; %bb.3609:                             ;   in Loop: Header=BB2_3261 Depth=2
	v_bfe_u32 v7, v10, 20, 1
	v_add_co_u32_e64 v7, s[18:19], v10, v7
	v_add_co_u32_e64 v11, s[18:19], -1, v7
; %bb.3610:                             ;   in Loop: Header=BB2_3261 Depth=2
	s_or_b64 exec, exec, s[92:93]
	v_add_u32_e32 v5, 0xffffff81, v5
	v_cndmask_b32_e32 v5, v5, v59, vcc
	v_lshrrev_b32_e32 v7, 23, v10
	v_add3_u32 v7, v6, v5, v7
	v_add_u32_e32 v6, 6, v7
	v_and_b32_e32 v5, 0xfffff, v11
	v_add_u32_e32 v28, v5, v10
	v_cmp_ne_u32_e32 vcc, 0, v6
                                        ; implicit-def: $vgpr10_vgpr11
                                        ; implicit-def: $vgpr5
	s_and_saveexec_b64 s[18:19], vcc
	s_xor_b64 s[18:19], exec, s[18:19]
; %bb.3611:                             ;   in Loop: Header=BB2_3261 Depth=2
	v_cmp_lt_u64_e32 vcc, s[58:59], v[28:29]
	v_add_u32_e32 v5, 7, v7
	v_cndmask_b32_e32 v5, v6, v5, vcc
	v_cndmask_b32_e64 v6, 0, 1, vcc
	v_lshrrev_b64 v[10:11], v6, v[28:29]
; %bb.3612:                             ;   in Loop: Header=BB2_3261 Depth=2
	s_andn2_saveexec_b64 s[18:19], s[18:19]
; %bb.3613:                             ;   in Loop: Header=BB2_3261 Depth=2
	v_mov_b32_e32 v10, v28
	v_bfe_u32 v5, v28, 23, 1
	v_mov_b32_e32 v11, v29
; %bb.3614:                             ;   in Loop: Header=BB2_3261 Depth=2
	s_or_b64 exec, exec, s[18:19]
	v_lshrrev_b64 v[6:7], 20, v[10:11]
	v_cmp_gt_i32_e32 vcc, 16, v5
	v_cndmask_b32_e32 v7, 0, v7, vcc
	v_cndmask_b32_e32 v6, 7, v6, vcc
	v_cmp_eq_u32_e32 vcc, 0, v5
	v_min_i32_e32 v5, 15, v5
	v_cmp_eq_u64_e64 s[18:19], 0, v[6:7]
	v_lshlrev_b32_e32 v5, 3, v5
	v_and_b32_e32 v5, 0xf8, v5
	v_and_or_b32 v5, v6, 7, v5
	s_and_b64 s[18:19], vcc, s[18:19]
	v_cndmask_b32_e64 v5, v5, 0, s[18:19]
	v_or_b32_e32 v20, v5, v4
.LBB2_3615:                             ;   in Loop: Header=BB2_3261 Depth=2
	s_or_b64 exec, exec, s[90:91]
                                        ; implicit-def: $vgpr4
.LBB2_3616:                             ;   in Loop: Header=BB2_3261 Depth=2
	s_andn2_saveexec_b64 s[18:19], s[88:89]
; %bb.3617:                             ;   in Loop: Header=BB2_3261 Depth=2
	v_or_b32_e32 v20, 0x7e, v4
; %bb.3618:                             ;   in Loop: Header=BB2_3261 Depth=2
	s_or_b64 exec, exec, s[18:19]
                                        ; implicit-def: $vgpr5
.LBB2_3619:                             ;   in Loop: Header=BB2_3261 Depth=2
	s_andn2_saveexec_b64 s[18:19], s[78:79]
; %bb.3620:                             ;   in Loop: Header=BB2_3261 Depth=2
	v_or_b32_sdwa v20, v5, s39 dst_sel:DWORD dst_unused:UNUSED_PAD src0_sel:BYTE_3 src1_sel:DWORD
; %bb.3621:                             ;   in Loop: Header=BB2_3261 Depth=2
	s_or_b64 exec, exec, s[18:19]
	global_load_dwordx4 v[10:13], v[50:51], off glc slc
	v_lshl_or_b32 v4, v36, 8, v0
	v_lshlrev_b32_e32 v5, 16, v46
	v_lshlrev_b32_e32 v6, 24, v47
	v_or3_b32 v28, v5, v6, v4
	v_cmp_ne_u32_e32 vcc, 0, v0
	v_mov_b32_e32 v5, 0
	s_and_saveexec_b64 s[18:19], vcc
	s_cbranch_execz .LBB2_3627
; %bb.3622:                             ;   in Loop: Header=BB2_3261 Depth=2
	v_cmp_ne_u32_e32 vcc, s50, v0
	v_bfrev_b32_e32 v5, 1
	s_and_saveexec_b64 s[78:79], vcc
	s_cbranch_execz .LBB2_3626
; %bb.3623:                             ;   in Loop: Header=BB2_3261 Depth=2
	v_and_b32_e32 v6, 0x7f, v0
	v_cmp_ne_u32_e32 vcc, s39, v6
	v_mov_b32_e32 v5, 0x7f800001
	s_and_saveexec_b64 s[88:89], vcc
	s_cbranch_execz .LBB2_3625
; %bb.3624:                             ;   in Loop: Header=BB2_3261 Depth=2
	v_and_b32_e32 v0, 7, v0
	v_ffbh_u32_e32 v0, v0
	v_min_u32_e32 v0, 32, v0
	v_lshrrev_b32_e32 v5, 3, v6
	v_cmp_gt_u32_e32 vcc, 8, v6
	v_subrev_u32_e32 v6, 28, v0
	v_sub_u32_e32 v0, 29, v0
	v_cndmask_b32_e32 v0, v5, v0, vcc
	v_cndmask_b32_e32 v5, 0, v6, vcc
	v_lshlrev_b64 v[5:6], v5, v[28:29]
	v_lshlrev_b32_e32 v6, 24, v28
	v_lshlrev_b32_e32 v5, 20, v5
	v_and_b32_e32 v5, 0x700000, v5
	v_and_b32_e32 v6, 0x80000000, v6
	v_lshl_add_u32 v0, v0, 23, v57
	v_or3_b32 v5, v6, v0, v5
.LBB2_3625:                             ;   in Loop: Header=BB2_3261 Depth=2
	s_or_b64 exec, exec, s[88:89]
.LBB2_3626:                             ;   in Loop: Header=BB2_3261 Depth=2
	s_or_b64 exec, exec, s[78:79]
.LBB2_3627:                             ;   in Loop: Header=BB2_3261 Depth=2
	s_or_b64 exec, exec, s[18:19]
	s_waitcnt vmcnt(0)
	v_cmp_gt_i16_sdwa s[78:79], v10, s39 src0_sel:BYTE_0 src1_sel:DWORD
	s_mov_b64 s[18:19], 0
	s_and_saveexec_b64 s[88:89], s[78:79]
	s_xor_b64 s[78:79], exec, s[88:89]
	s_cbranch_execnz .LBB2_4029
; %bb.3628:                             ;   in Loop: Header=BB2_3261 Depth=2
	s_or_saveexec_b64 s[78:79], s[78:79]
	v_bfrev_b32_e32 v0, 1
	s_xor_b64 exec, exec, s[78:79]
	s_cbranch_execnz .LBB2_4032
.LBB2_3629:                             ;   in Loop: Header=BB2_3261 Depth=2
	s_or_b64 exec, exec, s[78:79]
	s_and_saveexec_b64 s[78:79], s[18:19]
	s_cbranch_execz .LBB2_3631
.LBB2_3630:                             ;   in Loop: Header=BB2_3261 Depth=2
	v_and_b32_e32 v0, 7, v10
	v_ffbh_u32_e32 v0, v0
	v_and_b32_e32 v8, 0x7f, v10
	v_min_u32_e32 v0, 32, v0
	v_bfe_u32 v6, v10, 3, 4
	v_subrev_u32_e32 v7, 28, v0
	v_sub_u32_e32 v0, 29, v0
	v_cmp_gt_u32_e32 vcc, 8, v8
	v_cndmask_b32_e32 v0, v6, v0, vcc
	v_cndmask_b32_e32 v6, 0, v7, vcc
	v_lshlrev_b64 v[6:7], v6, v[10:11]
	v_lshlrev_b32_e32 v7, 24, v10
	v_lshlrev_b32_e32 v6, 20, v6
	v_and_b32_e32 v6, 0x700000, v6
	v_and_b32_e32 v7, 0x80000000, v7
	v_lshl_add_u32 v0, v0, 23, v57
	v_or3_b32 v0, v7, v0, v6
	v_cmp_ne_u32_e32 vcc, s39, v8
	v_cndmask_b32_e32 v0, v56, v0, vcc
.LBB2_3631:                             ;   in Loop: Header=BB2_3261 Depth=2
	s_or_b64 exec, exec, s[78:79]
	v_add_f32_e32 v14, v5, v0
	v_and_b32_e32 v5, 0x7f800000, v14
	v_mov_b32_e32 v6, v29
	v_cmp_ne_u64_e32 vcc, s[46:47], v[5:6]
                                        ; implicit-def: $vgpr0
	s_and_saveexec_b64 s[18:19], vcc
	s_xor_b64 s[78:79], exec, s[18:19]
	s_cbranch_execz .LBB2_3645
; %bb.3632:                             ;   in Loop: Header=BB2_3261 Depth=2
	v_and_b32_e32 v5, 0x7fffffff, v14
	v_mov_b32_e32 v6, v29
	v_cmp_gt_u64_e32 vcc, s[56:57], v[5:6]
	v_and_b32_sdwa v5, v14, s50 dst_sel:DWORD dst_unused:UNUSED_PAD src0_sel:BYTE_3 src1_sel:DWORD
                                        ; implicit-def: $vgpr0
	s_and_saveexec_b64 s[18:19], vcc
	s_xor_b64 s[88:89], exec, s[18:19]
	s_cbranch_execz .LBB2_3642
; %bb.3633:                             ;   in Loop: Header=BB2_3261 Depth=2
	v_mov_b32_e32 v0, 0
	v_cmp_ne_u32_e32 vcc, 0, v14
	s_and_saveexec_b64 s[90:91], vcc
	s_cbranch_execz .LBB2_3641
; %bb.3634:                             ;   in Loop: Header=BB2_3261 Depth=2
	v_bfe_u32 v0, v14, 23, 8
	v_cmp_gt_u32_e64 s[18:19], s51, v0
	v_sub_u32_e32 v6, 0x79, v0
	v_cmp_eq_u32_e32 vcc, 0, v0
	v_cndmask_b32_e64 v6, 0, v6, s[18:19]
	v_cndmask_b32_e32 v6, v6, v58, vcc
	v_and_b32_e32 v7, 0x7fffff, v14
	v_add_u32_e32 v9, 20, v6
	v_or_b32_e32 v8, 0x800000, v7
	v_lshlrev_b64 v[22:23], v9, -1
	v_add_u32_e32 v9, 19, v6
	v_cndmask_b32_e32 v7, v8, v7, vcc
	v_mov_b32_e32 v8, v29
	v_lshlrev_b64 v[26:27], v9, 1
	v_bfi_b32 v23, v23, 0, 0
	v_bfi_b32 v22, v22, 0, v7
	v_lshrrev_b64 v[54:55], v6, v[7:8]
	v_cmp_eq_u64_e64 s[18:19], v[22:23], v[26:27]
	v_mov_b32_e32 v39, v54
	v_mov_b32_e32 v40, v55
	s_and_saveexec_b64 s[92:93], s[18:19]
; %bb.3635:                             ;   in Loop: Header=BB2_3261 Depth=2
	v_bfe_u32 v7, v54, 20, 1
	v_add_co_u32_e64 v7, s[18:19], v54, v7
	v_add_co_u32_e64 v39, s[18:19], -1, v7
; %bb.3636:                             ;   in Loop: Header=BB2_3261 Depth=2
	s_or_b64 exec, exec, s[92:93]
	v_add_u32_e32 v0, 0xffffff81, v0
	v_cndmask_b32_e32 v0, v0, v59, vcc
	v_lshrrev_b32_e32 v7, 23, v54
	v_add3_u32 v7, v6, v0, v7
	v_add_u32_e32 v6, 6, v7
	v_and_b32_e32 v0, 0xfffff, v39
	v_add_u32_e32 v54, v0, v54
	v_mov_b32_e32 v55, v29
	v_cmp_ne_u32_e32 vcc, 0, v6
                                        ; implicit-def: $vgpr0
	s_and_saveexec_b64 s[18:19], vcc
	s_xor_b64 s[18:19], exec, s[18:19]
; %bb.3637:                             ;   in Loop: Header=BB2_3261 Depth=2
	v_cmp_lt_u64_e32 vcc, s[58:59], v[54:55]
	v_add_u32_e32 v0, 7, v7
	v_cndmask_b32_e32 v0, v6, v0, vcc
	v_cndmask_b32_e64 v6, 0, 1, vcc
	v_lshrrev_b64 v[54:55], v6, v[54:55]
; %bb.3638:                             ;   in Loop: Header=BB2_3261 Depth=2
	s_andn2_saveexec_b64 s[18:19], s[18:19]
; %bb.3639:                             ;   in Loop: Header=BB2_3261 Depth=2
	v_bfe_u32 v0, v54, 23, 1
; %bb.3640:                             ;   in Loop: Header=BB2_3261 Depth=2
	s_or_b64 exec, exec, s[18:19]
	v_lshrrev_b64 v[6:7], 20, v[54:55]
	v_cmp_gt_i32_e32 vcc, 16, v0
	v_cndmask_b32_e32 v7, 0, v7, vcc
	v_cndmask_b32_e32 v6, 7, v6, vcc
	v_cmp_eq_u32_e32 vcc, 0, v0
	v_min_i32_e32 v0, 15, v0
	v_cmp_eq_u64_e64 s[18:19], 0, v[6:7]
	v_lshlrev_b32_e32 v0, 3, v0
	v_and_b32_e32 v0, 0xf8, v0
	v_and_or_b32 v0, v6, 7, v0
	s_and_b64 s[18:19], vcc, s[18:19]
	v_cndmask_b32_e64 v0, v0, 0, s[18:19]
	v_or_b32_e32 v0, v0, v5
.LBB2_3641:                             ;   in Loop: Header=BB2_3261 Depth=2
	s_or_b64 exec, exec, s[90:91]
                                        ; implicit-def: $vgpr5
.LBB2_3642:                             ;   in Loop: Header=BB2_3261 Depth=2
	s_andn2_saveexec_b64 s[18:19], s[88:89]
; %bb.3643:                             ;   in Loop: Header=BB2_3261 Depth=2
	v_or_b32_e32 v0, 0x7e, v5
; %bb.3644:                             ;   in Loop: Header=BB2_3261 Depth=2
	s_or_b64 exec, exec, s[18:19]
                                        ; implicit-def: $vgpr14
.LBB2_3645:                             ;   in Loop: Header=BB2_3261 Depth=2
	s_andn2_saveexec_b64 s[18:19], s[78:79]
; %bb.3646:                             ;   in Loop: Header=BB2_3261 Depth=2
	v_or_b32_sdwa v0, v14, s39 dst_sel:DWORD dst_unused:UNUSED_PAD src0_sel:BYTE_3 src1_sel:DWORD
; %bb.3647:                             ;   in Loop: Header=BB2_3261 Depth=2
	s_or_b64 exec, exec, s[18:19]
	v_lshrrev_b16_e32 v30, 8, v4
	v_cmp_ne_u16_e32 vcc, 0, v30
	v_mov_b32_e32 v5, 0
	s_and_saveexec_b64 s[18:19], vcc
	s_cbranch_execz .LBB2_3653
; %bb.3648:                             ;   in Loop: Header=BB2_3261 Depth=2
	v_cmp_ne_u16_e32 vcc, s50, v30
	v_bfrev_b32_e32 v5, 1
	s_and_saveexec_b64 s[78:79], vcc
	s_cbranch_execz .LBB2_3652
; %bb.3649:                             ;   in Loop: Header=BB2_3261 Depth=2
	v_and_b32_e32 v6, 0x7f, v30
	v_cmp_ne_u32_e32 vcc, s39, v6
	v_mov_b32_e32 v5, 0x7f800001
	s_and_saveexec_b64 s[88:89], vcc
	s_cbranch_execz .LBB2_3651
; %bb.3650:                             ;   in Loop: Header=BB2_3261 Depth=2
	v_and_b32_e32 v7, 7, v30
	v_ffbh_u32_e32 v5, v7
	v_min_u32_e32 v9, 32, v5
	v_subrev_u32_e32 v5, 28, v9
	v_lshrrev_b32_e32 v8, 3, v6
	v_cmp_gt_u32_e32 vcc, 8, v6
	v_lshlrev_b64 v[5:6], v5, v[30:31]
	v_sub_u32_e32 v6, 29, v9
	v_and_b32_e32 v5, 7, v5
	v_cndmask_b32_e32 v6, v8, v6, vcc
	v_cndmask_b32_e32 v5, v7, v5, vcc
	v_lshlrev_b32_e32 v4, 16, v4
	v_lshlrev_b32_e32 v5, 20, v5
	v_and_b32_e32 v4, 0x80000000, v4
	v_lshl_add_u32 v6, v6, 23, v57
	v_or3_b32 v5, v4, v6, v5
.LBB2_3651:                             ;   in Loop: Header=BB2_3261 Depth=2
	s_or_b64 exec, exec, s[88:89]
.LBB2_3652:                             ;   in Loop: Header=BB2_3261 Depth=2
	s_or_b64 exec, exec, s[78:79]
.LBB2_3653:                             ;   in Loop: Header=BB2_3261 Depth=2
	s_or_b64 exec, exec, s[18:19]
	v_lshrrev_b16_e32 v54, 8, v10
	v_cmp_lt_i16_e32 vcc, s39, v54
	s_mov_b64 s[18:19], 0
	s_and_saveexec_b64 s[78:79], vcc
	s_xor_b64 s[78:79], exec, s[78:79]
	s_cbranch_execnz .LBB2_4033
; %bb.3654:                             ;   in Loop: Header=BB2_3261 Depth=2
	s_or_saveexec_b64 s[78:79], s[78:79]
	v_bfrev_b32_e32 v4, 1
	s_xor_b64 exec, exec, s[78:79]
	s_cbranch_execnz .LBB2_4036
.LBB2_3655:                             ;   in Loop: Header=BB2_3261 Depth=2
	s_or_b64 exec, exec, s[78:79]
	s_and_saveexec_b64 s[78:79], s[18:19]
	s_cbranch_execz .LBB2_3657
.LBB2_3656:                             ;   in Loop: Header=BB2_3261 Depth=2
	v_and_b32_e32 v4, 7, v54
	v_ffbh_u32_e32 v6, v4
	v_min_u32_e32 v14, 32, v6
	v_mov_b32_e32 v55, v29
	v_subrev_u32_e32 v6, 28, v14
	v_lshlrev_b64 v[6:7], v6, v[54:55]
	v_and_b32_e32 v8, 0x7f, v54
	v_bfe_u32 v9, v54, 3, 4
	v_sub_u32_e32 v7, 29, v14
	v_and_b32_e32 v6, 7, v6
	v_cmp_gt_u32_e32 vcc, 8, v8
	v_cndmask_b32_e32 v7, v9, v7, vcc
	v_cndmask_b32_e32 v4, v4, v6, vcc
	v_lshlrev_b32_e32 v6, 24, v54
	v_lshlrev_b32_e32 v4, 20, v4
	v_and_b32_e32 v6, 0x80000000, v6
	v_lshl_add_u32 v7, v7, 23, v57
	v_or3_b32 v4, v6, v7, v4
	v_cmp_ne_u32_e32 vcc, s39, v8
	v_cndmask_b32_e32 v4, v56, v4, vcc
.LBB2_3657:                             ;   in Loop: Header=BB2_3261 Depth=2
	s_or_b64 exec, exec, s[78:79]
	v_add_f32_e32 v5, v5, v4
	v_and_b32_e32 v6, 0x7f800000, v5
	v_mov_b32_e32 v7, v29
	v_cmp_ne_u64_e32 vcc, s[46:47], v[6:7]
                                        ; implicit-def: $vgpr14
	s_and_saveexec_b64 s[18:19], vcc
	s_xor_b64 s[78:79], exec, s[18:19]
	s_cbranch_execz .LBB2_3671
; %bb.3658:                             ;   in Loop: Header=BB2_3261 Depth=2
	v_and_b32_e32 v6, 0x7fffffff, v5
	v_mov_b32_e32 v7, v29
	v_cmp_gt_u64_e32 vcc, s[56:57], v[6:7]
	v_and_b32_sdwa v4, v5, s50 dst_sel:DWORD dst_unused:UNUSED_PAD src0_sel:BYTE_3 src1_sel:DWORD
                                        ; implicit-def: $vgpr14
	s_and_saveexec_b64 s[18:19], vcc
	s_xor_b64 s[88:89], exec, s[18:19]
	s_cbranch_execz .LBB2_3668
; %bb.3659:                             ;   in Loop: Header=BB2_3261 Depth=2
	v_mov_b32_e32 v14, 0
	v_cmp_ne_u32_e32 vcc, 0, v5
	s_and_saveexec_b64 s[90:91], vcc
	s_cbranch_execz .LBB2_3667
; %bb.3660:                             ;   in Loop: Header=BB2_3261 Depth=2
	v_and_b32_e32 v7, 0x7fffff, v5
	v_bfe_u32 v5, v5, 23, 8
	v_cmp_gt_u32_e64 s[18:19], s51, v5
	v_sub_u32_e32 v6, 0x79, v5
	v_cmp_eq_u32_e32 vcc, 0, v5
	v_cndmask_b32_e64 v6, 0, v6, s[18:19]
	v_cndmask_b32_e32 v6, v6, v58, vcc
	v_add_u32_e32 v9, 20, v6
	v_or_b32_e32 v8, 0x800000, v7
	v_lshlrev_b64 v[22:23], v9, -1
	v_add_u32_e32 v9, 19, v6
	v_cndmask_b32_e32 v7, v8, v7, vcc
	v_mov_b32_e32 v8, v29
	v_lshlrev_b64 v[26:27], v9, 1
	v_bfi_b32 v23, v23, 0, 0
	v_bfi_b32 v22, v22, 0, v7
	v_lshrrev_b64 v[54:55], v6, v[7:8]
	v_cmp_eq_u64_e64 s[18:19], v[22:23], v[26:27]
	v_mov_b32_e32 v39, v54
	v_mov_b32_e32 v40, v55
	s_and_saveexec_b64 s[92:93], s[18:19]
; %bb.3661:                             ;   in Loop: Header=BB2_3261 Depth=2
	v_bfe_u32 v7, v54, 20, 1
	v_add_co_u32_e64 v7, s[18:19], v54, v7
	v_add_co_u32_e64 v39, s[18:19], -1, v7
; %bb.3662:                             ;   in Loop: Header=BB2_3261 Depth=2
	s_or_b64 exec, exec, s[92:93]
	v_add_u32_e32 v5, 0xffffff81, v5
	v_cndmask_b32_e32 v5, v5, v59, vcc
	v_lshrrev_b32_e32 v7, 23, v54
	v_add3_u32 v7, v6, v5, v7
	v_add_u32_e32 v6, 6, v7
	v_and_b32_e32 v5, 0xfffff, v39
	v_add_u32_e32 v54, v5, v54
	v_mov_b32_e32 v55, v29
	v_cmp_ne_u32_e32 vcc, 0, v6
                                        ; implicit-def: $vgpr5
	s_and_saveexec_b64 s[18:19], vcc
	s_xor_b64 s[18:19], exec, s[18:19]
; %bb.3663:                             ;   in Loop: Header=BB2_3261 Depth=2
	v_cmp_lt_u64_e32 vcc, s[58:59], v[54:55]
	v_add_u32_e32 v5, 7, v7
	v_cndmask_b32_e32 v5, v6, v5, vcc
	v_cndmask_b32_e64 v6, 0, 1, vcc
	v_lshrrev_b64 v[54:55], v6, v[54:55]
; %bb.3664:                             ;   in Loop: Header=BB2_3261 Depth=2
	s_andn2_saveexec_b64 s[18:19], s[18:19]
; %bb.3665:                             ;   in Loop: Header=BB2_3261 Depth=2
	v_bfe_u32 v5, v54, 23, 1
; %bb.3666:                             ;   in Loop: Header=BB2_3261 Depth=2
	s_or_b64 exec, exec, s[18:19]
	v_lshrrev_b64 v[6:7], 20, v[54:55]
	v_cmp_gt_i32_e32 vcc, 16, v5
	v_cndmask_b32_e32 v7, 0, v7, vcc
	v_cndmask_b32_e32 v6, 7, v6, vcc
	v_cmp_eq_u32_e32 vcc, 0, v5
	v_min_i32_e32 v5, 15, v5
	v_cmp_eq_u64_e64 s[18:19], 0, v[6:7]
	v_lshlrev_b32_e32 v5, 3, v5
	v_and_b32_e32 v5, 0xf8, v5
	v_and_or_b32 v5, v6, 7, v5
	s_and_b64 s[18:19], vcc, s[18:19]
	v_cndmask_b32_e64 v5, v5, 0, s[18:19]
	v_or_b32_e32 v14, v5, v4
.LBB2_3667:                             ;   in Loop: Header=BB2_3261 Depth=2
	s_or_b64 exec, exec, s[90:91]
                                        ; implicit-def: $vgpr4
.LBB2_3668:                             ;   in Loop: Header=BB2_3261 Depth=2
	s_andn2_saveexec_b64 s[18:19], s[88:89]
; %bb.3669:                             ;   in Loop: Header=BB2_3261 Depth=2
	v_or_b32_e32 v14, 0x7e, v4
; %bb.3670:                             ;   in Loop: Header=BB2_3261 Depth=2
	s_or_b64 exec, exec, s[18:19]
                                        ; implicit-def: $vgpr5
.LBB2_3671:                             ;   in Loop: Header=BB2_3261 Depth=2
	s_andn2_saveexec_b64 s[18:19], s[78:79]
; %bb.3672:                             ;   in Loop: Header=BB2_3261 Depth=2
	v_or_b32_sdwa v14, v5, s39 dst_sel:DWORD dst_unused:UNUSED_PAD src0_sel:BYTE_3 src1_sel:DWORD
; %bb.3673:                             ;   in Loop: Header=BB2_3261 Depth=2
	s_or_b64 exec, exec, s[18:19]
	v_and_b32_sdwa v5, v28, s49 dst_sel:DWORD dst_unused:UNUSED_PAD src0_sel:WORD_1 src1_sel:DWORD
	v_lshrrev_b32_e32 v30, 16, v28
	v_cmp_ne_u16_e32 vcc, 0, v5
	v_mov_b32_e32 v4, 0
	s_and_saveexec_b64 s[18:19], vcc
	s_cbranch_execz .LBB2_3679
; %bb.3674:                             ;   in Loop: Header=BB2_3261 Depth=2
	v_cmp_ne_u16_e32 vcc, s50, v5
	v_bfrev_b32_e32 v4, 1
	s_and_saveexec_b64 s[78:79], vcc
	s_cbranch_execz .LBB2_3678
; %bb.3675:                             ;   in Loop: Header=BB2_3261 Depth=2
	v_bfe_u32 v5, v28, 16, 7
	v_cmp_ne_u32_e32 vcc, s39, v5
	v_mov_b32_e32 v4, 0x7f800001
	s_and_saveexec_b64 s[88:89], vcc
	s_cbranch_execz .LBB2_3677
; %bb.3676:                             ;   in Loop: Header=BB2_3261 Depth=2
	v_and_b32_e32 v6, 7, v30
	v_ffbh_u32_e32 v4, v6
	v_min_u32_e32 v8, 32, v4
	v_subrev_u32_e32 v4, 28, v8
	v_lshrrev_b32_e32 v7, 3, v5
	v_cmp_gt_u32_e32 vcc, 8, v5
	v_lshlrev_b64 v[4:5], v4, v[30:31]
	v_sub_u32_e32 v5, 29, v8
	v_and_b32_e32 v4, 7, v4
	v_cndmask_b32_e32 v4, v6, v4, vcc
	v_mov_b32_e32 v6, 24
	v_cndmask_b32_e32 v5, v7, v5, vcc
	v_lshlrev_b32_sdwa v6, v6, v28 dst_sel:DWORD dst_unused:UNUSED_PAD src0_sel:DWORD src1_sel:WORD_1
	v_lshlrev_b32_e32 v4, 20, v4
	v_and_b32_e32 v6, 0x80000000, v6
	v_lshl_add_u32 v5, v5, 23, v57
	v_or3_b32 v4, v6, v5, v4
.LBB2_3677:                             ;   in Loop: Header=BB2_3261 Depth=2
	s_or_b64 exec, exec, s[88:89]
.LBB2_3678:                             ;   in Loop: Header=BB2_3261 Depth=2
	s_or_b64 exec, exec, s[78:79]
.LBB2_3679:                             ;   in Loop: Header=BB2_3261 Depth=2
	s_or_b64 exec, exec, s[18:19]
	v_lshrrev_b32_e32 v30, 16, v10
	v_cmp_gt_i16_sdwa s[78:79], v30, s39 src0_sel:BYTE_0 src1_sel:DWORD
	s_mov_b64 s[18:19], 0
	s_and_saveexec_b64 s[88:89], s[78:79]
	s_xor_b64 s[78:79], exec, s[88:89]
	s_cbranch_execnz .LBB2_4037
; %bb.3680:                             ;   in Loop: Header=BB2_3261 Depth=2
	s_or_saveexec_b64 s[78:79], s[78:79]
	v_bfrev_b32_e32 v5, 1
	s_xor_b64 exec, exec, s[78:79]
	s_cbranch_execnz .LBB2_4040
.LBB2_3681:                             ;   in Loop: Header=BB2_3261 Depth=2
	s_or_b64 exec, exec, s[78:79]
	s_and_saveexec_b64 s[78:79], s[18:19]
	s_cbranch_execz .LBB2_3683
.LBB2_3682:                             ;   in Loop: Header=BB2_3261 Depth=2
	v_and_b32_e32 v7, 7, v30
	v_ffbh_u32_e32 v5, v7
	v_min_u32_e32 v22, 32, v5
	v_subrev_u32_e32 v5, 28, v22
	v_lshlrev_b64 v[5:6], v5, v[30:31]
	v_and_b32_e32 v8, 0x7f, v30
	v_bfe_u32 v9, v30, 3, 4
	v_sub_u32_e32 v6, 29, v22
	v_and_b32_e32 v5, 7, v5
	v_cmp_gt_u32_e32 vcc, 8, v8
	v_cndmask_b32_e32 v6, v9, v6, vcc
	v_cndmask_b32_e32 v5, v7, v5, vcc
	v_lshlrev_b32_e32 v7, 24, v30
	v_lshlrev_b32_e32 v5, 20, v5
	v_and_b32_e32 v7, 0x80000000, v7
	v_lshl_add_u32 v6, v6, 23, v57
	v_or3_b32 v5, v7, v6, v5
	v_cmp_ne_u32_e32 vcc, s39, v8
	v_cndmask_b32_e32 v5, v56, v5, vcc
.LBB2_3683:                             ;   in Loop: Header=BB2_3261 Depth=2
	s_or_b64 exec, exec, s[78:79]
	v_add_f32_e32 v5, v4, v5
	v_and_b32_e32 v6, 0x7f800000, v5
	v_mov_b32_e32 v7, v29
	v_cmp_ne_u64_e32 vcc, s[46:47], v[6:7]
                                        ; implicit-def: $vgpr46
	s_and_saveexec_b64 s[18:19], vcc
	s_xor_b64 s[78:79], exec, s[18:19]
	s_cbranch_execz .LBB2_3697
; %bb.3684:                             ;   in Loop: Header=BB2_3261 Depth=2
	v_and_b32_e32 v6, 0x7fffffff, v5
	v_mov_b32_e32 v7, v29
	v_cmp_gt_u64_e32 vcc, s[56:57], v[6:7]
	v_and_b32_sdwa v4, v5, s50 dst_sel:DWORD dst_unused:UNUSED_PAD src0_sel:BYTE_3 src1_sel:DWORD
                                        ; implicit-def: $vgpr46
	s_and_saveexec_b64 s[18:19], vcc
	s_xor_b64 s[88:89], exec, s[18:19]
	s_cbranch_execz .LBB2_3694
; %bb.3685:                             ;   in Loop: Header=BB2_3261 Depth=2
	v_mov_b32_e32 v46, 0
	v_cmp_ne_u32_e32 vcc, 0, v5
	s_and_saveexec_b64 s[90:91], vcc
	s_cbranch_execz .LBB2_3693
; %bb.3686:                             ;   in Loop: Header=BB2_3261 Depth=2
	v_and_b32_e32 v7, 0x7fffff, v5
	v_bfe_u32 v5, v5, 23, 8
	v_cmp_gt_u32_e64 s[18:19], s51, v5
	v_sub_u32_e32 v6, 0x79, v5
	v_cmp_eq_u32_e32 vcc, 0, v5
	v_cndmask_b32_e64 v6, 0, v6, s[18:19]
	v_cndmask_b32_e32 v6, v6, v58, vcc
	v_add_u32_e32 v9, 20, v6
	v_or_b32_e32 v8, 0x800000, v7
	v_lshlrev_b64 v[22:23], v9, -1
	v_add_u32_e32 v9, 19, v6
	v_cndmask_b32_e32 v7, v8, v7, vcc
	v_mov_b32_e32 v8, v29
	v_lshlrev_b64 v[26:27], v9, 1
	v_bfi_b32 v23, v23, 0, 0
	v_bfi_b32 v22, v22, 0, v7
	v_lshrrev_b64 v[54:55], v6, v[7:8]
	v_cmp_eq_u64_e64 s[18:19], v[22:23], v[26:27]
	v_mov_b32_e32 v39, v54
	v_mov_b32_e32 v40, v55
	s_and_saveexec_b64 s[92:93], s[18:19]
; %bb.3687:                             ;   in Loop: Header=BB2_3261 Depth=2
	v_bfe_u32 v7, v54, 20, 1
	v_add_co_u32_e64 v7, s[18:19], v54, v7
	v_add_co_u32_e64 v39, s[18:19], -1, v7
; %bb.3688:                             ;   in Loop: Header=BB2_3261 Depth=2
	s_or_b64 exec, exec, s[92:93]
	v_add_u32_e32 v5, 0xffffff81, v5
	v_cndmask_b32_e32 v5, v5, v59, vcc
	v_lshrrev_b32_e32 v7, 23, v54
	v_add3_u32 v7, v6, v5, v7
	v_add_u32_e32 v6, 6, v7
	v_and_b32_e32 v5, 0xfffff, v39
	v_add_u32_e32 v54, v5, v54
	v_mov_b32_e32 v55, v29
	v_cmp_ne_u32_e32 vcc, 0, v6
                                        ; implicit-def: $vgpr5
	s_and_saveexec_b64 s[18:19], vcc
	s_xor_b64 s[18:19], exec, s[18:19]
; %bb.3689:                             ;   in Loop: Header=BB2_3261 Depth=2
	v_cmp_lt_u64_e32 vcc, s[58:59], v[54:55]
	v_add_u32_e32 v5, 7, v7
	v_cndmask_b32_e32 v5, v6, v5, vcc
	v_cndmask_b32_e64 v6, 0, 1, vcc
	v_lshrrev_b64 v[54:55], v6, v[54:55]
; %bb.3690:                             ;   in Loop: Header=BB2_3261 Depth=2
	s_andn2_saveexec_b64 s[18:19], s[18:19]
; %bb.3691:                             ;   in Loop: Header=BB2_3261 Depth=2
	v_bfe_u32 v5, v54, 23, 1
; %bb.3692:                             ;   in Loop: Header=BB2_3261 Depth=2
	s_or_b64 exec, exec, s[18:19]
	v_lshrrev_b64 v[6:7], 20, v[54:55]
	v_cmp_gt_i32_e32 vcc, 16, v5
	v_cndmask_b32_e32 v7, 0, v7, vcc
	v_cndmask_b32_e32 v6, 7, v6, vcc
	v_cmp_eq_u32_e32 vcc, 0, v5
	v_min_i32_e32 v5, 15, v5
	v_cmp_eq_u64_e64 s[18:19], 0, v[6:7]
	v_lshlrev_b32_e32 v5, 3, v5
	v_and_b32_e32 v5, 0xf8, v5
	v_and_or_b32 v5, v6, 7, v5
	s_and_b64 s[18:19], vcc, s[18:19]
	v_cndmask_b32_e64 v5, v5, 0, s[18:19]
	v_or_b32_e32 v46, v5, v4
.LBB2_3693:                             ;   in Loop: Header=BB2_3261 Depth=2
	s_or_b64 exec, exec, s[90:91]
                                        ; implicit-def: $vgpr4
.LBB2_3694:                             ;   in Loop: Header=BB2_3261 Depth=2
	s_andn2_saveexec_b64 s[18:19], s[88:89]
; %bb.3695:                             ;   in Loop: Header=BB2_3261 Depth=2
	v_or_b32_e32 v46, 0x7e, v4
; %bb.3696:                             ;   in Loop: Header=BB2_3261 Depth=2
	s_or_b64 exec, exec, s[18:19]
                                        ; implicit-def: $vgpr5
.LBB2_3697:                             ;   in Loop: Header=BB2_3261 Depth=2
	s_andn2_saveexec_b64 s[18:19], s[78:79]
; %bb.3698:                             ;   in Loop: Header=BB2_3261 Depth=2
	v_or_b32_sdwa v46, v5, s39 dst_sel:DWORD dst_unused:UNUSED_PAD src0_sel:BYTE_3 src1_sel:DWORD
; %bb.3699:                             ;   in Loop: Header=BB2_3261 Depth=2
	s_or_b64 exec, exec, s[18:19]
	v_cmp_lt_u32_e32 vcc, s61, v28
	v_mov_b32_e32 v4, 0
	s_and_saveexec_b64 s[18:19], vcc
	s_cbranch_execz .LBB2_3705
; %bb.3700:                             ;   in Loop: Header=BB2_3261 Depth=2
	v_lshrrev_b32_e32 v30, 24, v28
	v_cmp_ne_u32_e32 vcc, s50, v30
	v_bfrev_b32_e32 v4, 1
	s_and_saveexec_b64 s[78:79], vcc
	s_cbranch_execz .LBB2_3704
; %bb.3701:                             ;   in Loop: Header=BB2_3261 Depth=2
	v_bfe_u32 v5, v28, 24, 7
	v_cmp_ne_u32_e32 vcc, s39, v5
	v_mov_b32_e32 v4, 0x7f800001
	s_and_saveexec_b64 s[88:89], vcc
	s_cbranch_execz .LBB2_3703
; %bb.3702:                             ;   in Loop: Header=BB2_3261 Depth=2
	v_and_b32_e32 v6, 7, v30
	v_ffbh_u32_e32 v4, v6
	v_min_u32_e32 v8, 32, v4
	v_subrev_u32_e32 v4, 28, v8
	v_lshrrev_b32_e32 v7, 3, v5
	v_cmp_gt_u32_e32 vcc, 8, v5
	v_lshlrev_b64 v[4:5], v4, v[30:31]
	v_sub_u32_e32 v5, 29, v8
	v_and_b32_e32 v4, 7, v4
	v_cndmask_b32_e32 v5, v7, v5, vcc
	v_cndmask_b32_e32 v4, v6, v4, vcc
	v_lshlrev_b32_e32 v6, 24, v30
	v_lshlrev_b32_e32 v4, 20, v4
	v_and_b32_e32 v6, 0x80000000, v6
	v_lshl_add_u32 v5, v5, 23, v57
	v_or3_b32 v4, v6, v5, v4
.LBB2_3703:                             ;   in Loop: Header=BB2_3261 Depth=2
	s_or_b64 exec, exec, s[88:89]
.LBB2_3704:                             ;   in Loop: Header=BB2_3261 Depth=2
	s_or_b64 exec, exec, s[78:79]
.LBB2_3705:                             ;   in Loop: Header=BB2_3261 Depth=2
	s_or_b64 exec, exec, s[18:19]
	v_bfe_u32 v8, v10, 24, 3
	v_ffbh_u32_e32 v6, v8
	v_min_u32_e32 v23, 32, v6
	v_lshrrev_b32_e32 v5, 24, v10
	v_subrev_u32_e32 v6, 28, v23
	v_lshlrev_b64 v[6:7], v6, v[5:6]
	v_bfe_u32 v9, v10, 24, 7
	v_bfe_u32 v22, v5, 3, 4
	v_sub_u32_e32 v7, 29, v23
	v_and_b32_e32 v6, 7, v6
	v_cmp_gt_u32_e32 vcc, 8, v9
	v_cndmask_b32_e32 v7, v22, v7, vcc
	v_cndmask_b32_e32 v6, v8, v6, vcc
	v_lshlrev_b32_e32 v6, 20, v6
	v_and_b32_e32 v8, 0x80000000, v10
	v_lshl_add_u32 v7, v7, 23, v57
	v_or3_b32 v6, v8, v7, v6
	v_cmp_ne_u32_e32 vcc, s39, v9
	v_cndmask_b32_e32 v6, v56, v6, vcc
	v_cmp_ne_u32_e32 vcc, s50, v5
	v_cndmask_b32_e32 v5, v61, v6, vcc
	v_cmp_lt_u32_e32 vcc, s61, v10
	v_cndmask_b32_e32 v5, 0, v5, vcc
	v_add_f32_e32 v5, v5, v4
	v_and_b32_e32 v28, 0x7f800000, v5
	v_cmp_ne_u64_e32 vcc, s[46:47], v[28:29]
                                        ; implicit-def: $vgpr36
	s_and_saveexec_b64 s[18:19], vcc
	s_xor_b64 s[78:79], exec, s[18:19]
	s_cbranch_execz .LBB2_3719
; %bb.3706:                             ;   in Loop: Header=BB2_3261 Depth=2
	v_and_b32_e32 v28, 0x7fffffff, v5
	v_cmp_gt_u64_e32 vcc, s[56:57], v[28:29]
	v_and_b32_sdwa v4, v5, s50 dst_sel:DWORD dst_unused:UNUSED_PAD src0_sel:BYTE_3 src1_sel:DWORD
                                        ; implicit-def: $vgpr36
	s_and_saveexec_b64 s[18:19], vcc
	s_xor_b64 s[88:89], exec, s[18:19]
	s_cbranch_execz .LBB2_3716
; %bb.3707:                             ;   in Loop: Header=BB2_3261 Depth=2
	v_mov_b32_e32 v36, 0
	v_cmp_ne_u32_e32 vcc, 0, v5
	s_and_saveexec_b64 s[90:91], vcc
	s_cbranch_execz .LBB2_3715
; %bb.3708:                             ;   in Loop: Header=BB2_3261 Depth=2
	v_and_b32_e32 v7, 0x7fffff, v5
	v_bfe_u32 v5, v5, 23, 8
	v_cmp_gt_u32_e64 s[18:19], s51, v5
	v_sub_u32_e32 v6, 0x79, v5
	v_cmp_eq_u32_e32 vcc, 0, v5
	v_cndmask_b32_e64 v6, 0, v6, s[18:19]
	v_or_b32_e32 v8, 0x800000, v7
	v_cndmask_b32_e32 v6, v6, v58, vcc
	v_cndmask_b32_e32 v28, v8, v7, vcc
	v_add_u32_e32 v7, 20, v6
	v_lshlrev_b64 v[7:8], v7, -1
	v_add_u32_e32 v9, 19, v6
	v_lshlrev_b64 v[22:23], v9, 1
	v_bfi_b32 v8, v8, 0, 0
	v_bfi_b32 v7, v7, 0, v28
	v_lshrrev_b64 v[54:55], v6, v[28:29]
	v_cmp_eq_u64_e64 s[18:19], v[7:8], v[22:23]
	v_mov_b32_e32 v39, v54
	v_mov_b32_e32 v40, v55
	s_and_saveexec_b64 s[92:93], s[18:19]
; %bb.3709:                             ;   in Loop: Header=BB2_3261 Depth=2
	v_bfe_u32 v7, v54, 20, 1
	v_add_co_u32_e64 v7, s[18:19], v54, v7
	v_add_co_u32_e64 v39, s[18:19], -1, v7
; %bb.3710:                             ;   in Loop: Header=BB2_3261 Depth=2
	s_or_b64 exec, exec, s[92:93]
	v_add_u32_e32 v5, 0xffffff81, v5
	v_cndmask_b32_e32 v5, v5, v59, vcc
	v_lshrrev_b32_e32 v7, 23, v54
	v_add3_u32 v7, v6, v5, v7
	v_add_u32_e32 v6, 6, v7
	v_and_b32_e32 v5, 0xfffff, v39
	v_add_u32_e32 v28, v5, v54
	v_cmp_ne_u32_e32 vcc, 0, v6
                                        ; implicit-def: $vgpr54_vgpr55
                                        ; implicit-def: $vgpr5
	s_and_saveexec_b64 s[18:19], vcc
	s_xor_b64 s[18:19], exec, s[18:19]
; %bb.3711:                             ;   in Loop: Header=BB2_3261 Depth=2
	v_cmp_lt_u64_e32 vcc, s[58:59], v[28:29]
	v_add_u32_e32 v5, 7, v7
	v_cndmask_b32_e32 v5, v6, v5, vcc
	v_cndmask_b32_e64 v6, 0, 1, vcc
	v_lshrrev_b64 v[54:55], v6, v[28:29]
; %bb.3712:                             ;   in Loop: Header=BB2_3261 Depth=2
	s_andn2_saveexec_b64 s[18:19], s[18:19]
; %bb.3713:                             ;   in Loop: Header=BB2_3261 Depth=2
	v_mov_b32_e32 v55, v29
	v_bfe_u32 v5, v28, 23, 1
	v_mov_b32_e32 v54, v28
; %bb.3714:                             ;   in Loop: Header=BB2_3261 Depth=2
	s_or_b64 exec, exec, s[18:19]
	v_lshrrev_b64 v[6:7], 20, v[54:55]
	v_cmp_gt_i32_e32 vcc, 16, v5
	v_cndmask_b32_e32 v7, 0, v7, vcc
	v_cndmask_b32_e32 v6, 7, v6, vcc
	v_cmp_eq_u32_e32 vcc, 0, v5
	v_min_i32_e32 v5, 15, v5
	v_cmp_eq_u64_e64 s[18:19], 0, v[6:7]
	v_lshlrev_b32_e32 v5, 3, v5
	v_and_b32_e32 v5, 0xf8, v5
	v_and_or_b32 v5, v6, 7, v5
	s_and_b64 s[18:19], vcc, s[18:19]
	v_cndmask_b32_e64 v5, v5, 0, s[18:19]
	v_or_b32_e32 v36, v5, v4
.LBB2_3715:                             ;   in Loop: Header=BB2_3261 Depth=2
	s_or_b64 exec, exec, s[90:91]
                                        ; implicit-def: $vgpr4
.LBB2_3716:                             ;   in Loop: Header=BB2_3261 Depth=2
	s_andn2_saveexec_b64 s[18:19], s[88:89]
; %bb.3717:                             ;   in Loop: Header=BB2_3261 Depth=2
	v_or_b32_e32 v36, 0x7e, v4
; %bb.3718:                             ;   in Loop: Header=BB2_3261 Depth=2
	s_or_b64 exec, exec, s[18:19]
                                        ; implicit-def: $vgpr5
.LBB2_3719:                             ;   in Loop: Header=BB2_3261 Depth=2
	s_andn2_saveexec_b64 s[18:19], s[78:79]
; %bb.3720:                             ;   in Loop: Header=BB2_3261 Depth=2
	v_or_b32_sdwa v36, v5, s39 dst_sel:DWORD dst_unused:UNUSED_PAD src0_sel:BYTE_3 src1_sel:DWORD
; %bb.3721:                             ;   in Loop: Header=BB2_3261 Depth=2
	s_or_b64 exec, exec, s[18:19]
	v_lshl_or_b32 v4, v35, 8, v41
	v_lshlrev_b32_e32 v5, 16, v37
	v_lshlrev_b32_e32 v6, 24, v38
	v_or3_b32 v28, v5, v6, v4
	v_cmp_ne_u32_e32 vcc, 0, v41
	v_mov_b32_e32 v5, 0
	s_and_saveexec_b64 s[18:19], vcc
	s_cbranch_execz .LBB2_3727
; %bb.3722:                             ;   in Loop: Header=BB2_3261 Depth=2
	v_cmp_ne_u32_e32 vcc, s50, v41
	v_bfrev_b32_e32 v5, 1
	s_and_saveexec_b64 s[78:79], vcc
	s_cbranch_execz .LBB2_3726
; %bb.3723:                             ;   in Loop: Header=BB2_3261 Depth=2
	v_and_b32_e32 v6, 0x7f, v41
	v_cmp_ne_u32_e32 vcc, s39, v6
	v_mov_b32_e32 v5, 0x7f800001
	s_and_saveexec_b64 s[88:89], vcc
	s_cbranch_execz .LBB2_3725
; %bb.3724:                             ;   in Loop: Header=BB2_3261 Depth=2
	v_and_b32_e32 v5, 7, v41
	v_ffbh_u32_e32 v5, v5
	v_min_u32_e32 v5, 32, v5
	v_lshrrev_b32_e32 v7, 3, v6
	v_cmp_gt_u32_e32 vcc, 8, v6
	v_subrev_u32_e32 v6, 28, v5
	v_sub_u32_e32 v5, 29, v5
	v_cndmask_b32_e32 v7, v7, v5, vcc
	v_cndmask_b32_e32 v5, 0, v6, vcc
	v_lshlrev_b64 v[5:6], v5, v[28:29]
	v_lshlrev_b32_e32 v6, 24, v28
	v_lshlrev_b32_e32 v5, 20, v5
	v_and_b32_e32 v5, 0x700000, v5
	v_and_b32_e32 v6, 0x80000000, v6
	v_lshl_add_u32 v7, v7, 23, v57
	v_or3_b32 v5, v6, v7, v5
.LBB2_3725:                             ;   in Loop: Header=BB2_3261 Depth=2
	s_or_b64 exec, exec, s[88:89]
.LBB2_3726:                             ;   in Loop: Header=BB2_3261 Depth=2
	s_or_b64 exec, exec, s[78:79]
.LBB2_3727:                             ;   in Loop: Header=BB2_3261 Depth=2
	s_or_b64 exec, exec, s[18:19]
	v_cmp_gt_i16_sdwa s[78:79], v11, s39 src0_sel:BYTE_0 src1_sel:DWORD
	s_mov_b64 s[18:19], 0
	s_and_saveexec_b64 s[88:89], s[78:79]
	s_xor_b64 s[78:79], exec, s[88:89]
	s_cbranch_execz .LBB2_3731
; %bb.3728:                             ;   in Loop: Header=BB2_3261 Depth=2
	v_cmp_eq_u16_sdwa s[90:91], v11, s50 src0_sel:BYTE_0 src1_sel:DWORD
	s_mov_b64 s[18:19], -1
	s_and_saveexec_b64 s[88:89], s[90:91]
; %bb.3729:                             ;   in Loop: Header=BB2_3261 Depth=2
	s_xor_b64 s[18:19], exec, -1
; %bb.3730:                             ;   in Loop: Header=BB2_3261 Depth=2
	s_or_b64 exec, exec, s[88:89]
	s_and_b64 s[18:19], s[18:19], exec
.LBB2_3731:                             ;   in Loop: Header=BB2_3261 Depth=2
	s_or_saveexec_b64 s[78:79], s[78:79]
	v_bfrev_b32_e32 v6, 1
	s_xor_b64 exec, exec, s[78:79]
; %bb.3732:                             ;   in Loop: Header=BB2_3261 Depth=2
	v_cmp_ne_u16_sdwa s[88:89], v11, v29 src0_sel:BYTE_0 src1_sel:DWORD
	s_andn2_b64 s[18:19], s[18:19], exec
	s_and_b64 s[88:89], s[88:89], exec
	v_mov_b32_e32 v6, 0
	s_or_b64 s[18:19], s[18:19], s[88:89]
; %bb.3733:                             ;   in Loop: Header=BB2_3261 Depth=2
	s_or_b64 exec, exec, s[78:79]
	v_mov_b32_e32 v54, v11
	v_mov_b32_e32 v55, v29
	s_and_saveexec_b64 s[78:79], s[18:19]
	s_cbranch_execz .LBB2_3735
; %bb.3734:                             ;   in Loop: Header=BB2_3261 Depth=2
	v_and_b32_e32 v6, 7, v11
	v_ffbh_u32_e32 v6, v6
	v_and_b32_e32 v8, 0x7f, v11
	v_min_u32_e32 v6, 32, v6
	v_bfe_u32 v7, v11, 3, 4
	v_subrev_u32_e32 v9, 28, v6
	v_sub_u32_e32 v6, 29, v6
	v_cmp_gt_u32_e32 vcc, 8, v8
	v_cndmask_b32_e32 v22, v7, v6, vcc
	v_cndmask_b32_e32 v6, 0, v9, vcc
	v_lshlrev_b64 v[6:7], v6, v[54:55]
	v_lshlrev_b32_e32 v7, 24, v54
	v_lshlrev_b32_e32 v6, 20, v6
	v_and_b32_e32 v6, 0x700000, v6
	v_and_b32_e32 v7, 0x80000000, v7
	v_lshl_add_u32 v9, v22, 23, v57
	v_or3_b32 v6, v7, v9, v6
	v_cmp_ne_u32_e32 vcc, s39, v8
	v_cndmask_b32_e32 v6, v56, v6, vcc
.LBB2_3735:                             ;   in Loop: Header=BB2_3261 Depth=2
	s_or_b64 exec, exec, s[78:79]
	v_add_f32_e32 v22, v5, v6
	v_and_b32_e32 v5, 0x7f800000, v22
	v_mov_b32_e32 v6, v29
	v_cmp_ne_u64_e32 vcc, s[46:47], v[5:6]
                                        ; implicit-def: $vgpr35
	s_and_saveexec_b64 s[18:19], vcc
	s_xor_b64 s[78:79], exec, s[18:19]
	s_cbranch_execz .LBB2_3749
; %bb.3736:                             ;   in Loop: Header=BB2_3261 Depth=2
	v_and_b32_e32 v5, 0x7fffffff, v22
	v_mov_b32_e32 v6, v29
	v_cmp_gt_u64_e32 vcc, s[56:57], v[5:6]
	v_and_b32_sdwa v5, v22, s50 dst_sel:DWORD dst_unused:UNUSED_PAD src0_sel:BYTE_3 src1_sel:DWORD
                                        ; implicit-def: $vgpr35
	s_and_saveexec_b64 s[18:19], vcc
	s_xor_b64 s[88:89], exec, s[18:19]
	s_cbranch_execz .LBB2_3746
; %bb.3737:                             ;   in Loop: Header=BB2_3261 Depth=2
	v_mov_b32_e32 v35, 0
	v_cmp_ne_u32_e32 vcc, 0, v22
	s_and_saveexec_b64 s[90:91], vcc
	s_cbranch_execz .LBB2_3745
; %bb.3738:                             ;   in Loop: Header=BB2_3261 Depth=2
	v_and_b32_e32 v7, 0x7fffff, v22
	v_bfe_u32 v22, v22, 23, 8
	v_cmp_gt_u32_e64 s[18:19], s51, v22
	v_sub_u32_e32 v6, 0x79, v22
	v_cmp_eq_u32_e32 vcc, 0, v22
	v_cndmask_b32_e64 v6, 0, v6, s[18:19]
	v_cndmask_b32_e32 v6, v6, v58, vcc
	v_or_b32_e32 v8, 0x800000, v7
	v_add_u32_e32 v9, 20, v6
	v_cndmask_b32_e32 v7, v8, v7, vcc
	v_mov_b32_e32 v8, v29
	v_lshlrev_b64 v[26:27], v9, -1
	v_add_u32_e32 v9, 19, v6
	v_lshlrev_b64 v[37:38], v9, 1
	v_lshrrev_b64 v[39:40], v6, v[7:8]
	v_bfi_b32 v27, v27, 0, 0
	v_bfi_b32 v26, v26, 0, v7
	v_cmp_eq_u64_e64 s[18:19], v[26:27], v[37:38]
	v_mov_b32_e32 v41, v40
	v_mov_b32_e32 v40, v39
	s_and_saveexec_b64 s[92:93], s[18:19]
; %bb.3739:                             ;   in Loop: Header=BB2_3261 Depth=2
	v_bfe_u32 v7, v39, 20, 1
	v_add_co_u32_e64 v7, s[18:19], v39, v7
	v_add_co_u32_e64 v40, s[18:19], -1, v7
; %bb.3740:                             ;   in Loop: Header=BB2_3261 Depth=2
	s_or_b64 exec, exec, s[92:93]
	v_add_u32_e32 v7, 0xffffff81, v22
	v_cndmask_b32_e32 v7, v7, v59, vcc
	v_lshrrev_b32_e32 v8, 23, v39
	v_add3_u32 v8, v6, v7, v8
	v_add_u32_e32 v7, 6, v8
	v_and_b32_e32 v6, 0xfffff, v40
	v_add_u32_e32 v39, v6, v39
	v_mov_b32_e32 v40, v29
	v_cmp_ne_u32_e32 vcc, 0, v7
                                        ; implicit-def: $vgpr6
	s_and_saveexec_b64 s[18:19], vcc
	s_xor_b64 s[18:19], exec, s[18:19]
; %bb.3741:                             ;   in Loop: Header=BB2_3261 Depth=2
	v_cmp_lt_u64_e32 vcc, s[58:59], v[39:40]
	v_add_u32_e32 v6, 7, v8
	v_cndmask_b32_e32 v6, v7, v6, vcc
	v_cndmask_b32_e64 v7, 0, 1, vcc
	v_lshrrev_b64 v[39:40], v7, v[39:40]
; %bb.3742:                             ;   in Loop: Header=BB2_3261 Depth=2
	s_andn2_saveexec_b64 s[18:19], s[18:19]
; %bb.3743:                             ;   in Loop: Header=BB2_3261 Depth=2
	v_bfe_u32 v6, v39, 23, 1
; %bb.3744:                             ;   in Loop: Header=BB2_3261 Depth=2
	s_or_b64 exec, exec, s[18:19]
	v_lshrrev_b64 v[7:8], 20, v[39:40]
	v_cmp_gt_i32_e32 vcc, 16, v6
	v_cndmask_b32_e32 v8, 0, v8, vcc
	v_cndmask_b32_e32 v7, 7, v7, vcc
	v_cmp_eq_u32_e32 vcc, 0, v6
	v_min_i32_e32 v6, 15, v6
	v_cmp_eq_u64_e64 s[18:19], 0, v[7:8]
	v_lshlrev_b32_e32 v6, 3, v6
	v_and_b32_e32 v6, 0xf8, v6
	v_and_or_b32 v6, v7, 7, v6
	s_and_b64 s[18:19], vcc, s[18:19]
	v_cndmask_b32_e64 v6, v6, 0, s[18:19]
	v_or_b32_e32 v35, v6, v5
.LBB2_3745:                             ;   in Loop: Header=BB2_3261 Depth=2
	s_or_b64 exec, exec, s[90:91]
                                        ; implicit-def: $vgpr5
.LBB2_3746:                             ;   in Loop: Header=BB2_3261 Depth=2
	s_andn2_saveexec_b64 s[18:19], s[88:89]
; %bb.3747:                             ;   in Loop: Header=BB2_3261 Depth=2
	v_or_b32_e32 v35, 0x7e, v5
; %bb.3748:                             ;   in Loop: Header=BB2_3261 Depth=2
	s_or_b64 exec, exec, s[18:19]
                                        ; implicit-def: $vgpr22
.LBB2_3749:                             ;   in Loop: Header=BB2_3261 Depth=2
	s_andn2_saveexec_b64 s[18:19], s[78:79]
; %bb.3750:                             ;   in Loop: Header=BB2_3261 Depth=2
	v_or_b32_sdwa v35, v22, s39 dst_sel:DWORD dst_unused:UNUSED_PAD src0_sel:BYTE_3 src1_sel:DWORD
; %bb.3751:                             ;   in Loop: Header=BB2_3261 Depth=2
	s_or_b64 exec, exec, s[18:19]
	v_lshrrev_b16_e32 v30, 8, v4
	v_cmp_ne_u16_e32 vcc, 0, v30
	v_mov_b32_e32 v5, 0
	s_and_saveexec_b64 s[18:19], vcc
	s_cbranch_execz .LBB2_3757
; %bb.3752:                             ;   in Loop: Header=BB2_3261 Depth=2
	v_cmp_ne_u16_e32 vcc, s50, v30
	v_bfrev_b32_e32 v5, 1
	s_and_saveexec_b64 s[78:79], vcc
	s_cbranch_execz .LBB2_3756
; %bb.3753:                             ;   in Loop: Header=BB2_3261 Depth=2
	v_and_b32_e32 v6, 0x7f, v30
	v_cmp_ne_u32_e32 vcc, s39, v6
	v_mov_b32_e32 v5, 0x7f800001
	s_and_saveexec_b64 s[88:89], vcc
	s_cbranch_execz .LBB2_3755
; %bb.3754:                             ;   in Loop: Header=BB2_3261 Depth=2
	v_and_b32_e32 v7, 7, v30
	v_ffbh_u32_e32 v5, v7
	v_min_u32_e32 v9, 32, v5
	v_subrev_u32_e32 v5, 28, v9
	v_lshrrev_b32_e32 v8, 3, v6
	v_cmp_gt_u32_e32 vcc, 8, v6
	v_lshlrev_b64 v[5:6], v5, v[30:31]
	v_sub_u32_e32 v6, 29, v9
	v_and_b32_e32 v5, 7, v5
	v_cndmask_b32_e32 v6, v8, v6, vcc
	v_cndmask_b32_e32 v5, v7, v5, vcc
	v_lshlrev_b32_e32 v4, 16, v4
	v_lshlrev_b32_e32 v5, 20, v5
	v_and_b32_e32 v4, 0x80000000, v4
	v_lshl_add_u32 v6, v6, 23, v57
	v_or3_b32 v5, v4, v6, v5
.LBB2_3755:                             ;   in Loop: Header=BB2_3261 Depth=2
	s_or_b64 exec, exec, s[88:89]
.LBB2_3756:                             ;   in Loop: Header=BB2_3261 Depth=2
	s_or_b64 exec, exec, s[78:79]
.LBB2_3757:                             ;   in Loop: Header=BB2_3261 Depth=2
	s_or_b64 exec, exec, s[18:19]
	v_lshrrev_b16_e32 v54, 8, v54
	v_cmp_lt_i16_e32 vcc, s39, v54
	s_mov_b64 s[18:19], 0
	s_and_saveexec_b64 s[78:79], vcc
	s_xor_b64 s[78:79], exec, s[78:79]
	s_cbranch_execnz .LBB2_4041
; %bb.3758:                             ;   in Loop: Header=BB2_3261 Depth=2
	s_or_saveexec_b64 s[78:79], s[78:79]
	v_bfrev_b32_e32 v4, 1
	s_xor_b64 exec, exec, s[78:79]
	s_cbranch_execnz .LBB2_4044
.LBB2_3759:                             ;   in Loop: Header=BB2_3261 Depth=2
	s_or_b64 exec, exec, s[78:79]
	s_and_saveexec_b64 s[78:79], s[18:19]
	s_cbranch_execz .LBB2_3761
.LBB2_3760:                             ;   in Loop: Header=BB2_3261 Depth=2
	v_and_b32_e32 v4, 7, v54
	v_ffbh_u32_e32 v6, v4
	v_min_u32_e32 v22, 32, v6
	v_mov_b32_e32 v55, v29
	v_subrev_u32_e32 v6, 28, v22
	v_lshlrev_b64 v[6:7], v6, v[54:55]
	v_and_b32_e32 v8, 0x7f, v54
	v_bfe_u32 v9, v54, 3, 4
	v_sub_u32_e32 v7, 29, v22
	v_and_b32_e32 v6, 7, v6
	v_cmp_gt_u32_e32 vcc, 8, v8
	v_cndmask_b32_e32 v7, v9, v7, vcc
	v_cndmask_b32_e32 v4, v4, v6, vcc
	v_lshlrev_b32_e32 v6, 24, v54
	v_lshlrev_b32_e32 v4, 20, v4
	v_and_b32_e32 v6, 0x80000000, v6
	v_lshl_add_u32 v7, v7, 23, v57
	v_or3_b32 v4, v6, v7, v4
	v_cmp_ne_u32_e32 vcc, s39, v8
	v_cndmask_b32_e32 v4, v56, v4, vcc
.LBB2_3761:                             ;   in Loop: Header=BB2_3261 Depth=2
	s_or_b64 exec, exec, s[78:79]
	v_add_f32_e32 v5, v5, v4
	v_and_b32_e32 v6, 0x7f800000, v5
	v_mov_b32_e32 v7, v29
	v_cmp_ne_u64_e32 vcc, s[46:47], v[6:7]
                                        ; implicit-def: $vgpr37
	s_and_saveexec_b64 s[18:19], vcc
	s_xor_b64 s[78:79], exec, s[18:19]
	s_cbranch_execz .LBB2_3775
; %bb.3762:                             ;   in Loop: Header=BB2_3261 Depth=2
	v_and_b32_e32 v6, 0x7fffffff, v5
	v_mov_b32_e32 v7, v29
	v_cmp_gt_u64_e32 vcc, s[56:57], v[6:7]
	v_and_b32_sdwa v4, v5, s50 dst_sel:DWORD dst_unused:UNUSED_PAD src0_sel:BYTE_3 src1_sel:DWORD
                                        ; implicit-def: $vgpr37
	s_and_saveexec_b64 s[18:19], vcc
	s_xor_b64 s[88:89], exec, s[18:19]
	s_cbranch_execz .LBB2_3772
; %bb.3763:                             ;   in Loop: Header=BB2_3261 Depth=2
	v_mov_b32_e32 v37, 0
	v_cmp_ne_u32_e32 vcc, 0, v5
	s_and_saveexec_b64 s[90:91], vcc
	s_cbranch_execz .LBB2_3771
; %bb.3764:                             ;   in Loop: Header=BB2_3261 Depth=2
	v_and_b32_e32 v7, 0x7fffff, v5
	v_bfe_u32 v5, v5, 23, 8
	v_cmp_gt_u32_e64 s[18:19], s51, v5
	v_sub_u32_e32 v6, 0x79, v5
	v_cmp_eq_u32_e32 vcc, 0, v5
	v_cndmask_b32_e64 v6, 0, v6, s[18:19]
	v_cndmask_b32_e32 v6, v6, v58, vcc
	v_add_u32_e32 v9, 20, v6
	v_or_b32_e32 v8, 0x800000, v7
	v_lshlrev_b64 v[22:23], v9, -1
	v_add_u32_e32 v9, 19, v6
	v_cndmask_b32_e32 v7, v8, v7, vcc
	v_mov_b32_e32 v8, v29
	v_lshlrev_b64 v[26:27], v9, 1
	v_bfi_b32 v23, v23, 0, 0
	v_bfi_b32 v22, v22, 0, v7
	v_lshrrev_b64 v[54:55], v6, v[7:8]
	v_cmp_eq_u64_e64 s[18:19], v[22:23], v[26:27]
	v_mov_b32_e32 v39, v54
	v_mov_b32_e32 v40, v55
	s_and_saveexec_b64 s[92:93], s[18:19]
; %bb.3765:                             ;   in Loop: Header=BB2_3261 Depth=2
	v_bfe_u32 v7, v54, 20, 1
	v_add_co_u32_e64 v7, s[18:19], v54, v7
	v_add_co_u32_e64 v39, s[18:19], -1, v7
; %bb.3766:                             ;   in Loop: Header=BB2_3261 Depth=2
	s_or_b64 exec, exec, s[92:93]
	v_add_u32_e32 v5, 0xffffff81, v5
	v_cndmask_b32_e32 v5, v5, v59, vcc
	v_lshrrev_b32_e32 v7, 23, v54
	v_add3_u32 v7, v6, v5, v7
	v_add_u32_e32 v6, 6, v7
	v_and_b32_e32 v5, 0xfffff, v39
	v_add_u32_e32 v54, v5, v54
	v_mov_b32_e32 v55, v29
	v_cmp_ne_u32_e32 vcc, 0, v6
                                        ; implicit-def: $vgpr5
	s_and_saveexec_b64 s[18:19], vcc
	s_xor_b64 s[18:19], exec, s[18:19]
; %bb.3767:                             ;   in Loop: Header=BB2_3261 Depth=2
	v_cmp_lt_u64_e32 vcc, s[58:59], v[54:55]
	v_add_u32_e32 v5, 7, v7
	v_cndmask_b32_e32 v5, v6, v5, vcc
	v_cndmask_b32_e64 v6, 0, 1, vcc
	v_lshrrev_b64 v[54:55], v6, v[54:55]
; %bb.3768:                             ;   in Loop: Header=BB2_3261 Depth=2
	s_andn2_saveexec_b64 s[18:19], s[18:19]
; %bb.3769:                             ;   in Loop: Header=BB2_3261 Depth=2
	v_bfe_u32 v5, v54, 23, 1
; %bb.3770:                             ;   in Loop: Header=BB2_3261 Depth=2
	s_or_b64 exec, exec, s[18:19]
	v_lshrrev_b64 v[6:7], 20, v[54:55]
	v_cmp_gt_i32_e32 vcc, 16, v5
	v_cndmask_b32_e32 v7, 0, v7, vcc
	v_cndmask_b32_e32 v6, 7, v6, vcc
	v_cmp_eq_u32_e32 vcc, 0, v5
	v_min_i32_e32 v5, 15, v5
	v_cmp_eq_u64_e64 s[18:19], 0, v[6:7]
	v_lshlrev_b32_e32 v5, 3, v5
	v_and_b32_e32 v5, 0xf8, v5
	v_and_or_b32 v5, v6, 7, v5
	s_and_b64 s[18:19], vcc, s[18:19]
	v_cndmask_b32_e64 v5, v5, 0, s[18:19]
	v_or_b32_e32 v37, v5, v4
.LBB2_3771:                             ;   in Loop: Header=BB2_3261 Depth=2
	s_or_b64 exec, exec, s[90:91]
                                        ; implicit-def: $vgpr4
.LBB2_3772:                             ;   in Loop: Header=BB2_3261 Depth=2
	s_andn2_saveexec_b64 s[18:19], s[88:89]
; %bb.3773:                             ;   in Loop: Header=BB2_3261 Depth=2
	v_or_b32_e32 v37, 0x7e, v4
; %bb.3774:                             ;   in Loop: Header=BB2_3261 Depth=2
	s_or_b64 exec, exec, s[18:19]
                                        ; implicit-def: $vgpr5
.LBB2_3775:                             ;   in Loop: Header=BB2_3261 Depth=2
	s_andn2_saveexec_b64 s[18:19], s[78:79]
; %bb.3776:                             ;   in Loop: Header=BB2_3261 Depth=2
	v_or_b32_sdwa v37, v5, s39 dst_sel:DWORD dst_unused:UNUSED_PAD src0_sel:BYTE_3 src1_sel:DWORD
; %bb.3777:                             ;   in Loop: Header=BB2_3261 Depth=2
	s_or_b64 exec, exec, s[18:19]
	v_lshrrev_b32_e32 v30, 16, v28
	v_cmp_ne_u16_sdwa s[78:79], v30, v29 src0_sel:BYTE_0 src1_sel:DWORD
	v_mov_b32_e32 v4, 0
	s_and_saveexec_b64 s[18:19], s[78:79]
	s_cbranch_execz .LBB2_3783
; %bb.3778:                             ;   in Loop: Header=BB2_3261 Depth=2
	v_cmp_ne_u16_sdwa s[88:89], v30, s50 src0_sel:BYTE_0 src1_sel:DWORD
	v_bfrev_b32_e32 v4, 1
	s_and_saveexec_b64 s[78:79], s[88:89]
	s_cbranch_execz .LBB2_3782
; %bb.3779:                             ;   in Loop: Header=BB2_3261 Depth=2
	v_bfe_u32 v5, v28, 16, 7
	v_cmp_ne_u32_e32 vcc, s39, v5
	v_mov_b32_e32 v4, 0x7f800001
	s_and_saveexec_b64 s[88:89], vcc
	s_cbranch_execz .LBB2_3781
; %bb.3780:                             ;   in Loop: Header=BB2_3261 Depth=2
	v_and_b32_e32 v6, 7, v30
	v_ffbh_u32_e32 v4, v6
	v_min_u32_e32 v8, 32, v4
	v_subrev_u32_e32 v4, 28, v8
	v_lshrrev_b32_e32 v7, 3, v5
	v_cmp_gt_u32_e32 vcc, 8, v5
	v_lshlrev_b64 v[4:5], v4, v[30:31]
	v_sub_u32_e32 v5, 29, v8
	v_and_b32_e32 v4, 7, v4
	v_cndmask_b32_e32 v5, v7, v5, vcc
	v_cndmask_b32_e32 v4, v6, v4, vcc
	v_lshlrev_b32_e32 v6, 24, v30
	v_lshlrev_b32_e32 v4, 20, v4
	v_and_b32_e32 v6, 0x80000000, v6
	v_lshl_add_u32 v5, v5, 23, v57
	v_or3_b32 v4, v6, v5, v4
.LBB2_3781:                             ;   in Loop: Header=BB2_3261 Depth=2
	s_or_b64 exec, exec, s[88:89]
.LBB2_3782:                             ;   in Loop: Header=BB2_3261 Depth=2
	s_or_b64 exec, exec, s[78:79]
.LBB2_3783:                             ;   in Loop: Header=BB2_3261 Depth=2
	s_or_b64 exec, exec, s[18:19]
	v_lshrrev_b32_e32 v30, 16, v11
	v_cmp_gt_i16_sdwa s[78:79], v30, s39 src0_sel:BYTE_0 src1_sel:DWORD
	s_mov_b64 s[18:19], 0
	s_and_saveexec_b64 s[88:89], s[78:79]
	s_xor_b64 s[78:79], exec, s[88:89]
	s_cbranch_execnz .LBB2_4045
; %bb.3784:                             ;   in Loop: Header=BB2_3261 Depth=2
	s_or_saveexec_b64 s[78:79], s[78:79]
	v_bfrev_b32_e32 v5, 1
	s_xor_b64 exec, exec, s[78:79]
	s_cbranch_execnz .LBB2_4048
.LBB2_3785:                             ;   in Loop: Header=BB2_3261 Depth=2
	s_or_b64 exec, exec, s[78:79]
	s_and_saveexec_b64 s[78:79], s[18:19]
	s_cbranch_execz .LBB2_3787
.LBB2_3786:                             ;   in Loop: Header=BB2_3261 Depth=2
	v_and_b32_e32 v7, 7, v30
	v_ffbh_u32_e32 v5, v7
	v_min_u32_e32 v22, 32, v5
	v_subrev_u32_e32 v5, 28, v22
	v_lshlrev_b64 v[5:6], v5, v[30:31]
	v_and_b32_e32 v8, 0x7f, v30
	v_bfe_u32 v9, v30, 3, 4
	v_sub_u32_e32 v6, 29, v22
	v_and_b32_e32 v5, 7, v5
	v_cmp_gt_u32_e32 vcc, 8, v8
	v_cndmask_b32_e32 v6, v9, v6, vcc
	v_cndmask_b32_e32 v5, v7, v5, vcc
	v_lshlrev_b32_e32 v7, 24, v30
	v_lshlrev_b32_e32 v5, 20, v5
	v_and_b32_e32 v7, 0x80000000, v7
	v_lshl_add_u32 v6, v6, 23, v57
	v_or3_b32 v5, v7, v6, v5
	v_cmp_ne_u32_e32 vcc, s39, v8
	v_cndmask_b32_e32 v5, v56, v5, vcc
.LBB2_3787:                             ;   in Loop: Header=BB2_3261 Depth=2
	s_or_b64 exec, exec, s[78:79]
	v_add_f32_e32 v5, v4, v5
	v_and_b32_e32 v6, 0x7f800000, v5
	v_mov_b32_e32 v7, v29
	v_cmp_ne_u64_e32 vcc, s[46:47], v[6:7]
                                        ; implicit-def: $vgpr38
	s_and_saveexec_b64 s[18:19], vcc
	s_xor_b64 s[78:79], exec, s[18:19]
	s_cbranch_execz .LBB2_3801
; %bb.3788:                             ;   in Loop: Header=BB2_3261 Depth=2
	v_and_b32_e32 v6, 0x7fffffff, v5
	v_mov_b32_e32 v7, v29
	v_cmp_gt_u64_e32 vcc, s[56:57], v[6:7]
	v_and_b32_sdwa v4, v5, s50 dst_sel:DWORD dst_unused:UNUSED_PAD src0_sel:BYTE_3 src1_sel:DWORD
                                        ; implicit-def: $vgpr38
	s_and_saveexec_b64 s[18:19], vcc
	s_xor_b64 s[88:89], exec, s[18:19]
	s_cbranch_execz .LBB2_3798
; %bb.3789:                             ;   in Loop: Header=BB2_3261 Depth=2
	v_mov_b32_e32 v38, 0
	v_cmp_ne_u32_e32 vcc, 0, v5
	s_and_saveexec_b64 s[90:91], vcc
	s_cbranch_execz .LBB2_3797
; %bb.3790:                             ;   in Loop: Header=BB2_3261 Depth=2
	v_and_b32_e32 v7, 0x7fffff, v5
	v_bfe_u32 v5, v5, 23, 8
	v_cmp_gt_u32_e64 s[18:19], s51, v5
	v_sub_u32_e32 v6, 0x79, v5
	v_cmp_eq_u32_e32 vcc, 0, v5
	v_cndmask_b32_e64 v6, 0, v6, s[18:19]
	v_cndmask_b32_e32 v6, v6, v58, vcc
	v_add_u32_e32 v9, 20, v6
	v_or_b32_e32 v8, 0x800000, v7
	v_lshlrev_b64 v[22:23], v9, -1
	v_add_u32_e32 v9, 19, v6
	v_cndmask_b32_e32 v7, v8, v7, vcc
	v_mov_b32_e32 v8, v29
	v_lshlrev_b64 v[26:27], v9, 1
	v_bfi_b32 v23, v23, 0, 0
	v_bfi_b32 v22, v22, 0, v7
	v_lshrrev_b64 v[54:55], v6, v[7:8]
	v_cmp_eq_u64_e64 s[18:19], v[22:23], v[26:27]
	v_mov_b32_e32 v39, v54
	v_mov_b32_e32 v40, v55
	s_and_saveexec_b64 s[92:93], s[18:19]
; %bb.3791:                             ;   in Loop: Header=BB2_3261 Depth=2
	v_bfe_u32 v7, v54, 20, 1
	v_add_co_u32_e64 v7, s[18:19], v54, v7
	v_add_co_u32_e64 v39, s[18:19], -1, v7
; %bb.3792:                             ;   in Loop: Header=BB2_3261 Depth=2
	s_or_b64 exec, exec, s[92:93]
	v_add_u32_e32 v5, 0xffffff81, v5
	v_cndmask_b32_e32 v5, v5, v59, vcc
	v_lshrrev_b32_e32 v7, 23, v54
	v_add3_u32 v7, v6, v5, v7
	v_add_u32_e32 v6, 6, v7
	v_and_b32_e32 v5, 0xfffff, v39
	v_add_u32_e32 v54, v5, v54
	v_mov_b32_e32 v55, v29
	v_cmp_ne_u32_e32 vcc, 0, v6
                                        ; implicit-def: $vgpr5
	s_and_saveexec_b64 s[18:19], vcc
	s_xor_b64 s[18:19], exec, s[18:19]
; %bb.3793:                             ;   in Loop: Header=BB2_3261 Depth=2
	v_cmp_lt_u64_e32 vcc, s[58:59], v[54:55]
	v_add_u32_e32 v5, 7, v7
	v_cndmask_b32_e32 v5, v6, v5, vcc
	v_cndmask_b32_e64 v6, 0, 1, vcc
	v_lshrrev_b64 v[54:55], v6, v[54:55]
; %bb.3794:                             ;   in Loop: Header=BB2_3261 Depth=2
	s_andn2_saveexec_b64 s[18:19], s[18:19]
; %bb.3795:                             ;   in Loop: Header=BB2_3261 Depth=2
	v_bfe_u32 v5, v54, 23, 1
; %bb.3796:                             ;   in Loop: Header=BB2_3261 Depth=2
	s_or_b64 exec, exec, s[18:19]
	v_lshrrev_b64 v[6:7], 20, v[54:55]
	v_cmp_gt_i32_e32 vcc, 16, v5
	v_cndmask_b32_e32 v7, 0, v7, vcc
	v_cndmask_b32_e32 v6, 7, v6, vcc
	v_cmp_eq_u32_e32 vcc, 0, v5
	v_min_i32_e32 v5, 15, v5
	v_cmp_eq_u64_e64 s[18:19], 0, v[6:7]
	v_lshlrev_b32_e32 v5, 3, v5
	v_and_b32_e32 v5, 0xf8, v5
	v_and_or_b32 v5, v6, 7, v5
	s_and_b64 s[18:19], vcc, s[18:19]
	v_cndmask_b32_e64 v5, v5, 0, s[18:19]
	v_or_b32_e32 v38, v5, v4
.LBB2_3797:                             ;   in Loop: Header=BB2_3261 Depth=2
	s_or_b64 exec, exec, s[90:91]
                                        ; implicit-def: $vgpr4
.LBB2_3798:                             ;   in Loop: Header=BB2_3261 Depth=2
	s_andn2_saveexec_b64 s[18:19], s[88:89]
; %bb.3799:                             ;   in Loop: Header=BB2_3261 Depth=2
	v_or_b32_e32 v38, 0x7e, v4
; %bb.3800:                             ;   in Loop: Header=BB2_3261 Depth=2
	s_or_b64 exec, exec, s[18:19]
                                        ; implicit-def: $vgpr5
.LBB2_3801:                             ;   in Loop: Header=BB2_3261 Depth=2
	s_andn2_saveexec_b64 s[18:19], s[78:79]
; %bb.3802:                             ;   in Loop: Header=BB2_3261 Depth=2
	v_or_b32_sdwa v38, v5, s39 dst_sel:DWORD dst_unused:UNUSED_PAD src0_sel:BYTE_3 src1_sel:DWORD
; %bb.3803:                             ;   in Loop: Header=BB2_3261 Depth=2
	s_or_b64 exec, exec, s[18:19]
	v_cmp_lt_u32_e32 vcc, s61, v28
	v_mov_b32_e32 v4, 0
	s_and_saveexec_b64 s[18:19], vcc
	s_cbranch_execz .LBB2_3809
; %bb.3804:                             ;   in Loop: Header=BB2_3261 Depth=2
	v_lshrrev_b32_e32 v30, 24, v28
	v_cmp_ne_u32_sdwa s[88:89], v28, s50 src0_sel:BYTE_3 src1_sel:DWORD
	v_bfrev_b32_e32 v4, 1
	s_and_saveexec_b64 s[78:79], s[88:89]
	s_cbranch_execz .LBB2_3808
; %bb.3805:                             ;   in Loop: Header=BB2_3261 Depth=2
	v_bfe_u32 v5, v28, 24, 7
	v_cmp_ne_u32_e32 vcc, s39, v5
	v_mov_b32_e32 v4, 0x7f800001
	s_and_saveexec_b64 s[88:89], vcc
	s_cbranch_execz .LBB2_3807
; %bb.3806:                             ;   in Loop: Header=BB2_3261 Depth=2
	v_and_b32_e32 v6, 7, v30
	v_ffbh_u32_e32 v4, v6
	v_min_u32_e32 v8, 32, v4
	v_subrev_u32_e32 v4, 28, v8
	v_lshrrev_b32_e32 v7, 3, v5
	v_cmp_gt_u32_e32 vcc, 8, v5
	v_lshlrev_b64 v[4:5], v4, v[30:31]
	v_sub_u32_e32 v5, 29, v8
	v_and_b32_e32 v4, 7, v4
	v_cndmask_b32_e32 v4, v6, v4, vcc
	v_mov_b32_e32 v6, 24
	v_cndmask_b32_e32 v5, v7, v5, vcc
	v_lshlrev_b32_sdwa v6, v6, v28 dst_sel:DWORD dst_unused:UNUSED_PAD src0_sel:DWORD src1_sel:BYTE_3
	v_lshlrev_b32_e32 v4, 20, v4
	v_and_b32_e32 v6, 0x80000000, v6
	v_lshl_add_u32 v5, v5, 23, v57
	v_or3_b32 v4, v6, v5, v4
.LBB2_3807:                             ;   in Loop: Header=BB2_3261 Depth=2
	s_or_b64 exec, exec, s[88:89]
.LBB2_3808:                             ;   in Loop: Header=BB2_3261 Depth=2
	s_or_b64 exec, exec, s[78:79]
.LBB2_3809:                             ;   in Loop: Header=BB2_3261 Depth=2
	s_or_b64 exec, exec, s[18:19]
	v_bfe_u32 v8, v11, 24, 3
	v_ffbh_u32_e32 v6, v8
	v_min_u32_e32 v23, 32, v6
	v_lshrrev_b32_e32 v5, 24, v11
	v_subrev_u32_e32 v6, 28, v23
	v_lshlrev_b64 v[6:7], v6, v[5:6]
	v_bfe_u32 v9, v11, 24, 7
	v_bfe_u32 v22, v5, 3, 4
	v_sub_u32_e32 v7, 29, v23
	v_and_b32_e32 v6, 7, v6
	v_cmp_gt_u32_e32 vcc, 8, v9
	v_cndmask_b32_e32 v7, v22, v7, vcc
	v_cndmask_b32_e32 v6, v8, v6, vcc
	v_lshlrev_b32_e32 v6, 20, v6
	v_and_b32_e32 v8, 0x80000000, v11
	v_lshl_add_u32 v7, v7, 23, v57
	v_or3_b32 v6, v8, v7, v6
	v_cmp_ne_u32_e32 vcc, s39, v9
	v_cndmask_b32_e32 v6, v56, v6, vcc
	v_cmp_ne_u32_e32 vcc, s50, v5
	v_cndmask_b32_e32 v5, v61, v6, vcc
	v_cmp_lt_u64_e32 vcc, s[60:61], v[10:11]
                                        ; implicit-def: $vgpr30
	v_cndmask_b32_e32 v5, 0, v5, vcc
	v_add_f32_e32 v5, v5, v4
	v_and_b32_e32 v28, 0x7f800000, v5
	v_cmp_ne_u64_e32 vcc, s[46:47], v[28:29]
	s_and_saveexec_b64 s[18:19], vcc
	s_xor_b64 s[78:79], exec, s[18:19]
	s_cbranch_execz .LBB2_3823
; %bb.3810:                             ;   in Loop: Header=BB2_3261 Depth=2
	v_and_b32_e32 v28, 0x7fffffff, v5
	v_cmp_gt_u64_e32 vcc, s[56:57], v[28:29]
	v_and_b32_sdwa v4, v5, s50 dst_sel:DWORD dst_unused:UNUSED_PAD src0_sel:BYTE_3 src1_sel:DWORD
                                        ; implicit-def: $vgpr30
	s_and_saveexec_b64 s[18:19], vcc
	s_xor_b64 s[88:89], exec, s[18:19]
	s_cbranch_execz .LBB2_3820
; %bb.3811:                             ;   in Loop: Header=BB2_3261 Depth=2
	v_mov_b32_e32 v30, 0
	v_cmp_ne_u32_e32 vcc, 0, v5
	s_and_saveexec_b64 s[90:91], vcc
	s_cbranch_execz .LBB2_3819
; %bb.3812:                             ;   in Loop: Header=BB2_3261 Depth=2
	v_and_b32_e32 v7, 0x7fffff, v5
	v_bfe_u32 v5, v5, 23, 8
	v_cmp_gt_u32_e64 s[18:19], s51, v5
	v_sub_u32_e32 v6, 0x79, v5
	v_cmp_eq_u32_e32 vcc, 0, v5
	v_cndmask_b32_e64 v6, 0, v6, s[18:19]
	v_or_b32_e32 v8, 0x800000, v7
	v_cndmask_b32_e32 v6, v6, v58, vcc
	v_cndmask_b32_e32 v28, v8, v7, vcc
	v_add_u32_e32 v7, 20, v6
	v_lshlrev_b64 v[7:8], v7, -1
	v_add_u32_e32 v9, 19, v6
	v_lshlrev_b64 v[9:10], v9, 1
	v_bfi_b32 v8, v8, 0, 0
	v_bfi_b32 v7, v7, 0, v28
	v_cmp_eq_u64_e64 s[18:19], v[7:8], v[9:10]
	v_lshrrev_b64 v[10:11], v6, v[28:29]
	v_mov_b32_e32 v55, v11
	v_mov_b32_e32 v54, v10
	s_and_saveexec_b64 s[92:93], s[18:19]
; %bb.3813:                             ;   in Loop: Header=BB2_3261 Depth=2
	v_bfe_u32 v7, v10, 20, 1
	v_add_co_u32_e64 v7, s[18:19], v10, v7
	v_add_co_u32_e64 v54, s[18:19], -1, v7
; %bb.3814:                             ;   in Loop: Header=BB2_3261 Depth=2
	s_or_b64 exec, exec, s[92:93]
	v_add_u32_e32 v5, 0xffffff81, v5
	v_cndmask_b32_e32 v5, v5, v59, vcc
	v_lshrrev_b32_e32 v7, 23, v10
	v_add3_u32 v7, v6, v5, v7
	v_add_u32_e32 v6, 6, v7
	v_and_b32_e32 v5, 0xfffff, v54
	v_add_u32_e32 v28, v5, v10
	v_cmp_ne_u32_e32 vcc, 0, v6
                                        ; implicit-def: $vgpr10_vgpr11
                                        ; implicit-def: $vgpr5
	s_and_saveexec_b64 s[18:19], vcc
	s_xor_b64 s[18:19], exec, s[18:19]
; %bb.3815:                             ;   in Loop: Header=BB2_3261 Depth=2
	v_cmp_lt_u64_e32 vcc, s[58:59], v[28:29]
	v_add_u32_e32 v5, 7, v7
	v_cndmask_b32_e32 v5, v6, v5, vcc
	v_cndmask_b32_e64 v6, 0, 1, vcc
	v_lshrrev_b64 v[10:11], v6, v[28:29]
; %bb.3816:                             ;   in Loop: Header=BB2_3261 Depth=2
	s_andn2_saveexec_b64 s[18:19], s[18:19]
; %bb.3817:                             ;   in Loop: Header=BB2_3261 Depth=2
	v_mov_b32_e32 v10, v28
	v_bfe_u32 v5, v28, 23, 1
	v_mov_b32_e32 v11, v29
; %bb.3818:                             ;   in Loop: Header=BB2_3261 Depth=2
	s_or_b64 exec, exec, s[18:19]
	v_lshrrev_b64 v[6:7], 20, v[10:11]
	v_cmp_gt_i32_e32 vcc, 16, v5
	v_cndmask_b32_e32 v7, 0, v7, vcc
	v_cndmask_b32_e32 v6, 7, v6, vcc
	v_cmp_eq_u32_e32 vcc, 0, v5
	v_min_i32_e32 v5, 15, v5
	v_cmp_eq_u64_e64 s[18:19], 0, v[6:7]
	v_lshlrev_b32_e32 v5, 3, v5
	v_and_b32_e32 v5, 0xf8, v5
	v_and_or_b32 v5, v6, 7, v5
	s_and_b64 s[18:19], vcc, s[18:19]
	v_cndmask_b32_e64 v5, v5, 0, s[18:19]
	v_or_b32_e32 v30, v5, v4
.LBB2_3819:                             ;   in Loop: Header=BB2_3261 Depth=2
	s_or_b64 exec, exec, s[90:91]
                                        ; implicit-def: $vgpr4
.LBB2_3820:                             ;   in Loop: Header=BB2_3261 Depth=2
	s_andn2_saveexec_b64 s[18:19], s[88:89]
; %bb.3821:                             ;   in Loop: Header=BB2_3261 Depth=2
	v_or_b32_e32 v30, 0x7e, v4
; %bb.3822:                             ;   in Loop: Header=BB2_3261 Depth=2
	s_or_b64 exec, exec, s[18:19]
                                        ; implicit-def: $vgpr5
.LBB2_3823:                             ;   in Loop: Header=BB2_3261 Depth=2
	s_andn2_saveexec_b64 s[18:19], s[78:79]
; %bb.3824:                             ;   in Loop: Header=BB2_3261 Depth=2
	v_or_b32_sdwa v30, v5, s39 dst_sel:DWORD dst_unused:UNUSED_PAD src0_sel:BYTE_3 src1_sel:DWORD
; %bb.3825:                             ;   in Loop: Header=BB2_3261 Depth=2
	s_or_b64 exec, exec, s[18:19]
	v_lshl_or_b32 v4, v31, 8, v15
	v_lshlrev_b32_e32 v5, 16, v21
	v_lshlrev_b32_e32 v6, 24, v44
	v_or3_b32 v28, v5, v6, v4
	v_cmp_ne_u32_e32 vcc, 0, v15
	v_mov_b32_e32 v5, 0
	s_and_saveexec_b64 s[18:19], vcc
	s_cbranch_execz .LBB2_3831
; %bb.3826:                             ;   in Loop: Header=BB2_3261 Depth=2
	v_cmp_ne_u32_e32 vcc, s50, v15
	v_bfrev_b32_e32 v5, 1
	s_and_saveexec_b64 s[78:79], vcc
	s_cbranch_execz .LBB2_3830
; %bb.3827:                             ;   in Loop: Header=BB2_3261 Depth=2
	v_and_b32_e32 v6, 0x7f, v15
	v_cmp_ne_u32_e32 vcc, s39, v6
	v_mov_b32_e32 v5, 0x7f800001
	s_and_saveexec_b64 s[88:89], vcc
	s_cbranch_execz .LBB2_3829
; %bb.3828:                             ;   in Loop: Header=BB2_3261 Depth=2
	v_and_b32_e32 v5, 7, v15
	v_ffbh_u32_e32 v5, v5
	v_min_u32_e32 v5, 32, v5
	v_lshrrev_b32_e32 v7, 3, v6
	v_cmp_gt_u32_e32 vcc, 8, v6
	v_subrev_u32_e32 v6, 28, v5
	v_sub_u32_e32 v5, 29, v5
	v_cndmask_b32_e32 v7, v7, v5, vcc
	v_cndmask_b32_e32 v5, 0, v6, vcc
	v_lshlrev_b64 v[5:6], v5, v[28:29]
	v_lshlrev_b32_e32 v6, 24, v28
	v_lshlrev_b32_e32 v5, 20, v5
	v_and_b32_e32 v5, 0x700000, v5
	v_and_b32_e32 v6, 0x80000000, v6
	v_lshl_add_u32 v7, v7, 23, v57
	v_or3_b32 v5, v6, v7, v5
.LBB2_3829:                             ;   in Loop: Header=BB2_3261 Depth=2
	s_or_b64 exec, exec, s[88:89]
.LBB2_3830:                             ;   in Loop: Header=BB2_3261 Depth=2
	s_or_b64 exec, exec, s[78:79]
.LBB2_3831:                             ;   in Loop: Header=BB2_3261 Depth=2
	s_or_b64 exec, exec, s[18:19]
	v_cmp_gt_i16_sdwa s[78:79], v12, s39 src0_sel:BYTE_0 src1_sel:DWORD
	s_mov_b64 s[18:19], 0
	s_and_saveexec_b64 s[88:89], s[78:79]
	s_xor_b64 s[78:79], exec, s[88:89]
	s_cbranch_execnz .LBB2_4049
; %bb.3832:                             ;   in Loop: Header=BB2_3261 Depth=2
	s_or_saveexec_b64 s[78:79], s[78:79]
	v_bfrev_b32_e32 v6, 1
	s_xor_b64 exec, exec, s[78:79]
	s_cbranch_execnz .LBB2_4052
.LBB2_3833:                             ;   in Loop: Header=BB2_3261 Depth=2
	s_or_b64 exec, exec, s[78:79]
	s_and_saveexec_b64 s[78:79], s[18:19]
	s_cbranch_execz .LBB2_3835
.LBB2_3834:                             ;   in Loop: Header=BB2_3261 Depth=2
	v_and_b32_e32 v6, 7, v12
	v_ffbh_u32_e32 v6, v6
	v_and_b32_e32 v8, 0x7f, v12
	v_min_u32_e32 v6, 32, v6
	v_bfe_u32 v7, v12, 3, 4
	v_subrev_u32_e32 v9, 28, v6
	v_sub_u32_e32 v6, 29, v6
	v_cmp_gt_u32_e32 vcc, 8, v8
	v_cndmask_b32_e32 v10, v7, v6, vcc
	v_cndmask_b32_e32 v6, 0, v9, vcc
	v_lshlrev_b64 v[6:7], v6, v[12:13]
	v_lshlrev_b32_e32 v7, 24, v12
	v_lshlrev_b32_e32 v6, 20, v6
	v_and_b32_e32 v6, 0x700000, v6
	v_and_b32_e32 v7, 0x80000000, v7
	v_lshl_add_u32 v9, v10, 23, v57
	v_or3_b32 v6, v7, v9, v6
	v_cmp_ne_u32_e32 vcc, s39, v8
	v_cndmask_b32_e32 v6, v56, v6, vcc
.LBB2_3835:                             ;   in Loop: Header=BB2_3261 Depth=2
	s_or_b64 exec, exec, s[78:79]
	v_add_f32_e32 v10, v5, v6
	v_and_b32_e32 v5, 0x7f800000, v10
	v_mov_b32_e32 v6, v29
	v_cmp_ne_u64_e32 vcc, s[46:47], v[5:6]
                                        ; implicit-def: $vgpr15
	s_and_saveexec_b64 s[18:19], vcc
	s_xor_b64 s[78:79], exec, s[18:19]
	s_cbranch_execz .LBB2_3849
; %bb.3836:                             ;   in Loop: Header=BB2_3261 Depth=2
	v_and_b32_e32 v5, 0x7fffffff, v10
	v_mov_b32_e32 v6, v29
	v_cmp_gt_u64_e32 vcc, s[56:57], v[5:6]
	v_and_b32_sdwa v5, v10, s50 dst_sel:DWORD dst_unused:UNUSED_PAD src0_sel:BYTE_3 src1_sel:DWORD
                                        ; implicit-def: $vgpr15
	s_and_saveexec_b64 s[18:19], vcc
	s_xor_b64 s[88:89], exec, s[18:19]
	s_cbranch_execz .LBB2_3846
; %bb.3837:                             ;   in Loop: Header=BB2_3261 Depth=2
	v_mov_b32_e32 v15, 0
	v_cmp_ne_u32_e32 vcc, 0, v10
	s_and_saveexec_b64 s[90:91], vcc
	s_cbranch_execz .LBB2_3845
; %bb.3838:                             ;   in Loop: Header=BB2_3261 Depth=2
	v_bfe_u32 v15, v10, 23, 8
	v_cmp_gt_u32_e64 s[18:19], s51, v15
	v_sub_u32_e32 v6, 0x79, v15
	v_cmp_eq_u32_e32 vcc, 0, v15
	v_cndmask_b32_e64 v6, 0, v6, s[18:19]
	v_cndmask_b32_e32 v6, v6, v58, vcc
	v_and_b32_e32 v7, 0x7fffff, v10
	v_add_u32_e32 v9, 20, v6
	v_or_b32_e32 v8, 0x800000, v7
	v_lshlrev_b64 v[9:10], v9, -1
	v_add_u32_e32 v11, 19, v6
	v_cndmask_b32_e32 v7, v8, v7, vcc
	v_lshlrev_b64 v[21:22], v11, 1
	v_mov_b32_e32 v8, v29
	v_bfi_b32 v10, v10, 0, 0
	v_bfi_b32 v9, v9, 0, v7
	v_cmp_eq_u64_e64 s[18:19], v[9:10], v[21:22]
	v_lshrrev_b64 v[10:11], v6, v[7:8]
	v_mov_b32_e32 v55, v11
	v_mov_b32_e32 v54, v10
	s_and_saveexec_b64 s[92:93], s[18:19]
; %bb.3839:                             ;   in Loop: Header=BB2_3261 Depth=2
	v_bfe_u32 v7, v10, 20, 1
	v_add_co_u32_e64 v7, s[18:19], v10, v7
	v_add_co_u32_e64 v54, s[18:19], -1, v7
; %bb.3840:                             ;   in Loop: Header=BB2_3261 Depth=2
	s_or_b64 exec, exec, s[92:93]
	v_add_u32_e32 v7, 0xffffff81, v15
	v_cndmask_b32_e32 v7, v7, v59, vcc
	v_lshrrev_b32_e32 v8, 23, v10
	v_add3_u32 v8, v6, v7, v8
	v_add_u32_e32 v7, 6, v8
	v_and_b32_e32 v6, 0xfffff, v54
	v_add_u32_e32 v10, v6, v10
	v_mov_b32_e32 v11, v29
	v_cmp_ne_u32_e32 vcc, 0, v7
                                        ; implicit-def: $vgpr6
	s_and_saveexec_b64 s[18:19], vcc
	s_xor_b64 s[18:19], exec, s[18:19]
; %bb.3841:                             ;   in Loop: Header=BB2_3261 Depth=2
	v_cmp_lt_u64_e32 vcc, s[58:59], v[10:11]
	v_add_u32_e32 v6, 7, v8
	v_cndmask_b32_e32 v6, v7, v6, vcc
	v_cndmask_b32_e64 v7, 0, 1, vcc
	v_lshrrev_b64 v[10:11], v7, v[10:11]
; %bb.3842:                             ;   in Loop: Header=BB2_3261 Depth=2
	s_andn2_saveexec_b64 s[18:19], s[18:19]
; %bb.3843:                             ;   in Loop: Header=BB2_3261 Depth=2
	v_bfe_u32 v6, v10, 23, 1
; %bb.3844:                             ;   in Loop: Header=BB2_3261 Depth=2
	s_or_b64 exec, exec, s[18:19]
	v_lshrrev_b64 v[7:8], 20, v[10:11]
	v_cmp_gt_i32_e32 vcc, 16, v6
	v_cndmask_b32_e32 v8, 0, v8, vcc
	v_cndmask_b32_e32 v7, 7, v7, vcc
	v_cmp_eq_u32_e32 vcc, 0, v6
	v_min_i32_e32 v6, 15, v6
	v_cmp_eq_u64_e64 s[18:19], 0, v[7:8]
	v_lshlrev_b32_e32 v6, 3, v6
	v_and_b32_e32 v6, 0xf8, v6
	v_and_or_b32 v6, v7, 7, v6
	s_and_b64 s[18:19], vcc, s[18:19]
	v_cndmask_b32_e64 v6, v6, 0, s[18:19]
	v_or_b32_e32 v15, v6, v5
.LBB2_3845:                             ;   in Loop: Header=BB2_3261 Depth=2
	s_or_b64 exec, exec, s[90:91]
                                        ; implicit-def: $vgpr5
.LBB2_3846:                             ;   in Loop: Header=BB2_3261 Depth=2
	s_andn2_saveexec_b64 s[18:19], s[88:89]
; %bb.3847:                             ;   in Loop: Header=BB2_3261 Depth=2
	v_or_b32_e32 v15, 0x7e, v5
; %bb.3848:                             ;   in Loop: Header=BB2_3261 Depth=2
	s_or_b64 exec, exec, s[18:19]
                                        ; implicit-def: $vgpr10
.LBB2_3849:                             ;   in Loop: Header=BB2_3261 Depth=2
	s_andn2_saveexec_b64 s[18:19], s[78:79]
; %bb.3850:                             ;   in Loop: Header=BB2_3261 Depth=2
	v_or_b32_sdwa v15, v10, s39 dst_sel:DWORD dst_unused:UNUSED_PAD src0_sel:BYTE_3 src1_sel:DWORD
; %bb.3851:                             ;   in Loop: Header=BB2_3261 Depth=2
	s_or_b64 exec, exec, s[18:19]
	v_lshrrev_b16_e32 v10, 8, v4
	v_cmp_ne_u16_e32 vcc, 0, v10
	v_mov_b32_e32 v5, 0
	s_and_saveexec_b64 s[18:19], vcc
	s_cbranch_execz .LBB2_3857
; %bb.3852:                             ;   in Loop: Header=BB2_3261 Depth=2
	v_cmp_ne_u16_e32 vcc, s50, v10
	v_bfrev_b32_e32 v5, 1
	s_and_saveexec_b64 s[78:79], vcc
	s_cbranch_execz .LBB2_3856
; %bb.3853:                             ;   in Loop: Header=BB2_3261 Depth=2
	v_and_b32_e32 v6, 0x7f, v10
	v_cmp_ne_u32_e32 vcc, s39, v6
	v_mov_b32_e32 v5, 0x7f800001
	s_and_saveexec_b64 s[88:89], vcc
	s_cbranch_execz .LBB2_3855
; %bb.3854:                             ;   in Loop: Header=BB2_3261 Depth=2
	v_and_b32_e32 v7, 7, v10
	v_ffbh_u32_e32 v5, v7
	v_min_u32_e32 v9, 32, v5
	v_subrev_u32_e32 v5, 28, v9
	v_lshrrev_b32_e32 v8, 3, v6
	v_cmp_gt_u32_e32 vcc, 8, v6
	v_lshlrev_b64 v[5:6], v5, v[10:11]
	v_sub_u32_e32 v6, 29, v9
	v_and_b32_e32 v5, 7, v5
	v_cndmask_b32_e32 v6, v8, v6, vcc
	v_cndmask_b32_e32 v5, v7, v5, vcc
	v_lshlrev_b32_e32 v4, 16, v4
	v_lshlrev_b32_e32 v5, 20, v5
	v_and_b32_e32 v4, 0x80000000, v4
	v_lshl_add_u32 v6, v6, 23, v57
	v_or3_b32 v5, v4, v6, v5
.LBB2_3855:                             ;   in Loop: Header=BB2_3261 Depth=2
	s_or_b64 exec, exec, s[88:89]
.LBB2_3856:                             ;   in Loop: Header=BB2_3261 Depth=2
	s_or_b64 exec, exec, s[78:79]
.LBB2_3857:                             ;   in Loop: Header=BB2_3261 Depth=2
	s_or_b64 exec, exec, s[18:19]
	v_lshrrev_b16_e32 v10, 8, v12
	v_cmp_lt_i16_e32 vcc, s39, v10
	s_mov_b64 s[18:19], 0
	s_and_saveexec_b64 s[78:79], vcc
	s_xor_b64 s[78:79], exec, s[78:79]
	s_cbranch_execnz .LBB2_4053
; %bb.3858:                             ;   in Loop: Header=BB2_3261 Depth=2
	s_or_saveexec_b64 s[78:79], s[78:79]
	v_bfrev_b32_e32 v4, 1
	s_xor_b64 exec, exec, s[78:79]
	s_cbranch_execnz .LBB2_4056
.LBB2_3859:                             ;   in Loop: Header=BB2_3261 Depth=2
	s_or_b64 exec, exec, s[78:79]
	s_and_saveexec_b64 s[78:79], s[18:19]
	s_cbranch_execz .LBB2_3861
.LBB2_3860:                             ;   in Loop: Header=BB2_3261 Depth=2
	v_and_b32_e32 v4, 7, v10
	v_ffbh_u32_e32 v6, v4
	v_min_u32_e32 v21, 32, v6
	v_mov_b32_e32 v11, v29
	v_subrev_u32_e32 v6, 28, v21
	v_lshlrev_b64 v[6:7], v6, v[10:11]
	v_and_b32_e32 v8, 0x7f, v10
	v_bfe_u32 v9, v10, 3, 4
	v_sub_u32_e32 v7, 29, v21
	v_and_b32_e32 v6, 7, v6
	v_cmp_gt_u32_e32 vcc, 8, v8
	v_cndmask_b32_e32 v7, v9, v7, vcc
	v_cndmask_b32_e32 v4, v4, v6, vcc
	v_lshlrev_b32_e32 v6, 24, v10
	v_lshlrev_b32_e32 v4, 20, v4
	v_and_b32_e32 v6, 0x80000000, v6
	v_lshl_add_u32 v7, v7, 23, v57
	v_or3_b32 v4, v6, v7, v4
	v_cmp_ne_u32_e32 vcc, s39, v8
	v_cndmask_b32_e32 v4, v56, v4, vcc
.LBB2_3861:                             ;   in Loop: Header=BB2_3261 Depth=2
	s_or_b64 exec, exec, s[78:79]
	v_add_f32_e32 v5, v5, v4
	v_and_b32_e32 v6, 0x7f800000, v5
	v_mov_b32_e32 v7, v29
	v_cmp_ne_u64_e32 vcc, s[46:47], v[6:7]
                                        ; implicit-def: $vgpr21
	s_and_saveexec_b64 s[18:19], vcc
	s_xor_b64 s[78:79], exec, s[18:19]
	s_cbranch_execz .LBB2_3875
; %bb.3862:                             ;   in Loop: Header=BB2_3261 Depth=2
	v_and_b32_e32 v6, 0x7fffffff, v5
	v_mov_b32_e32 v7, v29
	v_cmp_gt_u64_e32 vcc, s[56:57], v[6:7]
	v_and_b32_sdwa v4, v5, s50 dst_sel:DWORD dst_unused:UNUSED_PAD src0_sel:BYTE_3 src1_sel:DWORD
                                        ; implicit-def: $vgpr21
	s_and_saveexec_b64 s[18:19], vcc
	s_xor_b64 s[88:89], exec, s[18:19]
	s_cbranch_execz .LBB2_3872
; %bb.3863:                             ;   in Loop: Header=BB2_3261 Depth=2
	v_mov_b32_e32 v21, 0
	v_cmp_ne_u32_e32 vcc, 0, v5
	s_and_saveexec_b64 s[90:91], vcc
	s_cbranch_execz .LBB2_3871
; %bb.3864:                             ;   in Loop: Header=BB2_3261 Depth=2
	v_and_b32_e32 v7, 0x7fffff, v5
	v_bfe_u32 v5, v5, 23, 8
	v_cmp_gt_u32_e64 s[18:19], s51, v5
	v_sub_u32_e32 v6, 0x79, v5
	v_cmp_eq_u32_e32 vcc, 0, v5
	v_cndmask_b32_e64 v6, 0, v6, s[18:19]
	v_cndmask_b32_e32 v6, v6, v58, vcc
	v_add_u32_e32 v9, 20, v6
	v_or_b32_e32 v8, 0x800000, v7
	v_lshlrev_b64 v[9:10], v9, -1
	v_add_u32_e32 v11, 19, v6
	v_cndmask_b32_e32 v7, v8, v7, vcc
	v_lshlrev_b64 v[21:22], v11, 1
	v_mov_b32_e32 v8, v29
	v_bfi_b32 v10, v10, 0, 0
	v_bfi_b32 v9, v9, 0, v7
	v_cmp_eq_u64_e64 s[18:19], v[9:10], v[21:22]
	v_lshrrev_b64 v[10:11], v6, v[7:8]
	v_mov_b32_e32 v55, v11
	v_mov_b32_e32 v54, v10
	s_and_saveexec_b64 s[92:93], s[18:19]
; %bb.3865:                             ;   in Loop: Header=BB2_3261 Depth=2
	v_bfe_u32 v7, v10, 20, 1
	v_add_co_u32_e64 v7, s[18:19], v10, v7
	v_add_co_u32_e64 v54, s[18:19], -1, v7
; %bb.3866:                             ;   in Loop: Header=BB2_3261 Depth=2
	s_or_b64 exec, exec, s[92:93]
	v_add_u32_e32 v5, 0xffffff81, v5
	v_cndmask_b32_e32 v5, v5, v59, vcc
	v_lshrrev_b32_e32 v7, 23, v10
	v_add3_u32 v7, v6, v5, v7
	v_add_u32_e32 v6, 6, v7
	v_and_b32_e32 v5, 0xfffff, v54
	v_add_u32_e32 v10, v5, v10
	v_mov_b32_e32 v11, v29
	v_cmp_ne_u32_e32 vcc, 0, v6
                                        ; implicit-def: $vgpr5
	s_and_saveexec_b64 s[18:19], vcc
	s_xor_b64 s[18:19], exec, s[18:19]
; %bb.3867:                             ;   in Loop: Header=BB2_3261 Depth=2
	v_cmp_lt_u64_e32 vcc, s[58:59], v[10:11]
	v_add_u32_e32 v5, 7, v7
	v_cndmask_b32_e32 v5, v6, v5, vcc
	v_cndmask_b32_e64 v6, 0, 1, vcc
	v_lshrrev_b64 v[10:11], v6, v[10:11]
; %bb.3868:                             ;   in Loop: Header=BB2_3261 Depth=2
	s_andn2_saveexec_b64 s[18:19], s[18:19]
; %bb.3869:                             ;   in Loop: Header=BB2_3261 Depth=2
	v_bfe_u32 v5, v10, 23, 1
; %bb.3870:                             ;   in Loop: Header=BB2_3261 Depth=2
	s_or_b64 exec, exec, s[18:19]
	v_lshrrev_b64 v[6:7], 20, v[10:11]
	v_cmp_gt_i32_e32 vcc, 16, v5
	v_cndmask_b32_e32 v7, 0, v7, vcc
	v_cndmask_b32_e32 v6, 7, v6, vcc
	v_cmp_eq_u32_e32 vcc, 0, v5
	v_min_i32_e32 v5, 15, v5
	v_cmp_eq_u64_e64 s[18:19], 0, v[6:7]
	v_lshlrev_b32_e32 v5, 3, v5
	v_and_b32_e32 v5, 0xf8, v5
	v_and_or_b32 v5, v6, 7, v5
	s_and_b64 s[18:19], vcc, s[18:19]
	v_cndmask_b32_e64 v5, v5, 0, s[18:19]
	v_or_b32_e32 v21, v5, v4
.LBB2_3871:                             ;   in Loop: Header=BB2_3261 Depth=2
	s_or_b64 exec, exec, s[90:91]
                                        ; implicit-def: $vgpr4
.LBB2_3872:                             ;   in Loop: Header=BB2_3261 Depth=2
	s_andn2_saveexec_b64 s[18:19], s[88:89]
; %bb.3873:                             ;   in Loop: Header=BB2_3261 Depth=2
	v_or_b32_e32 v21, 0x7e, v4
; %bb.3874:                             ;   in Loop: Header=BB2_3261 Depth=2
	s_or_b64 exec, exec, s[18:19]
                                        ; implicit-def: $vgpr5
.LBB2_3875:                             ;   in Loop: Header=BB2_3261 Depth=2
	s_andn2_saveexec_b64 s[18:19], s[78:79]
; %bb.3876:                             ;   in Loop: Header=BB2_3261 Depth=2
	v_or_b32_sdwa v21, v5, s39 dst_sel:DWORD dst_unused:UNUSED_PAD src0_sel:BYTE_3 src1_sel:DWORD
; %bb.3877:                             ;   in Loop: Header=BB2_3261 Depth=2
	s_or_b64 exec, exec, s[18:19]
	v_lshrrev_b32_e32 v10, 16, v28
	v_cmp_ne_u16_sdwa s[78:79], v10, v29 src0_sel:BYTE_0 src1_sel:DWORD
	v_mov_b32_e32 v4, 0
	s_and_saveexec_b64 s[18:19], s[78:79]
	s_cbranch_execz .LBB2_3883
; %bb.3878:                             ;   in Loop: Header=BB2_3261 Depth=2
	v_cmp_ne_u16_sdwa s[88:89], v10, s50 src0_sel:BYTE_0 src1_sel:DWORD
	v_bfrev_b32_e32 v4, 1
	s_and_saveexec_b64 s[78:79], s[88:89]
	s_cbranch_execz .LBB2_3882
; %bb.3879:                             ;   in Loop: Header=BB2_3261 Depth=2
	v_bfe_u32 v5, v28, 16, 7
	v_cmp_ne_u32_e32 vcc, s39, v5
	v_mov_b32_e32 v4, 0x7f800001
	s_and_saveexec_b64 s[88:89], vcc
	s_cbranch_execz .LBB2_3881
; %bb.3880:                             ;   in Loop: Header=BB2_3261 Depth=2
	v_and_b32_e32 v6, 7, v10
	v_ffbh_u32_e32 v4, v6
	v_min_u32_e32 v8, 32, v4
	v_subrev_u32_e32 v4, 28, v8
	v_lshrrev_b32_e32 v7, 3, v5
	v_cmp_gt_u32_e32 vcc, 8, v5
	v_lshlrev_b64 v[4:5], v4, v[10:11]
	v_sub_u32_e32 v5, 29, v8
	v_and_b32_e32 v4, 7, v4
	v_cndmask_b32_e32 v5, v7, v5, vcc
	v_cndmask_b32_e32 v4, v6, v4, vcc
	v_lshlrev_b32_e32 v6, 24, v10
	v_lshlrev_b32_e32 v4, 20, v4
	v_and_b32_e32 v6, 0x80000000, v6
	v_lshl_add_u32 v5, v5, 23, v57
	v_or3_b32 v4, v6, v5, v4
.LBB2_3881:                             ;   in Loop: Header=BB2_3261 Depth=2
	s_or_b64 exec, exec, s[88:89]
.LBB2_3882:                             ;   in Loop: Header=BB2_3261 Depth=2
	s_or_b64 exec, exec, s[78:79]
.LBB2_3883:                             ;   in Loop: Header=BB2_3261 Depth=2
	s_or_b64 exec, exec, s[18:19]
	v_lshrrev_b32_e32 v10, 16, v12
	v_cmp_gt_i16_sdwa s[78:79], v10, s39 src0_sel:BYTE_0 src1_sel:DWORD
	s_mov_b64 s[18:19], 0
	s_and_saveexec_b64 s[88:89], s[78:79]
	s_xor_b64 s[78:79], exec, s[88:89]
	s_cbranch_execnz .LBB2_4057
; %bb.3884:                             ;   in Loop: Header=BB2_3261 Depth=2
	s_or_saveexec_b64 s[78:79], s[78:79]
	v_bfrev_b32_e32 v5, 1
	s_xor_b64 exec, exec, s[78:79]
	s_cbranch_execnz .LBB2_4060
.LBB2_3885:                             ;   in Loop: Header=BB2_3261 Depth=2
	s_or_b64 exec, exec, s[78:79]
	s_and_saveexec_b64 s[78:79], s[18:19]
	s_cbranch_execz .LBB2_3887
.LBB2_3886:                             ;   in Loop: Header=BB2_3261 Depth=2
	v_and_b32_e32 v7, 7, v10
	v_ffbh_u32_e32 v5, v7
	v_min_u32_e32 v11, 32, v5
	v_subrev_u32_e32 v5, 28, v11
	v_lshlrev_b64 v[5:6], v5, v[10:11]
	v_and_b32_e32 v8, 0x7f, v10
	v_bfe_u32 v9, v10, 3, 4
	v_sub_u32_e32 v6, 29, v11
	v_and_b32_e32 v5, 7, v5
	v_cmp_gt_u32_e32 vcc, 8, v8
	v_cndmask_b32_e32 v6, v9, v6, vcc
	v_cndmask_b32_e32 v5, v7, v5, vcc
	v_lshlrev_b32_e32 v7, 24, v10
	v_lshlrev_b32_e32 v5, 20, v5
	v_and_b32_e32 v7, 0x80000000, v7
	v_lshl_add_u32 v6, v6, 23, v57
	v_or3_b32 v5, v7, v6, v5
	v_cmp_ne_u32_e32 vcc, s39, v8
	v_cndmask_b32_e32 v5, v56, v5, vcc
.LBB2_3887:                             ;   in Loop: Header=BB2_3261 Depth=2
	s_or_b64 exec, exec, s[78:79]
	v_add_f32_e32 v5, v4, v5
	v_and_b32_e32 v6, 0x7f800000, v5
	v_mov_b32_e32 v7, v29
	v_cmp_ne_u64_e32 vcc, s[46:47], v[6:7]
                                        ; implicit-def: $vgpr26
	s_and_saveexec_b64 s[18:19], vcc
	s_xor_b64 s[78:79], exec, s[18:19]
	s_cbranch_execz .LBB2_3901
; %bb.3888:                             ;   in Loop: Header=BB2_3261 Depth=2
	v_and_b32_e32 v6, 0x7fffffff, v5
	v_mov_b32_e32 v7, v29
	v_cmp_gt_u64_e32 vcc, s[56:57], v[6:7]
	v_and_b32_sdwa v4, v5, s50 dst_sel:DWORD dst_unused:UNUSED_PAD src0_sel:BYTE_3 src1_sel:DWORD
                                        ; implicit-def: $vgpr26
	s_and_saveexec_b64 s[18:19], vcc
	s_xor_b64 s[88:89], exec, s[18:19]
	s_cbranch_execz .LBB2_3898
; %bb.3889:                             ;   in Loop: Header=BB2_3261 Depth=2
	v_mov_b32_e32 v26, 0
	v_cmp_ne_u32_e32 vcc, 0, v5
	s_and_saveexec_b64 s[90:91], vcc
	s_cbranch_execz .LBB2_3897
; %bb.3890:                             ;   in Loop: Header=BB2_3261 Depth=2
	v_and_b32_e32 v7, 0x7fffff, v5
	v_bfe_u32 v5, v5, 23, 8
	v_cmp_gt_u32_e64 s[18:19], s51, v5
	v_sub_u32_e32 v6, 0x79, v5
	v_cmp_eq_u32_e32 vcc, 0, v5
	v_cndmask_b32_e64 v6, 0, v6, s[18:19]
	v_cndmask_b32_e32 v6, v6, v58, vcc
	v_add_u32_e32 v9, 20, v6
	v_or_b32_e32 v8, 0x800000, v7
	v_lshlrev_b64 v[9:10], v9, -1
	v_add_u32_e32 v11, 19, v6
	v_cndmask_b32_e32 v7, v8, v7, vcc
	v_lshlrev_b64 v[22:23], v11, 1
	v_mov_b32_e32 v8, v29
	v_bfi_b32 v10, v10, 0, 0
	v_bfi_b32 v9, v9, 0, v7
	v_cmp_eq_u64_e64 s[18:19], v[9:10], v[22:23]
	v_lshrrev_b64 v[10:11], v6, v[7:8]
	v_mov_b32_e32 v55, v11
	v_mov_b32_e32 v54, v10
	s_and_saveexec_b64 s[92:93], s[18:19]
; %bb.3891:                             ;   in Loop: Header=BB2_3261 Depth=2
	v_bfe_u32 v7, v10, 20, 1
	v_add_co_u32_e64 v7, s[18:19], v10, v7
	v_add_co_u32_e64 v54, s[18:19], -1, v7
; %bb.3892:                             ;   in Loop: Header=BB2_3261 Depth=2
	s_or_b64 exec, exec, s[92:93]
	v_add_u32_e32 v5, 0xffffff81, v5
	v_cndmask_b32_e32 v5, v5, v59, vcc
	v_lshrrev_b32_e32 v7, 23, v10
	v_add3_u32 v7, v6, v5, v7
	v_add_u32_e32 v6, 6, v7
	v_and_b32_e32 v5, 0xfffff, v54
	v_add_u32_e32 v10, v5, v10
	v_mov_b32_e32 v11, v29
	v_cmp_ne_u32_e32 vcc, 0, v6
                                        ; implicit-def: $vgpr5
	s_and_saveexec_b64 s[18:19], vcc
	s_xor_b64 s[18:19], exec, s[18:19]
; %bb.3893:                             ;   in Loop: Header=BB2_3261 Depth=2
	v_cmp_lt_u64_e32 vcc, s[58:59], v[10:11]
	v_add_u32_e32 v5, 7, v7
	v_cndmask_b32_e32 v5, v6, v5, vcc
	v_cndmask_b32_e64 v6, 0, 1, vcc
	v_lshrrev_b64 v[10:11], v6, v[10:11]
; %bb.3894:                             ;   in Loop: Header=BB2_3261 Depth=2
	s_andn2_saveexec_b64 s[18:19], s[18:19]
; %bb.3895:                             ;   in Loop: Header=BB2_3261 Depth=2
	v_bfe_u32 v5, v10, 23, 1
; %bb.3896:                             ;   in Loop: Header=BB2_3261 Depth=2
	s_or_b64 exec, exec, s[18:19]
	v_lshrrev_b64 v[6:7], 20, v[10:11]
	v_cmp_gt_i32_e32 vcc, 16, v5
	v_cndmask_b32_e32 v7, 0, v7, vcc
	v_cndmask_b32_e32 v6, 7, v6, vcc
	v_cmp_eq_u32_e32 vcc, 0, v5
	v_min_i32_e32 v5, 15, v5
	v_cmp_eq_u64_e64 s[18:19], 0, v[6:7]
	v_lshlrev_b32_e32 v5, 3, v5
	v_and_b32_e32 v5, 0xf8, v5
	v_and_or_b32 v5, v6, 7, v5
	s_and_b64 s[18:19], vcc, s[18:19]
	v_cndmask_b32_e64 v5, v5, 0, s[18:19]
	v_or_b32_e32 v26, v5, v4
.LBB2_3897:                             ;   in Loop: Header=BB2_3261 Depth=2
	s_or_b64 exec, exec, s[90:91]
                                        ; implicit-def: $vgpr4
.LBB2_3898:                             ;   in Loop: Header=BB2_3261 Depth=2
	s_andn2_saveexec_b64 s[18:19], s[88:89]
; %bb.3899:                             ;   in Loop: Header=BB2_3261 Depth=2
	v_or_b32_e32 v26, 0x7e, v4
; %bb.3900:                             ;   in Loop: Header=BB2_3261 Depth=2
	s_or_b64 exec, exec, s[18:19]
                                        ; implicit-def: $vgpr5
.LBB2_3901:                             ;   in Loop: Header=BB2_3261 Depth=2
	s_andn2_saveexec_b64 s[18:19], s[78:79]
; %bb.3902:                             ;   in Loop: Header=BB2_3261 Depth=2
	v_or_b32_sdwa v26, v5, s39 dst_sel:DWORD dst_unused:UNUSED_PAD src0_sel:BYTE_3 src1_sel:DWORD
; %bb.3903:                             ;   in Loop: Header=BB2_3261 Depth=2
	s_or_b64 exec, exec, s[18:19]
	v_cmp_lt_u32_e32 vcc, s61, v28
	v_mov_b32_e32 v4, 0
	s_and_saveexec_b64 s[18:19], vcc
	s_cbranch_execz .LBB2_3909
; %bb.3904:                             ;   in Loop: Header=BB2_3261 Depth=2
	v_lshrrev_b32_e32 v10, 24, v28
	v_cmp_ne_u32_sdwa s[88:89], v28, s50 src0_sel:BYTE_3 src1_sel:DWORD
	v_bfrev_b32_e32 v4, 1
	s_and_saveexec_b64 s[78:79], s[88:89]
	s_cbranch_execz .LBB2_3908
; %bb.3905:                             ;   in Loop: Header=BB2_3261 Depth=2
	v_bfe_u32 v5, v28, 24, 7
	v_cmp_ne_u32_e32 vcc, s39, v5
	v_mov_b32_e32 v4, 0x7f800001
	s_and_saveexec_b64 s[88:89], vcc
	s_cbranch_execz .LBB2_3907
; %bb.3906:                             ;   in Loop: Header=BB2_3261 Depth=2
	v_and_b32_e32 v6, 7, v10
	v_ffbh_u32_e32 v4, v6
	v_min_u32_e32 v8, 32, v4
	v_subrev_u32_e32 v4, 28, v8
	v_lshrrev_b32_e32 v7, 3, v5
	v_cmp_gt_u32_e32 vcc, 8, v5
	v_lshlrev_b64 v[4:5], v4, v[10:11]
	v_sub_u32_e32 v5, 29, v8
	v_and_b32_e32 v4, 7, v4
	v_cndmask_b32_e32 v4, v6, v4, vcc
	v_mov_b32_e32 v6, 24
	v_cndmask_b32_e32 v5, v7, v5, vcc
	v_lshlrev_b32_sdwa v6, v6, v28 dst_sel:DWORD dst_unused:UNUSED_PAD src0_sel:DWORD src1_sel:BYTE_3
	v_lshlrev_b32_e32 v4, 20, v4
	v_and_b32_e32 v6, 0x80000000, v6
	v_lshl_add_u32 v5, v5, 23, v57
	v_or3_b32 v4, v6, v5, v4
.LBB2_3907:                             ;   in Loop: Header=BB2_3261 Depth=2
	s_or_b64 exec, exec, s[88:89]
.LBB2_3908:                             ;   in Loop: Header=BB2_3261 Depth=2
	s_or_b64 exec, exec, s[78:79]
.LBB2_3909:                             ;   in Loop: Header=BB2_3261 Depth=2
	s_or_b64 exec, exec, s[18:19]
	v_bfe_u32 v8, v12, 24, 3
	v_ffbh_u32_e32 v6, v8
	v_min_u32_e32 v11, 32, v6
	v_lshrrev_b32_e32 v5, 24, v12
	v_subrev_u32_e32 v6, 28, v11
	v_lshlrev_b64 v[6:7], v6, v[5:6]
	v_bfe_u32 v9, v12, 24, 7
	v_bfe_u32 v10, v5, 3, 4
	v_sub_u32_e32 v7, 29, v11
	v_and_b32_e32 v6, 7, v6
	v_cmp_gt_u32_e32 vcc, 8, v9
	v_cndmask_b32_e32 v7, v10, v7, vcc
	v_cndmask_b32_e32 v6, v8, v6, vcc
	v_lshlrev_b32_e32 v6, 20, v6
	v_and_b32_e32 v8, 0x80000000, v12
	v_lshl_add_u32 v7, v7, 23, v57
	v_or3_b32 v6, v8, v7, v6
	v_cmp_ne_u32_e32 vcc, s39, v9
	v_cndmask_b32_e32 v6, v56, v6, vcc
	v_cmp_ne_u32_e32 vcc, s50, v5
	v_cndmask_b32_e32 v5, v61, v6, vcc
	v_cmp_lt_u32_e32 vcc, s61, v12
	v_cndmask_b32_e32 v5, 0, v5, vcc
	v_add_f32_e32 v10, v5, v4
	v_and_b32_e32 v28, 0x7f800000, v10
	v_cmp_ne_u64_e32 vcc, s[46:47], v[28:29]
                                        ; implicit-def: $vgpr4
	s_and_saveexec_b64 s[18:19], vcc
	s_xor_b64 s[78:79], exec, s[18:19]
	s_cbranch_execz .LBB2_3923
; %bb.3910:                             ;   in Loop: Header=BB2_3261 Depth=2
	v_and_b32_e32 v28, 0x7fffffff, v10
	v_cmp_gt_u64_e32 vcc, s[56:57], v[28:29]
	v_and_b32_sdwa v5, v10, s50 dst_sel:DWORD dst_unused:UNUSED_PAD src0_sel:BYTE_3 src1_sel:DWORD
                                        ; implicit-def: $vgpr4
	s_and_saveexec_b64 s[18:19], vcc
	s_xor_b64 s[88:89], exec, s[18:19]
	s_cbranch_execz .LBB2_3920
; %bb.3911:                             ;   in Loop: Header=BB2_3261 Depth=2
	v_mov_b32_e32 v4, 0
	v_cmp_ne_u32_e32 vcc, 0, v10
	s_and_saveexec_b64 s[90:91], vcc
	s_cbranch_execz .LBB2_3919
; %bb.3912:                             ;   in Loop: Header=BB2_3261 Depth=2
	v_bfe_u32 v4, v10, 23, 8
	v_cmp_gt_u32_e64 s[18:19], s51, v4
	v_sub_u32_e32 v6, 0x79, v4
	v_and_b32_e32 v7, 0x7fffff, v10
	v_cmp_eq_u32_e32 vcc, 0, v4
	v_cndmask_b32_e64 v6, 0, v6, s[18:19]
	v_or_b32_e32 v8, 0x800000, v7
	v_cndmask_b32_e32 v6, v6, v58, vcc
	v_cndmask_b32_e32 v28, v8, v7, vcc
	v_add_u32_e32 v7, 20, v6
	v_lshlrev_b64 v[7:8], v7, -1
	v_add_u32_e32 v9, 19, v6
	v_lshlrev_b64 v[9:10], v9, 1
	v_bfi_b32 v8, v8, 0, 0
	v_bfi_b32 v7, v7, 0, v28
	v_cmp_eq_u64_e64 s[18:19], v[7:8], v[9:10]
	v_lshrrev_b64 v[10:11], v6, v[28:29]
	v_mov_b32_e32 v55, v11
	v_mov_b32_e32 v54, v10
	s_and_saveexec_b64 s[92:93], s[18:19]
; %bb.3913:                             ;   in Loop: Header=BB2_3261 Depth=2
	v_bfe_u32 v7, v10, 20, 1
	v_add_co_u32_e64 v7, s[18:19], v10, v7
	v_add_co_u32_e64 v54, s[18:19], -1, v7
; %bb.3914:                             ;   in Loop: Header=BB2_3261 Depth=2
	s_or_b64 exec, exec, s[92:93]
	v_add_u32_e32 v4, 0xffffff81, v4
	v_cndmask_b32_e32 v4, v4, v59, vcc
	v_lshrrev_b32_e32 v7, 23, v10
	v_add3_u32 v7, v6, v4, v7
	v_add_u32_e32 v6, 6, v7
	v_and_b32_e32 v4, 0xfffff, v54
	v_add_u32_e32 v28, v4, v10
	v_cmp_ne_u32_e32 vcc, 0, v6
                                        ; implicit-def: $vgpr10_vgpr11
                                        ; implicit-def: $vgpr4
	s_and_saveexec_b64 s[18:19], vcc
	s_xor_b64 s[18:19], exec, s[18:19]
; %bb.3915:                             ;   in Loop: Header=BB2_3261 Depth=2
	v_cmp_lt_u64_e32 vcc, s[58:59], v[28:29]
	v_add_u32_e32 v4, 7, v7
	v_cndmask_b32_e32 v4, v6, v4, vcc
	v_cndmask_b32_e64 v6, 0, 1, vcc
	v_lshrrev_b64 v[10:11], v6, v[28:29]
; %bb.3916:                             ;   in Loop: Header=BB2_3261 Depth=2
	s_andn2_saveexec_b64 s[18:19], s[18:19]
; %bb.3917:                             ;   in Loop: Header=BB2_3261 Depth=2
	v_mov_b32_e32 v10, v28
	v_bfe_u32 v4, v28, 23, 1
	v_mov_b32_e32 v11, v29
; %bb.3918:                             ;   in Loop: Header=BB2_3261 Depth=2
	s_or_b64 exec, exec, s[18:19]
	v_lshrrev_b64 v[6:7], 20, v[10:11]
	v_cmp_gt_i32_e32 vcc, 16, v4
	v_cndmask_b32_e32 v7, 0, v7, vcc
	v_cndmask_b32_e32 v6, 7, v6, vcc
	v_cmp_eq_u32_e32 vcc, 0, v4
	v_min_i32_e32 v4, 15, v4
	v_cmp_eq_u64_e64 s[18:19], 0, v[6:7]
	v_lshlrev_b32_e32 v4, 3, v4
	v_and_b32_e32 v4, 0xf8, v4
	v_and_or_b32 v4, v6, 7, v4
	s_and_b64 s[18:19], vcc, s[18:19]
	v_cndmask_b32_e64 v4, v4, 0, s[18:19]
	v_or_b32_e32 v4, v4, v5
.LBB2_3919:                             ;   in Loop: Header=BB2_3261 Depth=2
	s_or_b64 exec, exec, s[90:91]
                                        ; implicit-def: $vgpr5
.LBB2_3920:                             ;   in Loop: Header=BB2_3261 Depth=2
	s_andn2_saveexec_b64 s[18:19], s[88:89]
; %bb.3921:                             ;   in Loop: Header=BB2_3261 Depth=2
	v_or_b32_e32 v4, 0x7e, v5
; %bb.3922:                             ;   in Loop: Header=BB2_3261 Depth=2
	s_or_b64 exec, exec, s[18:19]
                                        ; implicit-def: $vgpr10
.LBB2_3923:                             ;   in Loop: Header=BB2_3261 Depth=2
	s_andn2_saveexec_b64 s[18:19], s[78:79]
; %bb.3924:                             ;   in Loop: Header=BB2_3261 Depth=2
	v_or_b32_sdwa v4, v10, s39 dst_sel:DWORD dst_unused:UNUSED_PAD src0_sel:BYTE_3 src1_sel:DWORD
; %bb.3925:                             ;   in Loop: Header=BB2_3261 Depth=2
	s_or_b64 exec, exec, s[18:19]
	v_lshlrev_b32_e32 v5, 24, v20
	v_lshlrev_b32_e32 v6, 16, v3
	v_lshl_or_b32 v3, v60, 8, v1
	v_or3_b32 v28, v6, v5, v3
	v_cmp_ne_u32_e32 vcc, 0, v1
	v_mov_b32_e32 v5, 0
	s_and_saveexec_b64 s[18:19], vcc
	s_cbranch_execz .LBB2_3931
; %bb.3926:                             ;   in Loop: Header=BB2_3261 Depth=2
	v_cmp_ne_u32_e32 vcc, s50, v1
	v_bfrev_b32_e32 v5, 1
	s_and_saveexec_b64 s[78:79], vcc
	s_cbranch_execz .LBB2_3930
; %bb.3927:                             ;   in Loop: Header=BB2_3261 Depth=2
	v_and_b32_e32 v6, 0x7f, v1
	v_cmp_ne_u32_e32 vcc, s39, v6
	v_mov_b32_e32 v5, 0x7f800001
	s_and_saveexec_b64 s[88:89], vcc
	s_cbranch_execz .LBB2_3929
; %bb.3928:                             ;   in Loop: Header=BB2_3261 Depth=2
	v_and_b32_e32 v1, 7, v1
	v_ffbh_u32_e32 v1, v1
	v_min_u32_e32 v1, 32, v1
	v_lshrrev_b32_e32 v5, 3, v6
	v_cmp_gt_u32_e32 vcc, 8, v6
	v_subrev_u32_e32 v6, 28, v1
	v_sub_u32_e32 v1, 29, v1
	v_cndmask_b32_e32 v1, v5, v1, vcc
	v_cndmask_b32_e32 v5, 0, v6, vcc
	v_lshlrev_b64 v[5:6], v5, v[28:29]
	v_lshlrev_b32_e32 v6, 24, v28
	v_lshlrev_b32_e32 v5, 20, v5
	v_and_b32_e32 v5, 0x700000, v5
	v_and_b32_e32 v6, 0x80000000, v6
	v_lshl_add_u32 v1, v1, 23, v57
	v_or3_b32 v5, v6, v1, v5
.LBB2_3929:                             ;   in Loop: Header=BB2_3261 Depth=2
	s_or_b64 exec, exec, s[88:89]
.LBB2_3930:                             ;   in Loop: Header=BB2_3261 Depth=2
	s_or_b64 exec, exec, s[78:79]
.LBB2_3931:                             ;   in Loop: Header=BB2_3261 Depth=2
	s_or_b64 exec, exec, s[18:19]
	v_cmp_gt_i16_sdwa s[78:79], v13, s39 src0_sel:BYTE_0 src1_sel:DWORD
	s_mov_b64 s[18:19], 0
	s_and_saveexec_b64 s[88:89], s[78:79]
	s_xor_b64 s[78:79], exec, s[88:89]
	s_cbranch_execz .LBB2_3935
; %bb.3932:                             ;   in Loop: Header=BB2_3261 Depth=2
	v_cmp_eq_u16_sdwa s[90:91], v13, s50 src0_sel:BYTE_0 src1_sel:DWORD
	s_mov_b64 s[18:19], -1
	s_and_saveexec_b64 s[88:89], s[90:91]
; %bb.3933:                             ;   in Loop: Header=BB2_3261 Depth=2
	s_xor_b64 s[18:19], exec, -1
; %bb.3934:                             ;   in Loop: Header=BB2_3261 Depth=2
	s_or_b64 exec, exec, s[88:89]
	s_and_b64 s[18:19], s[18:19], exec
.LBB2_3935:                             ;   in Loop: Header=BB2_3261 Depth=2
	s_or_saveexec_b64 s[78:79], s[78:79]
	v_bfrev_b32_e32 v1, 1
	s_xor_b64 exec, exec, s[78:79]
; %bb.3936:                             ;   in Loop: Header=BB2_3261 Depth=2
	v_cmp_ne_u16_sdwa s[88:89], v13, v29 src0_sel:BYTE_0 src1_sel:DWORD
	s_andn2_b64 s[18:19], s[18:19], exec
	s_and_b64 s[88:89], s[88:89], exec
	v_mov_b32_e32 v1, 0
	s_or_b64 s[18:19], s[18:19], s[88:89]
; %bb.3937:                             ;   in Loop: Header=BB2_3261 Depth=2
	s_or_b64 exec, exec, s[78:79]
	v_mov_b32_e32 v10, v13
	v_mov_b32_e32 v11, v29
	s_and_saveexec_b64 s[78:79], s[18:19]
	s_cbranch_execz .LBB2_3939
; %bb.3938:                             ;   in Loop: Header=BB2_3261 Depth=2
	v_and_b32_e32 v1, 7, v13
	v_ffbh_u32_e32 v1, v1
	v_and_b32_e32 v8, 0x7f, v13
	v_min_u32_e32 v1, 32, v1
	v_bfe_u32 v6, v13, 3, 4
	v_subrev_u32_e32 v7, 28, v1
	v_sub_u32_e32 v1, 29, v1
	v_cmp_gt_u32_e32 vcc, 8, v8
	v_cndmask_b32_e32 v1, v6, v1, vcc
	v_cndmask_b32_e32 v6, 0, v7, vcc
	v_lshlrev_b64 v[6:7], v6, v[10:11]
	v_lshlrev_b32_e32 v7, 24, v10
	v_lshlrev_b32_e32 v6, 20, v6
	v_and_b32_e32 v6, 0x700000, v6
	v_and_b32_e32 v7, 0x80000000, v7
	v_lshl_add_u32 v1, v1, 23, v57
	v_or3_b32 v1, v7, v1, v6
	v_cmp_ne_u32_e32 vcc, s39, v8
	v_cndmask_b32_e32 v1, v56, v1, vcc
.LBB2_3939:                             ;   in Loop: Header=BB2_3261 Depth=2
	s_or_b64 exec, exec, s[78:79]
	v_add_f32_e32 v11, v5, v1
	v_and_b32_e32 v5, 0x7f800000, v11
	v_mov_b32_e32 v6, v29
	v_cmp_ne_u64_e32 vcc, s[46:47], v[5:6]
                                        ; implicit-def: $vgpr1
	s_and_saveexec_b64 s[18:19], vcc
	s_xor_b64 s[78:79], exec, s[18:19]
	s_cbranch_execz .LBB2_3953
; %bb.3940:                             ;   in Loop: Header=BB2_3261 Depth=2
	v_and_b32_e32 v5, 0x7fffffff, v11
	v_mov_b32_e32 v6, v29
	v_cmp_gt_u64_e32 vcc, s[56:57], v[5:6]
	v_and_b32_sdwa v5, v11, s50 dst_sel:DWORD dst_unused:UNUSED_PAD src0_sel:BYTE_3 src1_sel:DWORD
                                        ; implicit-def: $vgpr1
	s_and_saveexec_b64 s[18:19], vcc
	s_xor_b64 s[88:89], exec, s[18:19]
	s_cbranch_execz .LBB2_3950
; %bb.3941:                             ;   in Loop: Header=BB2_3261 Depth=2
	v_mov_b32_e32 v1, 0
	v_cmp_ne_u32_e32 vcc, 0, v11
	s_and_saveexec_b64 s[90:91], vcc
	s_cbranch_execz .LBB2_3949
; %bb.3942:                             ;   in Loop: Header=BB2_3261 Depth=2
	v_bfe_u32 v1, v11, 23, 8
	v_cmp_gt_u32_e64 s[18:19], s51, v1
	v_sub_u32_e32 v6, 0x79, v1
	v_cmp_eq_u32_e32 vcc, 0, v1
	v_cndmask_b32_e64 v6, 0, v6, s[18:19]
	v_cndmask_b32_e32 v6, v6, v58, vcc
	v_and_b32_e32 v7, 0x7fffff, v11
	v_add_u32_e32 v9, 20, v6
	v_or_b32_e32 v8, 0x800000, v7
	v_lshlrev_b64 v[22:23], v9, -1
	v_add_u32_e32 v9, 19, v6
	v_cndmask_b32_e32 v7, v8, v7, vcc
	v_lshlrev_b64 v[54:55], v9, 1
	v_mov_b32_e32 v8, v29
	v_bfi_b32 v23, v23, 0, 0
	v_bfi_b32 v22, v22, 0, v7
	v_cmp_eq_u64_e64 s[18:19], v[22:23], v[54:55]
	v_lshrrev_b64 v[54:55], v6, v[7:8]
	v_mov_b32_e32 v39, v54
	v_mov_b32_e32 v40, v55
	s_and_saveexec_b64 s[92:93], s[18:19]
; %bb.3943:                             ;   in Loop: Header=BB2_3261 Depth=2
	v_bfe_u32 v7, v54, 20, 1
	v_add_co_u32_e64 v7, s[18:19], v54, v7
	v_add_co_u32_e64 v39, s[18:19], -1, v7
; %bb.3944:                             ;   in Loop: Header=BB2_3261 Depth=2
	s_or_b64 exec, exec, s[92:93]
	v_add_u32_e32 v1, 0xffffff81, v1
	v_cndmask_b32_e32 v1, v1, v59, vcc
	v_lshrrev_b32_e32 v7, 23, v54
	v_add3_u32 v7, v6, v1, v7
	v_add_u32_e32 v6, 6, v7
	v_and_b32_e32 v1, 0xfffff, v39
	v_add_u32_e32 v54, v1, v54
	v_mov_b32_e32 v55, v29
	v_cmp_ne_u32_e32 vcc, 0, v6
                                        ; implicit-def: $vgpr1
	s_and_saveexec_b64 s[18:19], vcc
	s_xor_b64 s[18:19], exec, s[18:19]
; %bb.3945:                             ;   in Loop: Header=BB2_3261 Depth=2
	v_cmp_lt_u64_e32 vcc, s[58:59], v[54:55]
	v_add_u32_e32 v1, 7, v7
	v_cndmask_b32_e32 v1, v6, v1, vcc
	v_cndmask_b32_e64 v6, 0, 1, vcc
	v_lshrrev_b64 v[54:55], v6, v[54:55]
; %bb.3946:                             ;   in Loop: Header=BB2_3261 Depth=2
	s_andn2_saveexec_b64 s[18:19], s[18:19]
; %bb.3947:                             ;   in Loop: Header=BB2_3261 Depth=2
	v_bfe_u32 v1, v54, 23, 1
; %bb.3948:                             ;   in Loop: Header=BB2_3261 Depth=2
	s_or_b64 exec, exec, s[18:19]
	v_lshrrev_b64 v[6:7], 20, v[54:55]
	v_cmp_gt_i32_e32 vcc, 16, v1
	v_cndmask_b32_e32 v7, 0, v7, vcc
	v_cndmask_b32_e32 v6, 7, v6, vcc
	v_cmp_eq_u32_e32 vcc, 0, v1
	v_min_i32_e32 v1, 15, v1
	v_cmp_eq_u64_e64 s[18:19], 0, v[6:7]
	v_lshlrev_b32_e32 v1, 3, v1
	v_and_b32_e32 v1, 0xf8, v1
	v_and_or_b32 v1, v6, 7, v1
	s_and_b64 s[18:19], vcc, s[18:19]
	v_cndmask_b32_e64 v1, v1, 0, s[18:19]
	v_or_b32_e32 v1, v1, v5
.LBB2_3949:                             ;   in Loop: Header=BB2_3261 Depth=2
	s_or_b64 exec, exec, s[90:91]
                                        ; implicit-def: $vgpr5
.LBB2_3950:                             ;   in Loop: Header=BB2_3261 Depth=2
	s_andn2_saveexec_b64 s[18:19], s[88:89]
; %bb.3951:                             ;   in Loop: Header=BB2_3261 Depth=2
	v_or_b32_e32 v1, 0x7e, v5
; %bb.3952:                             ;   in Loop: Header=BB2_3261 Depth=2
	s_or_b64 exec, exec, s[18:19]
                                        ; implicit-def: $vgpr11
.LBB2_3953:                             ;   in Loop: Header=BB2_3261 Depth=2
	s_andn2_saveexec_b64 s[18:19], s[78:79]
; %bb.3954:                             ;   in Loop: Header=BB2_3261 Depth=2
	v_or_b32_sdwa v1, v11, s39 dst_sel:DWORD dst_unused:UNUSED_PAD src0_sel:BYTE_3 src1_sel:DWORD
; %bb.3955:                             ;   in Loop: Header=BB2_3261 Depth=2
	s_or_b64 exec, exec, s[18:19]
	v_lshrrev_b16_e32 v11, 8, v3
	v_cmp_ne_u16_e32 vcc, 0, v11
	v_mov_b32_e32 v5, 0
	s_and_saveexec_b64 s[18:19], vcc
	s_cbranch_execz .LBB2_3961
; %bb.3956:                             ;   in Loop: Header=BB2_3261 Depth=2
	v_cmp_ne_u16_e32 vcc, s50, v11
	v_bfrev_b32_e32 v5, 1
	s_and_saveexec_b64 s[78:79], vcc
	s_cbranch_execz .LBB2_3960
; %bb.3957:                             ;   in Loop: Header=BB2_3261 Depth=2
	v_and_b32_e32 v6, 0x7f, v11
	v_cmp_ne_u32_e32 vcc, s39, v6
	v_mov_b32_e32 v5, 0x7f800001
	s_and_saveexec_b64 s[88:89], vcc
	s_cbranch_execz .LBB2_3959
; %bb.3958:                             ;   in Loop: Header=BB2_3261 Depth=2
	v_and_b32_e32 v7, 7, v11
	v_ffbh_u32_e32 v5, v7
	v_min_u32_e32 v9, 32, v5
	v_subrev_u32_e32 v5, 28, v9
	v_lshrrev_b32_e32 v8, 3, v6
	v_cmp_gt_u32_e32 vcc, 8, v6
	v_lshlrev_b64 v[5:6], v5, v[11:12]
	v_sub_u32_e32 v6, 29, v9
	v_and_b32_e32 v5, 7, v5
	v_cndmask_b32_e32 v6, v8, v6, vcc
	v_cndmask_b32_e32 v5, v7, v5, vcc
	v_lshlrev_b32_e32 v3, 16, v3
	v_lshlrev_b32_e32 v5, 20, v5
	v_and_b32_e32 v3, 0x80000000, v3
	v_lshl_add_u32 v6, v6, 23, v57
	v_or3_b32 v5, v3, v6, v5
.LBB2_3959:                             ;   in Loop: Header=BB2_3261 Depth=2
	s_or_b64 exec, exec, s[88:89]
.LBB2_3960:                             ;   in Loop: Header=BB2_3261 Depth=2
	s_or_b64 exec, exec, s[78:79]
.LBB2_3961:                             ;   in Loop: Header=BB2_3261 Depth=2
	s_or_b64 exec, exec, s[18:19]
	v_lshrrev_b16_e32 v10, 8, v10
	v_cmp_lt_i16_e32 vcc, s39, v10
	s_mov_b64 s[18:19], 0
	s_and_saveexec_b64 s[78:79], vcc
	s_xor_b64 s[78:79], exec, s[78:79]
	s_cbranch_execnz .LBB2_4061
; %bb.3962:                             ;   in Loop: Header=BB2_3261 Depth=2
	s_or_saveexec_b64 s[78:79], s[78:79]
	v_bfrev_b32_e32 v3, 1
	s_xor_b64 exec, exec, s[78:79]
	s_cbranch_execnz .LBB2_4064
.LBB2_3963:                             ;   in Loop: Header=BB2_3261 Depth=2
	s_or_b64 exec, exec, s[78:79]
	s_and_saveexec_b64 s[78:79], s[18:19]
	s_cbranch_execz .LBB2_3965
.LBB2_3964:                             ;   in Loop: Header=BB2_3261 Depth=2
	v_and_b32_e32 v3, 7, v10
	v_ffbh_u32_e32 v6, v3
	v_min_u32_e32 v20, 32, v6
	v_mov_b32_e32 v11, v29
	v_subrev_u32_e32 v6, 28, v20
	v_lshlrev_b64 v[6:7], v6, v[10:11]
	v_and_b32_e32 v8, 0x7f, v10
	v_bfe_u32 v9, v10, 3, 4
	v_sub_u32_e32 v7, 29, v20
	v_and_b32_e32 v6, 7, v6
	v_cmp_gt_u32_e32 vcc, 8, v8
	v_cndmask_b32_e32 v7, v9, v7, vcc
	v_cndmask_b32_e32 v3, v3, v6, vcc
	v_lshlrev_b32_e32 v6, 24, v10
	v_lshlrev_b32_e32 v3, 20, v3
	v_and_b32_e32 v6, 0x80000000, v6
	v_lshl_add_u32 v7, v7, 23, v57
	v_or3_b32 v3, v6, v7, v3
	v_cmp_ne_u32_e32 vcc, s39, v8
	v_cndmask_b32_e32 v3, v56, v3, vcc
.LBB2_3965:                             ;   in Loop: Header=BB2_3261 Depth=2
	s_or_b64 exec, exec, s[78:79]
	v_add_f32_e32 v10, v5, v3
	v_and_b32_e32 v5, 0x7f800000, v10
	v_mov_b32_e32 v6, v29
	v_cmp_ne_u64_e32 vcc, s[46:47], v[5:6]
                                        ; implicit-def: $vgpr3
	s_and_saveexec_b64 s[18:19], vcc
	s_xor_b64 s[78:79], exec, s[18:19]
	s_cbranch_execz .LBB2_3979
; %bb.3966:                             ;   in Loop: Header=BB2_3261 Depth=2
	v_and_b32_e32 v5, 0x7fffffff, v10
	v_mov_b32_e32 v6, v29
	v_cmp_gt_u64_e32 vcc, s[56:57], v[5:6]
	v_and_b32_sdwa v5, v10, s50 dst_sel:DWORD dst_unused:UNUSED_PAD src0_sel:BYTE_3 src1_sel:DWORD
                                        ; implicit-def: $vgpr3
	s_and_saveexec_b64 s[18:19], vcc
	s_xor_b64 s[88:89], exec, s[18:19]
	s_cbranch_execz .LBB2_3976
; %bb.3967:                             ;   in Loop: Header=BB2_3261 Depth=2
	v_mov_b32_e32 v3, 0
	v_cmp_ne_u32_e32 vcc, 0, v10
	s_and_saveexec_b64 s[90:91], vcc
	s_cbranch_execz .LBB2_3975
; %bb.3968:                             ;   in Loop: Header=BB2_3261 Depth=2
	v_bfe_u32 v3, v10, 23, 8
	v_cmp_gt_u32_e64 s[18:19], s51, v3
	v_sub_u32_e32 v6, 0x79, v3
	v_cmp_eq_u32_e32 vcc, 0, v3
	v_cndmask_b32_e64 v6, 0, v6, s[18:19]
	v_cndmask_b32_e32 v6, v6, v58, vcc
	v_and_b32_e32 v7, 0x7fffff, v10
	v_add_u32_e32 v9, 20, v6
	v_or_b32_e32 v8, 0x800000, v7
	v_lshlrev_b64 v[9:10], v9, -1
	v_add_u32_e32 v11, 19, v6
	v_cndmask_b32_e32 v7, v8, v7, vcc
	v_lshlrev_b64 v[22:23], v11, 1
	v_mov_b32_e32 v8, v29
	v_bfi_b32 v10, v10, 0, 0
	v_bfi_b32 v9, v9, 0, v7
	v_cmp_eq_u64_e64 s[18:19], v[9:10], v[22:23]
	v_lshrrev_b64 v[10:11], v6, v[7:8]
	v_mov_b32_e32 v55, v11
	v_mov_b32_e32 v54, v10
	s_and_saveexec_b64 s[92:93], s[18:19]
; %bb.3969:                             ;   in Loop: Header=BB2_3261 Depth=2
	v_bfe_u32 v7, v10, 20, 1
	v_add_co_u32_e64 v7, s[18:19], v10, v7
	v_add_co_u32_e64 v54, s[18:19], -1, v7
; %bb.3970:                             ;   in Loop: Header=BB2_3261 Depth=2
	s_or_b64 exec, exec, s[92:93]
	v_add_u32_e32 v3, 0xffffff81, v3
	v_cndmask_b32_e32 v3, v3, v59, vcc
	v_lshrrev_b32_e32 v7, 23, v10
	v_add3_u32 v7, v6, v3, v7
	v_add_u32_e32 v6, 6, v7
	v_and_b32_e32 v3, 0xfffff, v54
	v_add_u32_e32 v10, v3, v10
	v_mov_b32_e32 v11, v29
	v_cmp_ne_u32_e32 vcc, 0, v6
                                        ; implicit-def: $vgpr3
	s_and_saveexec_b64 s[18:19], vcc
	s_xor_b64 s[18:19], exec, s[18:19]
; %bb.3971:                             ;   in Loop: Header=BB2_3261 Depth=2
	v_cmp_lt_u64_e32 vcc, s[58:59], v[10:11]
	v_add_u32_e32 v3, 7, v7
	v_cndmask_b32_e32 v3, v6, v3, vcc
	v_cndmask_b32_e64 v6, 0, 1, vcc
	v_lshrrev_b64 v[10:11], v6, v[10:11]
; %bb.3972:                             ;   in Loop: Header=BB2_3261 Depth=2
	s_andn2_saveexec_b64 s[18:19], s[18:19]
; %bb.3973:                             ;   in Loop: Header=BB2_3261 Depth=2
	v_bfe_u32 v3, v10, 23, 1
; %bb.3974:                             ;   in Loop: Header=BB2_3261 Depth=2
	s_or_b64 exec, exec, s[18:19]
	v_lshrrev_b64 v[6:7], 20, v[10:11]
	v_cmp_gt_i32_e32 vcc, 16, v3
	v_cndmask_b32_e32 v7, 0, v7, vcc
	v_cndmask_b32_e32 v6, 7, v6, vcc
	v_cmp_eq_u32_e32 vcc, 0, v3
	v_min_i32_e32 v3, 15, v3
	v_cmp_eq_u64_e64 s[18:19], 0, v[6:7]
	v_lshlrev_b32_e32 v3, 3, v3
	v_and_b32_e32 v3, 0xf8, v3
	v_and_or_b32 v3, v6, 7, v3
	s_and_b64 s[18:19], vcc, s[18:19]
	v_cndmask_b32_e64 v3, v3, 0, s[18:19]
	v_or_b32_e32 v3, v3, v5
.LBB2_3975:                             ;   in Loop: Header=BB2_3261 Depth=2
	s_or_b64 exec, exec, s[90:91]
                                        ; implicit-def: $vgpr5
.LBB2_3976:                             ;   in Loop: Header=BB2_3261 Depth=2
	s_andn2_saveexec_b64 s[18:19], s[88:89]
; %bb.3977:                             ;   in Loop: Header=BB2_3261 Depth=2
	v_or_b32_e32 v3, 0x7e, v5
; %bb.3978:                             ;   in Loop: Header=BB2_3261 Depth=2
	s_or_b64 exec, exec, s[18:19]
                                        ; implicit-def: $vgpr10
.LBB2_3979:                             ;   in Loop: Header=BB2_3261 Depth=2
	s_andn2_saveexec_b64 s[18:19], s[78:79]
; %bb.3980:                             ;   in Loop: Header=BB2_3261 Depth=2
	v_or_b32_sdwa v3, v10, s39 dst_sel:DWORD dst_unused:UNUSED_PAD src0_sel:BYTE_3 src1_sel:DWORD
; %bb.3981:                             ;   in Loop: Header=BB2_3261 Depth=2
	s_or_b64 exec, exec, s[18:19]
	v_lshrrev_b32_e32 v10, 16, v28
	v_cmp_ne_u16_sdwa s[78:79], v10, v29 src0_sel:BYTE_0 src1_sel:DWORD
	v_mov_b32_e32 v5, 0
	s_and_saveexec_b64 s[18:19], s[78:79]
	s_cbranch_execz .LBB2_3987
; %bb.3982:                             ;   in Loop: Header=BB2_3261 Depth=2
	v_cmp_ne_u16_sdwa s[88:89], v10, s50 src0_sel:BYTE_0 src1_sel:DWORD
	v_bfrev_b32_e32 v5, 1
	s_and_saveexec_b64 s[78:79], s[88:89]
	s_cbranch_execz .LBB2_3986
; %bb.3983:                             ;   in Loop: Header=BB2_3261 Depth=2
	v_bfe_u32 v6, v28, 16, 7
	v_cmp_ne_u32_e32 vcc, s39, v6
	v_mov_b32_e32 v5, 0x7f800001
	s_and_saveexec_b64 s[88:89], vcc
	s_cbranch_execz .LBB2_3985
; %bb.3984:                             ;   in Loop: Header=BB2_3261 Depth=2
	v_and_b32_e32 v7, 7, v10
	v_ffbh_u32_e32 v5, v7
	v_min_u32_e32 v9, 32, v5
	v_subrev_u32_e32 v5, 28, v9
	v_lshrrev_b32_e32 v8, 3, v6
	v_cmp_gt_u32_e32 vcc, 8, v6
	v_lshlrev_b64 v[5:6], v5, v[10:11]
	v_sub_u32_e32 v6, 29, v9
	v_and_b32_e32 v5, 7, v5
	v_cndmask_b32_e32 v6, v8, v6, vcc
	v_cndmask_b32_e32 v5, v7, v5, vcc
	v_lshlrev_b32_e32 v7, 24, v10
	v_lshlrev_b32_e32 v5, 20, v5
	v_and_b32_e32 v7, 0x80000000, v7
	v_lshl_add_u32 v6, v6, 23, v57
	v_or3_b32 v5, v7, v6, v5
.LBB2_3985:                             ;   in Loop: Header=BB2_3261 Depth=2
	s_or_b64 exec, exec, s[88:89]
.LBB2_3986:                             ;   in Loop: Header=BB2_3261 Depth=2
	s_or_b64 exec, exec, s[78:79]
.LBB2_3987:                             ;   in Loop: Header=BB2_3261 Depth=2
	s_or_b64 exec, exec, s[18:19]
	v_lshrrev_b32_e32 v10, 16, v13
	v_cmp_gt_i16_sdwa s[78:79], v10, s39 src0_sel:BYTE_0 src1_sel:DWORD
	s_mov_b64 s[18:19], 0
	s_and_saveexec_b64 s[88:89], s[78:79]
	s_xor_b64 s[78:79], exec, s[88:89]
	s_cbranch_execnz .LBB2_4065
; %bb.3988:                             ;   in Loop: Header=BB2_3261 Depth=2
	s_or_saveexec_b64 s[78:79], s[78:79]
	v_bfrev_b32_e32 v6, 1
	s_xor_b64 exec, exec, s[78:79]
	s_cbranch_execnz .LBB2_4068
.LBB2_3989:                             ;   in Loop: Header=BB2_3261 Depth=2
	s_or_b64 exec, exec, s[78:79]
	s_and_saveexec_b64 s[78:79], s[18:19]
	s_cbranch_execz .LBB2_3991
.LBB2_3990:                             ;   in Loop: Header=BB2_3261 Depth=2
	v_and_b32_e32 v8, 7, v10
	v_ffbh_u32_e32 v6, v8
	v_min_u32_e32 v20, 32, v6
	v_bfe_u32 v11, v10, 3, 4
	v_subrev_u32_e32 v6, 28, v20
	v_lshlrev_b64 v[6:7], v6, v[10:11]
	v_and_b32_e32 v9, 0x7f, v10
	v_sub_u32_e32 v7, 29, v20
	v_and_b32_e32 v6, 7, v6
	v_cmp_gt_u32_e32 vcc, 8, v9
	v_cndmask_b32_e32 v7, v11, v7, vcc
	v_cndmask_b32_e32 v6, v8, v6, vcc
	v_lshlrev_b32_e32 v8, 24, v10
	v_lshlrev_b32_e32 v6, 20, v6
	v_and_b32_e32 v8, 0x80000000, v8
	v_lshl_add_u32 v7, v7, 23, v57
	v_or3_b32 v6, v8, v7, v6
	v_cmp_ne_u32_e32 vcc, s39, v9
	v_cndmask_b32_e32 v6, v56, v6, vcc
.LBB2_3991:                             ;   in Loop: Header=BB2_3261 Depth=2
	s_or_b64 exec, exec, s[78:79]
	v_add_f32_e32 v10, v5, v6
	v_and_b32_e32 v5, 0x7f800000, v10
	v_mov_b32_e32 v6, v29
	v_cmp_ne_u64_e32 vcc, s[46:47], v[5:6]
                                        ; implicit-def: $vgpr5
	s_and_saveexec_b64 s[18:19], vcc
	s_xor_b64 s[78:79], exec, s[18:19]
	s_cbranch_execz .LBB2_4005
; %bb.3992:                             ;   in Loop: Header=BB2_3261 Depth=2
	v_and_b32_e32 v5, 0x7fffffff, v10
	v_mov_b32_e32 v6, v29
	v_cmp_gt_u64_e32 vcc, s[56:57], v[5:6]
	v_and_b32_sdwa v20, v10, s50 dst_sel:DWORD dst_unused:UNUSED_PAD src0_sel:BYTE_3 src1_sel:DWORD
                                        ; implicit-def: $vgpr5
	s_and_saveexec_b64 s[18:19], vcc
	s_xor_b64 s[88:89], exec, s[18:19]
	s_cbranch_execz .LBB2_4002
; %bb.3993:                             ;   in Loop: Header=BB2_3261 Depth=2
	v_mov_b32_e32 v5, 0
	v_cmp_ne_u32_e32 vcc, 0, v10
	s_and_saveexec_b64 s[90:91], vcc
	s_cbranch_execz .LBB2_4001
; %bb.3994:                             ;   in Loop: Header=BB2_3261 Depth=2
	v_bfe_u32 v5, v10, 23, 8
	v_cmp_gt_u32_e64 s[18:19], s51, v5
	v_sub_u32_e32 v6, 0x79, v5
	v_cmp_eq_u32_e32 vcc, 0, v5
	v_cndmask_b32_e64 v6, 0, v6, s[18:19]
	v_cndmask_b32_e32 v6, v6, v58, vcc
	v_and_b32_e32 v7, 0x7fffff, v10
	v_add_u32_e32 v9, 20, v6
	v_or_b32_e32 v8, 0x800000, v7
	v_lshlrev_b64 v[9:10], v9, -1
	v_add_u32_e32 v11, 19, v6
	v_cndmask_b32_e32 v7, v8, v7, vcc
	v_lshlrev_b64 v[22:23], v11, 1
	v_mov_b32_e32 v8, v29
	v_bfi_b32 v10, v10, 0, 0
	v_bfi_b32 v9, v9, 0, v7
	v_cmp_eq_u64_e64 s[18:19], v[9:10], v[22:23]
	v_lshrrev_b64 v[10:11], v6, v[7:8]
	v_mov_b32_e32 v55, v11
	v_mov_b32_e32 v54, v10
	s_and_saveexec_b64 s[92:93], s[18:19]
; %bb.3995:                             ;   in Loop: Header=BB2_3261 Depth=2
	v_bfe_u32 v7, v10, 20, 1
	v_add_co_u32_e64 v7, s[18:19], v10, v7
	v_add_co_u32_e64 v54, s[18:19], -1, v7
; %bb.3996:                             ;   in Loop: Header=BB2_3261 Depth=2
	s_or_b64 exec, exec, s[92:93]
	v_add_u32_e32 v5, 0xffffff81, v5
	v_cndmask_b32_e32 v5, v5, v59, vcc
	v_lshrrev_b32_e32 v7, 23, v10
	v_add3_u32 v7, v6, v5, v7
	v_add_u32_e32 v6, 6, v7
	v_and_b32_e32 v5, 0xfffff, v54
	v_add_u32_e32 v10, v5, v10
	v_mov_b32_e32 v11, v29
	v_cmp_ne_u32_e32 vcc, 0, v6
                                        ; implicit-def: $vgpr5
	s_and_saveexec_b64 s[18:19], vcc
	s_xor_b64 s[18:19], exec, s[18:19]
; %bb.3997:                             ;   in Loop: Header=BB2_3261 Depth=2
	v_cmp_lt_u64_e32 vcc, s[58:59], v[10:11]
	v_add_u32_e32 v5, 7, v7
	v_cndmask_b32_e32 v5, v6, v5, vcc
	v_cndmask_b32_e64 v6, 0, 1, vcc
	v_lshrrev_b64 v[10:11], v6, v[10:11]
; %bb.3998:                             ;   in Loop: Header=BB2_3261 Depth=2
	s_andn2_saveexec_b64 s[18:19], s[18:19]
; %bb.3999:                             ;   in Loop: Header=BB2_3261 Depth=2
	v_bfe_u32 v5, v10, 23, 1
; %bb.4000:                             ;   in Loop: Header=BB2_3261 Depth=2
	s_or_b64 exec, exec, s[18:19]
	v_lshrrev_b64 v[6:7], 20, v[10:11]
	v_cmp_gt_i32_e32 vcc, 16, v5
	v_cndmask_b32_e32 v7, 0, v7, vcc
	v_cndmask_b32_e32 v6, 7, v6, vcc
	v_cmp_eq_u32_e32 vcc, 0, v5
	v_min_i32_e32 v5, 15, v5
	v_cmp_eq_u64_e64 s[18:19], 0, v[6:7]
	v_lshlrev_b32_e32 v5, 3, v5
	v_and_b32_e32 v5, 0xf8, v5
	v_and_or_b32 v5, v6, 7, v5
	s_and_b64 s[18:19], vcc, s[18:19]
	v_cndmask_b32_e64 v5, v5, 0, s[18:19]
	v_or_b32_e32 v5, v5, v20
.LBB2_4001:                             ;   in Loop: Header=BB2_3261 Depth=2
	s_or_b64 exec, exec, s[90:91]
                                        ; implicit-def: $vgpr20
.LBB2_4002:                             ;   in Loop: Header=BB2_3261 Depth=2
	s_andn2_saveexec_b64 s[18:19], s[88:89]
; %bb.4003:                             ;   in Loop: Header=BB2_3261 Depth=2
	v_or_b32_e32 v5, 0x7e, v20
; %bb.4004:                             ;   in Loop: Header=BB2_3261 Depth=2
	s_or_b64 exec, exec, s[18:19]
                                        ; implicit-def: $vgpr10
.LBB2_4005:                             ;   in Loop: Header=BB2_3261 Depth=2
	s_andn2_saveexec_b64 s[18:19], s[78:79]
; %bb.4006:                             ;   in Loop: Header=BB2_3261 Depth=2
	v_or_b32_sdwa v5, v10, s39 dst_sel:DWORD dst_unused:UNUSED_PAD src0_sel:BYTE_3 src1_sel:DWORD
; %bb.4007:                             ;   in Loop: Header=BB2_3261 Depth=2
	s_or_b64 exec, exec, s[18:19]
	v_cmp_lt_u32_e32 vcc, s61, v28
	v_mov_b32_e32 v11, 0
	s_and_saveexec_b64 s[18:19], vcc
	s_cbranch_execz .LBB2_4013
; %bb.4008:                             ;   in Loop: Header=BB2_3261 Depth=2
	v_lshrrev_b32_e32 v10, 24, v28
	v_cmp_ne_u32_sdwa s[88:89], v28, s50 src0_sel:BYTE_3 src1_sel:DWORD
	v_bfrev_b32_e32 v11, 1
	s_and_saveexec_b64 s[78:79], s[88:89]
	s_cbranch_execz .LBB2_4012
; %bb.4009:                             ;   in Loop: Header=BB2_3261 Depth=2
	v_bfe_u32 v6, v28, 24, 7
	v_cmp_ne_u32_e32 vcc, s39, v6
	v_mov_b32_e32 v11, 0x7f800001
	s_and_saveexec_b64 s[88:89], vcc
	s_cbranch_execz .LBB2_4011
; %bb.4010:                             ;   in Loop: Header=BB2_3261 Depth=2
	v_and_b32_e32 v8, 7, v10
	v_lshrrev_b32_e32 v9, 3, v6
	v_cmp_gt_u32_e32 vcc, 8, v6
	v_ffbh_u32_e32 v6, v8
	v_min_u32_e32 v11, 32, v6
	v_subrev_u32_e32 v6, 28, v11
	v_lshlrev_b64 v[6:7], v6, v[10:11]
	v_sub_u32_e32 v7, 29, v11
	v_and_b32_e32 v6, 7, v6
	v_cndmask_b32_e32 v6, v8, v6, vcc
	v_mov_b32_e32 v8, 24
	v_cndmask_b32_e32 v7, v9, v7, vcc
	v_lshlrev_b32_sdwa v8, v8, v28 dst_sel:DWORD dst_unused:UNUSED_PAD src0_sel:DWORD src1_sel:BYTE_3
	v_lshlrev_b32_e32 v6, 20, v6
	v_and_b32_e32 v8, 0x80000000, v8
	v_lshl_add_u32 v7, v7, 23, v57
	v_or3_b32 v11, v8, v7, v6
.LBB2_4011:                             ;   in Loop: Header=BB2_3261 Depth=2
	s_or_b64 exec, exec, s[88:89]
.LBB2_4012:                             ;   in Loop: Header=BB2_3261 Depth=2
	s_or_b64 exec, exec, s[78:79]
.LBB2_4013:                             ;   in Loop: Header=BB2_3261 Depth=2
	s_or_b64 exec, exec, s[18:19]
	v_bfe_u32 v9, v13, 24, 3
	v_ffbh_u32_e32 v7, v9
	v_min_u32_e32 v22, 32, v7
	v_lshrrev_b32_e32 v6, 24, v13
	v_subrev_u32_e32 v7, 28, v22
	v_lshlrev_b64 v[7:8], v7, v[6:7]
	v_bfe_u32 v10, v13, 24, 7
	v_bfe_u32 v20, v6, 3, 4
	v_sub_u32_e32 v8, 29, v22
	v_and_b32_e32 v7, 7, v7
	v_cmp_gt_u32_e32 vcc, 8, v10
	v_cndmask_b32_e32 v8, v20, v8, vcc
	v_cndmask_b32_e32 v7, v9, v7, vcc
	v_lshlrev_b32_e32 v7, 20, v7
	v_and_b32_e32 v9, 0x80000000, v13
	v_lshl_add_u32 v8, v8, 23, v57
	v_or3_b32 v7, v9, v8, v7
	v_cmp_ne_u32_e32 vcc, s39, v10
	v_cndmask_b32_e32 v7, v56, v7, vcc
	v_cmp_ne_u32_e32 vcc, s50, v6
	v_cndmask_b32_e32 v6, v61, v7, vcc
	v_cmp_lt_u64_e32 vcc, s[60:61], v[12:13]
                                        ; implicit-def: $vgpr10
	v_cndmask_b32_e32 v6, 0, v6, vcc
	v_add_f32_e32 v11, v6, v11
	v_and_b32_e32 v28, 0x7f800000, v11
	v_cmp_ne_u64_e32 vcc, s[46:47], v[28:29]
	s_and_saveexec_b64 s[18:19], vcc
	s_xor_b64 s[78:79], exec, s[18:19]
	s_cbranch_execz .LBB2_4027
; %bb.4014:                             ;   in Loop: Header=BB2_3261 Depth=2
	v_and_b32_e32 v28, 0x7fffffff, v11
	v_cmp_gt_u64_e32 vcc, s[56:57], v[28:29]
	v_and_b32_sdwa v13, v11, s50 dst_sel:DWORD dst_unused:UNUSED_PAD src0_sel:BYTE_3 src1_sel:DWORD
                                        ; implicit-def: $vgpr10
	s_and_saveexec_b64 s[18:19], vcc
	s_xor_b64 s[88:89], exec, s[18:19]
	s_cbranch_execz .LBB2_4024
; %bb.4015:                             ;   in Loop: Header=BB2_3261 Depth=2
	v_mov_b32_e32 v10, 0
	v_cmp_ne_u32_e32 vcc, 0, v11
	s_and_saveexec_b64 s[90:91], vcc
	s_cbranch_execz .LBB2_4023
; %bb.4016:                             ;   in Loop: Header=BB2_3261 Depth=2
	v_bfe_u32 v20, v11, 23, 8
	v_cmp_gt_u32_e64 s[18:19], s51, v20
	v_sub_u32_e32 v6, 0x79, v20
	v_and_b32_e32 v7, 0x7fffff, v11
	v_cmp_eq_u32_e32 vcc, 0, v20
	v_cndmask_b32_e64 v6, 0, v6, s[18:19]
	v_or_b32_e32 v8, 0x800000, v7
	v_cndmask_b32_e32 v6, v6, v58, vcc
	v_cndmask_b32_e32 v28, v8, v7, vcc
	v_add_u32_e32 v7, 20, v6
	v_lshlrev_b64 v[7:8], v7, -1
	v_add_u32_e32 v9, 19, v6
	v_lshlrev_b64 v[9:10], v9, 1
	v_bfi_b32 v8, v8, 0, 0
	v_bfi_b32 v7, v7, 0, v28
	v_cmp_eq_u64_e64 s[18:19], v[7:8], v[9:10]
	v_lshrrev_b64 v[10:11], v6, v[28:29]
	v_mov_b32_e32 v12, v11
	v_mov_b32_e32 v11, v10
	s_and_saveexec_b64 s[92:93], s[18:19]
; %bb.4017:                             ;   in Loop: Header=BB2_3261 Depth=2
	v_bfe_u32 v7, v10, 20, 1
	v_add_co_u32_e64 v7, s[18:19], v10, v7
	v_add_co_u32_e64 v11, s[18:19], -1, v7
; %bb.4018:                             ;   in Loop: Header=BB2_3261 Depth=2
	s_or_b64 exec, exec, s[92:93]
	v_add_u32_e32 v7, 0xffffff81, v20
	v_cndmask_b32_e32 v7, v7, v59, vcc
	v_lshrrev_b32_e32 v8, 23, v10
	v_add3_u32 v8, v6, v7, v8
	v_add_u32_e32 v7, 6, v8
	v_and_b32_e32 v6, 0xfffff, v11
	v_add_u32_e32 v28, v6, v10
	v_cmp_ne_u32_e32 vcc, 0, v7
                                        ; implicit-def: $vgpr10_vgpr11
                                        ; implicit-def: $vgpr6
	s_and_saveexec_b64 s[18:19], vcc
	s_xor_b64 s[18:19], exec, s[18:19]
; %bb.4019:                             ;   in Loop: Header=BB2_3261 Depth=2
	v_cmp_lt_u64_e32 vcc, s[58:59], v[28:29]
	v_add_u32_e32 v6, 7, v8
	v_cndmask_b32_e32 v6, v7, v6, vcc
	v_cndmask_b32_e64 v7, 0, 1, vcc
	v_lshrrev_b64 v[10:11], v7, v[28:29]
; %bb.4020:                             ;   in Loop: Header=BB2_3261 Depth=2
	s_andn2_saveexec_b64 s[18:19], s[18:19]
; %bb.4021:                             ;   in Loop: Header=BB2_3261 Depth=2
	v_mov_b32_e32 v10, v28
	v_bfe_u32 v6, v28, 23, 1
	v_mov_b32_e32 v11, v29
; %bb.4022:                             ;   in Loop: Header=BB2_3261 Depth=2
	s_or_b64 exec, exec, s[18:19]
	v_lshrrev_b64 v[7:8], 20, v[10:11]
	v_cmp_gt_i32_e32 vcc, 16, v6
	v_cndmask_b32_e32 v8, 0, v8, vcc
	v_cndmask_b32_e32 v7, 7, v7, vcc
	v_cmp_eq_u32_e32 vcc, 0, v6
	v_min_i32_e32 v6, 15, v6
	v_cmp_eq_u64_e64 s[18:19], 0, v[7:8]
	v_lshlrev_b32_e32 v6, 3, v6
	v_and_b32_e32 v6, 0xf8, v6
	v_and_or_b32 v6, v7, 7, v6
	s_and_b64 s[18:19], vcc, s[18:19]
	v_cndmask_b32_e64 v6, v6, 0, s[18:19]
	v_or_b32_e32 v10, v6, v13
.LBB2_4023:                             ;   in Loop: Header=BB2_3261 Depth=2
	s_or_b64 exec, exec, s[90:91]
                                        ; implicit-def: $vgpr13
.LBB2_4024:                             ;   in Loop: Header=BB2_3261 Depth=2
	s_andn2_saveexec_b64 s[18:19], s[88:89]
; %bb.4025:                             ;   in Loop: Header=BB2_3261 Depth=2
	v_or_b32_e32 v10, 0x7e, v13
; %bb.4026:                             ;   in Loop: Header=BB2_3261 Depth=2
	s_or_b64 exec, exec, s[18:19]
                                        ; implicit-def: $vgpr11
.LBB2_4027:                             ;   in Loop: Header=BB2_3261 Depth=2
	s_andn2_saveexec_b64 s[18:19], s[78:79]
	s_cbranch_execz .LBB2_3260
; %bb.4028:                             ;   in Loop: Header=BB2_3261 Depth=2
	v_or_b32_sdwa v10, v11, s39 dst_sel:DWORD dst_unused:UNUSED_PAD src0_sel:BYTE_3 src1_sel:DWORD
	s_branch .LBB2_3260
.LBB2_4029:                             ;   in Loop: Header=BB2_3261 Depth=2
	v_cmp_eq_u16_sdwa s[90:91], v10, s50 src0_sel:BYTE_0 src1_sel:DWORD
	s_mov_b64 s[18:19], -1
	s_and_saveexec_b64 s[88:89], s[90:91]
; %bb.4030:                             ;   in Loop: Header=BB2_3261 Depth=2
	s_xor_b64 s[18:19], exec, -1
; %bb.4031:                             ;   in Loop: Header=BB2_3261 Depth=2
	s_or_b64 exec, exec, s[88:89]
	s_and_b64 s[18:19], s[18:19], exec
	s_or_saveexec_b64 s[78:79], s[78:79]
	v_bfrev_b32_e32 v0, 1
	s_xor_b64 exec, exec, s[78:79]
	s_cbranch_execz .LBB2_3629
.LBB2_4032:                             ;   in Loop: Header=BB2_3261 Depth=2
	v_cmp_ne_u16_sdwa s[88:89], v10, v29 src0_sel:BYTE_0 src1_sel:DWORD
	s_andn2_b64 s[18:19], s[18:19], exec
	s_and_b64 s[88:89], s[88:89], exec
	v_mov_b32_e32 v0, 0
	s_or_b64 s[18:19], s[18:19], s[88:89]
	s_or_b64 exec, exec, s[78:79]
	s_and_saveexec_b64 s[78:79], s[18:19]
	s_cbranch_execnz .LBB2_3630
	s_branch .LBB2_3631
.LBB2_4033:                             ;   in Loop: Header=BB2_3261 Depth=2
	v_cmp_eq_u16_e32 vcc, s50, v54
	s_mov_b64 s[18:19], -1
	s_and_saveexec_b64 s[88:89], vcc
; %bb.4034:                             ;   in Loop: Header=BB2_3261 Depth=2
	s_xor_b64 s[18:19], exec, -1
; %bb.4035:                             ;   in Loop: Header=BB2_3261 Depth=2
	s_or_b64 exec, exec, s[88:89]
	s_and_b64 s[18:19], s[18:19], exec
	s_or_saveexec_b64 s[78:79], s[78:79]
	v_bfrev_b32_e32 v4, 1
	s_xor_b64 exec, exec, s[78:79]
	s_cbranch_execz .LBB2_3655
.LBB2_4036:                             ;   in Loop: Header=BB2_3261 Depth=2
	v_cmp_ne_u16_e32 vcc, 0, v54
	s_andn2_b64 s[18:19], s[18:19], exec
	s_and_b64 s[88:89], vcc, exec
	v_mov_b32_e32 v4, 0
	s_or_b64 s[18:19], s[18:19], s[88:89]
	s_or_b64 exec, exec, s[78:79]
	s_and_saveexec_b64 s[78:79], s[18:19]
	s_cbranch_execnz .LBB2_3656
	s_branch .LBB2_3657
.LBB2_4037:                             ;   in Loop: Header=BB2_3261 Depth=2
	v_cmp_eq_u16_sdwa s[90:91], v30, s50 src0_sel:BYTE_0 src1_sel:DWORD
	s_mov_b64 s[18:19], -1
	s_and_saveexec_b64 s[88:89], s[90:91]
; %bb.4038:                             ;   in Loop: Header=BB2_3261 Depth=2
	s_xor_b64 s[18:19], exec, -1
; %bb.4039:                             ;   in Loop: Header=BB2_3261 Depth=2
	s_or_b64 exec, exec, s[88:89]
	s_and_b64 s[18:19], s[18:19], exec
	s_or_saveexec_b64 s[78:79], s[78:79]
	v_bfrev_b32_e32 v5, 1
	s_xor_b64 exec, exec, s[78:79]
	s_cbranch_execz .LBB2_3681
.LBB2_4040:                             ;   in Loop: Header=BB2_3261 Depth=2
	v_cmp_ne_u16_sdwa s[88:89], v30, v29 src0_sel:BYTE_0 src1_sel:DWORD
	s_andn2_b64 s[18:19], s[18:19], exec
	s_and_b64 s[88:89], s[88:89], exec
	v_mov_b32_e32 v5, 0
	s_or_b64 s[18:19], s[18:19], s[88:89]
	s_or_b64 exec, exec, s[78:79]
	s_and_saveexec_b64 s[78:79], s[18:19]
	s_cbranch_execnz .LBB2_3682
	s_branch .LBB2_3683
.LBB2_4041:                             ;   in Loop: Header=BB2_3261 Depth=2
	v_cmp_eq_u16_e32 vcc, s50, v54
	s_mov_b64 s[18:19], -1
	s_and_saveexec_b64 s[88:89], vcc
; %bb.4042:                             ;   in Loop: Header=BB2_3261 Depth=2
	s_xor_b64 s[18:19], exec, -1
; %bb.4043:                             ;   in Loop: Header=BB2_3261 Depth=2
	s_or_b64 exec, exec, s[88:89]
	s_and_b64 s[18:19], s[18:19], exec
	s_or_saveexec_b64 s[78:79], s[78:79]
	v_bfrev_b32_e32 v4, 1
	s_xor_b64 exec, exec, s[78:79]
	s_cbranch_execz .LBB2_3759
.LBB2_4044:                             ;   in Loop: Header=BB2_3261 Depth=2
	v_cmp_ne_u16_e32 vcc, 0, v54
	s_andn2_b64 s[18:19], s[18:19], exec
	s_and_b64 s[88:89], vcc, exec
	v_mov_b32_e32 v4, 0
	s_or_b64 s[18:19], s[18:19], s[88:89]
	s_or_b64 exec, exec, s[78:79]
	s_and_saveexec_b64 s[78:79], s[18:19]
	s_cbranch_execnz .LBB2_3760
	s_branch .LBB2_3761
.LBB2_4045:                             ;   in Loop: Header=BB2_3261 Depth=2
	v_cmp_eq_u16_sdwa s[90:91], v30, s50 src0_sel:BYTE_0 src1_sel:DWORD
	s_mov_b64 s[18:19], -1
	s_and_saveexec_b64 s[88:89], s[90:91]
; %bb.4046:                             ;   in Loop: Header=BB2_3261 Depth=2
	s_xor_b64 s[18:19], exec, -1
; %bb.4047:                             ;   in Loop: Header=BB2_3261 Depth=2
	s_or_b64 exec, exec, s[88:89]
	s_and_b64 s[18:19], s[18:19], exec
	s_or_saveexec_b64 s[78:79], s[78:79]
	v_bfrev_b32_e32 v5, 1
	s_xor_b64 exec, exec, s[78:79]
	s_cbranch_execz .LBB2_3785
.LBB2_4048:                             ;   in Loop: Header=BB2_3261 Depth=2
	v_cmp_ne_u16_sdwa s[88:89], v30, v29 src0_sel:BYTE_0 src1_sel:DWORD
	s_andn2_b64 s[18:19], s[18:19], exec
	s_and_b64 s[88:89], s[88:89], exec
	v_mov_b32_e32 v5, 0
	s_or_b64 s[18:19], s[18:19], s[88:89]
	s_or_b64 exec, exec, s[78:79]
	s_and_saveexec_b64 s[78:79], s[18:19]
	s_cbranch_execnz .LBB2_3786
	s_branch .LBB2_3787
.LBB2_4049:                             ;   in Loop: Header=BB2_3261 Depth=2
	v_cmp_eq_u16_sdwa s[90:91], v12, s50 src0_sel:BYTE_0 src1_sel:DWORD
	s_mov_b64 s[18:19], -1
	s_and_saveexec_b64 s[88:89], s[90:91]
; %bb.4050:                             ;   in Loop: Header=BB2_3261 Depth=2
	s_xor_b64 s[18:19], exec, -1
; %bb.4051:                             ;   in Loop: Header=BB2_3261 Depth=2
	s_or_b64 exec, exec, s[88:89]
	s_and_b64 s[18:19], s[18:19], exec
	s_or_saveexec_b64 s[78:79], s[78:79]
	v_bfrev_b32_e32 v6, 1
	s_xor_b64 exec, exec, s[78:79]
	s_cbranch_execz .LBB2_3833
.LBB2_4052:                             ;   in Loop: Header=BB2_3261 Depth=2
	v_cmp_ne_u16_sdwa s[88:89], v12, v29 src0_sel:BYTE_0 src1_sel:DWORD
	s_andn2_b64 s[18:19], s[18:19], exec
	s_and_b64 s[88:89], s[88:89], exec
	v_mov_b32_e32 v6, 0
	s_or_b64 s[18:19], s[18:19], s[88:89]
	s_or_b64 exec, exec, s[78:79]
	s_and_saveexec_b64 s[78:79], s[18:19]
	s_cbranch_execnz .LBB2_3834
	s_branch .LBB2_3835
.LBB2_4053:                             ;   in Loop: Header=BB2_3261 Depth=2
	v_cmp_eq_u16_e32 vcc, s50, v10
	s_mov_b64 s[18:19], -1
	s_and_saveexec_b64 s[88:89], vcc
; %bb.4054:                             ;   in Loop: Header=BB2_3261 Depth=2
	s_xor_b64 s[18:19], exec, -1
; %bb.4055:                             ;   in Loop: Header=BB2_3261 Depth=2
	s_or_b64 exec, exec, s[88:89]
	s_and_b64 s[18:19], s[18:19], exec
	s_or_saveexec_b64 s[78:79], s[78:79]
	v_bfrev_b32_e32 v4, 1
	s_xor_b64 exec, exec, s[78:79]
	s_cbranch_execz .LBB2_3859
.LBB2_4056:                             ;   in Loop: Header=BB2_3261 Depth=2
	v_cmp_ne_u16_e32 vcc, 0, v10
	s_andn2_b64 s[18:19], s[18:19], exec
	s_and_b64 s[88:89], vcc, exec
	v_mov_b32_e32 v4, 0
	s_or_b64 s[18:19], s[18:19], s[88:89]
	s_or_b64 exec, exec, s[78:79]
	s_and_saveexec_b64 s[78:79], s[18:19]
	s_cbranch_execnz .LBB2_3860
	s_branch .LBB2_3861
.LBB2_4057:                             ;   in Loop: Header=BB2_3261 Depth=2
	v_cmp_eq_u16_sdwa s[90:91], v10, s50 src0_sel:BYTE_0 src1_sel:DWORD
	s_mov_b64 s[18:19], -1
	s_and_saveexec_b64 s[88:89], s[90:91]
; %bb.4058:                             ;   in Loop: Header=BB2_3261 Depth=2
	s_xor_b64 s[18:19], exec, -1
; %bb.4059:                             ;   in Loop: Header=BB2_3261 Depth=2
	s_or_b64 exec, exec, s[88:89]
	s_and_b64 s[18:19], s[18:19], exec
	s_or_saveexec_b64 s[78:79], s[78:79]
	v_bfrev_b32_e32 v5, 1
	s_xor_b64 exec, exec, s[78:79]
	s_cbranch_execz .LBB2_3885
.LBB2_4060:                             ;   in Loop: Header=BB2_3261 Depth=2
	v_cmp_ne_u16_sdwa s[88:89], v10, v29 src0_sel:BYTE_0 src1_sel:DWORD
	s_andn2_b64 s[18:19], s[18:19], exec
	s_and_b64 s[88:89], s[88:89], exec
	v_mov_b32_e32 v5, 0
	s_or_b64 s[18:19], s[18:19], s[88:89]
	s_or_b64 exec, exec, s[78:79]
	s_and_saveexec_b64 s[78:79], s[18:19]
	s_cbranch_execnz .LBB2_3886
	s_branch .LBB2_3887
.LBB2_4061:                             ;   in Loop: Header=BB2_3261 Depth=2
	v_cmp_eq_u16_e32 vcc, s50, v10
	s_mov_b64 s[18:19], -1
	s_and_saveexec_b64 s[88:89], vcc
; %bb.4062:                             ;   in Loop: Header=BB2_3261 Depth=2
	s_xor_b64 s[18:19], exec, -1
; %bb.4063:                             ;   in Loop: Header=BB2_3261 Depth=2
	s_or_b64 exec, exec, s[88:89]
	s_and_b64 s[18:19], s[18:19], exec
	s_or_saveexec_b64 s[78:79], s[78:79]
	v_bfrev_b32_e32 v3, 1
	s_xor_b64 exec, exec, s[78:79]
	s_cbranch_execz .LBB2_3963
.LBB2_4064:                             ;   in Loop: Header=BB2_3261 Depth=2
	v_cmp_ne_u16_e32 vcc, 0, v10
	s_andn2_b64 s[18:19], s[18:19], exec
	s_and_b64 s[88:89], vcc, exec
	v_mov_b32_e32 v3, 0
	s_or_b64 s[18:19], s[18:19], s[88:89]
	s_or_b64 exec, exec, s[78:79]
	s_and_saveexec_b64 s[78:79], s[18:19]
	s_cbranch_execnz .LBB2_3964
	s_branch .LBB2_3965
.LBB2_4065:                             ;   in Loop: Header=BB2_3261 Depth=2
	v_cmp_eq_u16_sdwa s[90:91], v10, s50 src0_sel:BYTE_0 src1_sel:DWORD
	s_mov_b64 s[18:19], -1
	s_and_saveexec_b64 s[88:89], s[90:91]
; %bb.4066:                             ;   in Loop: Header=BB2_3261 Depth=2
	s_xor_b64 s[18:19], exec, -1
; %bb.4067:                             ;   in Loop: Header=BB2_3261 Depth=2
	s_or_b64 exec, exec, s[88:89]
	s_and_b64 s[18:19], s[18:19], exec
	s_or_saveexec_b64 s[78:79], s[78:79]
	v_bfrev_b32_e32 v6, 1
	s_xor_b64 exec, exec, s[78:79]
	s_cbranch_execz .LBB2_3989
.LBB2_4068:                             ;   in Loop: Header=BB2_3261 Depth=2
	v_cmp_ne_u16_sdwa s[88:89], v10, v29 src0_sel:BYTE_0 src1_sel:DWORD
	s_andn2_b64 s[18:19], s[18:19], exec
	s_and_b64 s[88:89], s[88:89], exec
	v_mov_b32_e32 v6, 0
	s_or_b64 s[18:19], s[18:19], s[88:89]
	s_or_b64 exec, exec, s[78:79]
	s_and_saveexec_b64 s[78:79], s[18:19]
	s_cbranch_execnz .LBB2_3990
	s_branch .LBB2_3991
.LBB2_4069:                             ;   in Loop: Header=BB2_2373 Depth=1
	s_or_b64 exec, exec, s[76:77]
	buffer_load_dword v52, off, s[0:3], s33 offset:144 ; 4-byte Folded Reload
	buffer_load_dword v50, off, s[0:3], s33 offset:148 ; 4-byte Folded Reload
	buffer_load_dword v51, off, s[0:3], s33 offset:112 ; 4-byte Folded Reload
	buffer_load_dword v5, off, s[0:3], s33 offset:128 ; 4-byte Folded Reload
	buffer_load_dword v6, off, s[0:3], s33 offset:132 ; 4-byte Folded Reload
	buffer_load_dword v7, off, s[0:3], s33 offset:136 ; 4-byte Folded Reload
	buffer_load_dword v8, off, s[0:3], s33 offset:140 ; 4-byte Folded Reload
	buffer_load_dword v53, off, s[0:3], s33 offset:156 ; 4-byte Folded Reload
	buffer_load_dword v4, off, s[0:3], s33 offset:200 ; 4-byte Folded Reload
	buffer_load_dword v1, off, s[0:3], s33 offset:204 ; 4-byte Folded Reload
.LBB2_4070:                             ;   in Loop: Header=BB2_2373 Depth=1
	s_or_b64 exec, exec, s[74:75]
	v_cmp_lt_i32_e32 vcc, 0, v16
	v_cndmask_b32_e32 v0, 0, v2, vcc
	v_sub_u32_e32 v0, v0, v16
	s_mov_b64 s[74:75], exec
	s_waitcnt vmcnt(0)
	v_lshl_add_u32 v14, v0, 6, v1
.LBB2_4071:                             ;   in Loop: Header=BB2_2373 Depth=1
	s_or_b64 exec, exec, s[20:21]
	s_and_saveexec_b64 s[20:21], s[74:75]
	s_cbranch_execz .LBB2_4612
.LBB2_4072:                             ;   in Loop: Header=BB2_2373 Depth=1
	s_waitcnt vmcnt(0)
	v_ashrrev_i32_e32 v0, 31, v14
	v_lshrrev_b32_e32 v0, 26, v0
	v_add_u32_e32 v0, v14, v0
	v_ashrrev_i32_e32 v15, 6, v0
	v_lshrrev_b32_e32 v1, 9, v4
	v_sub_u32_e32 v16, v1, v15
	v_cmp_lt_i32_e32 vcc, 0, v16
	s_and_saveexec_b64 s[74:75], vcc
	s_cbranch_execz .LBB2_4545
; %bb.4073:                             ;   in Loop: Header=BB2_2373 Depth=1
	v_and_b32_e32 v0, 0xffffffc0, v0
	v_sub_u32_e32 v0, v14, v0
	v_lshlrev_b32_e32 v1, 9, v15
	v_add3_u32 v3, v53, v0, v1
	s_trap 2
	ds_read_b64 v[0:1], v0
	v_mov_b32_e32 v54, v4
	v_ashrrev_i32_e32 v4, 31, v3
	v_add_co_u32_e32 v10, vcc, v3, v7
	v_addc_co_u32_e32 v11, vcc, v4, v8, vcc
	s_waitcnt lgkmcnt(0)
	v_add_co_u32_e32 v12, vcc, v0, v3
	v_addc_co_u32_e32 v13, vcc, v1, v4, vcc
	v_add_co_u32_e32 v0, vcc, 0x1c0, v5
	v_addc_co_u32_e32 v1, vcc, 0, v6, vcc
	;; [unrolled: 2-line block ×3, first 2 shown]
	s_mov_b64 s[76:77], 0
	s_branch .LBB2_4075
.LBB2_4074:                             ;   in Loop: Header=BB2_4075 Depth=2
	s_or_b64 exec, exec, s[18:19]
	v_add_co_u32_e32 v6, vcc, 0xfffffe40, v35
	v_addc_co_u32_e32 v7, vcc, -1, v36, vcc
	flat_store_byte v[6:7], v3 glc slc
	v_add_co_u32_e32 v6, vcc, 0xfffffe80, v35
	v_addc_co_u32_e32 v7, vcc, -1, v36, vcc
	flat_store_byte v[6:7], v30 glc slc
	;; [unrolled: 3-line block ×3, first 2 shown]
	v_add_co_u32_e32 v6, vcc, 0xffffff00, v35
	v_addc_co_u32_e32 v7, vcc, -1, v36, vcc
	v_add_co_u32_e32 v3, vcc, 0xffffff40, v35
	flat_store_byte v[6:7], v4 glc slc
	v_addc_co_u32_e32 v4, vcc, -1, v36, vcc
	flat_store_byte v[3:4], v5 glc slc
	v_add_co_u32_e32 v3, vcc, 0xffffff80, v35
	v_addc_co_u32_e32 v4, vcc, -1, v36, vcc
	flat_store_byte v[3:4], v20 glc slc
	v_add_co_u32_e32 v3, vcc, s53, v35
	v_addc_co_u32_e32 v4, vcc, -1, v36, vcc
	v_add_co_u32_e32 v10, vcc, v10, v43
	v_addc_co_u32_e32 v11, vcc, 0, v11, vcc
	v_add_co_u32_e32 v12, vcc, v12, v43
	v_addc_co_u32_e32 v13, vcc, 0, v13, vcc
	v_sub_u32_e32 v16, v16, v2
	v_cmp_gt_i32_e32 vcc, 1, v16
	flat_store_byte v[3:4], v17 glc slc
	flat_store_byte v[35:36], v1 glc slc
	s_or_b64 s[76:77], vcc, s[76:77]
	v_add_co_u32_e32 v35, vcc, v35, v43
	v_addc_co_u32_e32 v36, vcc, 0, v36, vcc
	s_andn2_b64 exec, exec, s[76:77]
	s_cbranch_execz .LBB2_4544
.LBB2_4075:                             ;   Parent Loop BB2_2373 Depth=1
                                        ; =>  This Inner Loop Header: Depth=2
	s_trap 2
	ds_read_b64 v[37:38], v0
	s_waitcnt lgkmcnt(0)
	v_cmp_eq_u32_sdwa s[78:79], v37, v29 src0_sel:BYTE_0 src1_sel:DWORD
	v_readfirstlane_b32 s18, v37
	s_and_b64 vcc, exec, s[78:79]
	v_readfirstlane_b32 s19, v38
	s_cbranch_vccnz .LBB2_4079
; %bb.4076:                             ;   in Loop: Header=BB2_4075 Depth=2
	v_cmp_eq_u32_sdwa s[78:79], v37, s50 src0_sel:BYTE_0 src1_sel:DWORD
	s_and_b64 vcc, exec, s[78:79]
	s_brev_b32 s94, 1
	s_cbranch_vccnz .LBB2_4080
; %bb.4077:                             ;   in Loop: Header=BB2_4075 Depth=2
	s_and_b32 s78, s18, 0x7f
	s_cmpk_eq_i32 s78, 0x7f
	s_mov_b32 s94, 0x7f800001
	s_cbranch_scc1 .LBB2_4080
; %bb.4078:                             ;   in Loop: Header=BB2_4075 Depth=2
	s_and_b32 s79, s18, 7
	s_flbit_i32_b32 s79, s79
	s_min_u32 s79, s79, 32
	s_lshr_b32 s88, s78, 3
	s_sub_i32 s89, s79, 28
	s_sub_i32 s79, 29, s79
	s_cmp_lt_u32 s78, 8
	s_cselect_b32 s78, s89, 0
	s_cselect_b32 s88, s79, s88
	s_lshl_b64 s[78:79], s[18:19], s78
	s_lshl_b32 s19, s78, 20
	s_lshl_b32 s18, s18, 24
	;; [unrolled: 1-line block ×3, first 2 shown]
	s_and_b32 s18, s18, 0x80000000
	s_add_i32 s78, s78, 0x3c000000
	s_and_b32 s19, s19, 0x700000
	s_or_b32 s18, s18, s78
	s_or_b32 s94, s18, s19
	s_branch .LBB2_4080
.LBB2_4079:                             ;   in Loop: Header=BB2_4075 Depth=2
	s_mov_b32 s94, 0
.LBB2_4080:                             ;   in Loop: Header=BB2_4075 Depth=2
	flat_load_ubyte v0, v[10:11] glc slc
	v_mov_b32_e32 v1, 0
	s_waitcnt vmcnt(0) lgkmcnt(0)
	v_cmp_ne_u16_e32 vcc, 0, v0
	s_and_saveexec_b64 s[18:19], vcc
	s_cbranch_execz .LBB2_4086
; %bb.4081:                             ;   in Loop: Header=BB2_4075 Depth=2
	v_cmp_ne_u16_e32 vcc, s50, v0
	v_bfrev_b32_e32 v1, 1
	s_and_saveexec_b64 s[78:79], vcc
	s_cbranch_execz .LBB2_4085
; %bb.4082:                             ;   in Loop: Header=BB2_4075 Depth=2
	v_and_b32_e32 v28, 0xffff, v0
	v_and_b32_e32 v3, 0x7f, v28
	v_cmp_ne_u32_e32 vcc, s39, v3
	v_mov_b32_e32 v1, 0x7f800001
	s_and_saveexec_b64 s[88:89], vcc
	s_cbranch_execz .LBB2_4084
; %bb.4083:                             ;   in Loop: Header=BB2_4075 Depth=2
	v_and_b32_e32 v1, 7, v28
	v_lshrrev_b32_e32 v5, 3, v3
	v_cmp_gt_u32_e32 vcc, 8, v3
	v_ffbh_u32_e32 v3, v1
	v_min_u32_e32 v6, 32, v3
	v_subrev_u32_e32 v3, 28, v6
	v_lshlrev_b64 v[3:4], v3, v[28:29]
	v_sub_u32_e32 v4, 29, v6
	v_and_b32_e32 v3, 7, v3
	v_cndmask_b32_e32 v4, v5, v4, vcc
	v_cndmask_b32_e32 v1, v1, v3, vcc
	v_lshlrev_b32_e32 v0, 24, v0
	v_lshlrev_b32_e32 v1, 20, v1
	v_and_b32_e32 v0, 0x80000000, v0
	v_lshl_add_u32 v3, v4, 23, v57
	v_or3_b32 v1, v0, v3, v1
.LBB2_4084:                             ;   in Loop: Header=BB2_4075 Depth=2
	s_or_b64 exec, exec, s[88:89]
.LBB2_4085:                             ;   in Loop: Header=BB2_4075 Depth=2
	s_or_b64 exec, exec, s[78:79]
.LBB2_4086:                             ;   in Loop: Header=BB2_4075 Depth=2
	s_or_b64 exec, exec, s[18:19]
	v_mul_f32_e32 v1, s94, v1
	v_and_b32_e32 v28, 0x7f800000, v1
	v_cmp_ne_u64_e32 vcc, s[46:47], v[28:29]
                                        ; implicit-def: $vgpr3
	s_and_saveexec_b64 s[18:19], vcc
	s_xor_b64 s[78:79], exec, s[18:19]
	s_cbranch_execz .LBB2_4104
; %bb.4087:                             ;   in Loop: Header=BB2_4075 Depth=2
	v_and_b32_e32 v28, 0x7fffffff, v1
	v_cmp_gt_u64_e32 vcc, s[56:57], v[28:29]
	v_and_b32_sdwa v0, v1, s50 dst_sel:DWORD dst_unused:UNUSED_PAD src0_sel:BYTE_3 src1_sel:DWORD
                                        ; implicit-def: $vgpr3
	s_and_saveexec_b64 s[18:19], vcc
	s_xor_b64 s[88:89], exec, s[18:19]
	s_cbranch_execz .LBB2_4101
; %bb.4088:                             ;   in Loop: Header=BB2_4075 Depth=2
	v_cmp_ne_u32_e32 vcc, 0, v1
	v_mov_b32_e32 v3, 0
	s_and_saveexec_b64 s[90:91], vcc
	s_cbranch_execz .LBB2_4100
; %bb.4089:                             ;   in Loop: Header=BB2_4075 Depth=2
	v_and_b32_e32 v4, 0x7fffff, v1
	v_bfe_u32 v1, v1, 23, 8
	v_cmp_gt_u32_e64 s[18:19], s51, v1
	v_sub_u32_e32 v3, 0x79, v1
	v_cmp_eq_u32_e32 vcc, 0, v1
	v_cndmask_b32_e64 v3, 0, v3, s[18:19]
	v_or_b32_e32 v5, 0x800000, v4
	v_cndmask_b32_e32 v3, v3, v58, vcc
	v_cndmask_b32_e32 v28, v5, v4, vcc
	v_add_u32_e32 v4, 20, v3
	v_lshlrev_b64 v[4:5], v4, -1
	v_add_u32_e32 v6, 19, v3
	v_lshlrev_b64 v[6:7], v6, 1
	v_lshrrev_b64 v[37:38], v3, v[28:29]
	v_bfi_b32 v5, v5, 0, 0
	v_bfi_b32 v4, v4, 0, v28
	v_cmp_eq_u64_e64 s[18:19], v[4:5], v[6:7]
	v_mov_b32_e32 v39, v38
	v_mov_b32_e32 v38, v37
	s_and_saveexec_b64 s[92:93], s[18:19]
; %bb.4090:                             ;   in Loop: Header=BB2_4075 Depth=2
	v_bfe_u32 v4, v37, 20, 1
	v_add_co_u32_e64 v4, s[18:19], v37, v4
	v_add_co_u32_e64 v38, s[18:19], -1, v4
; %bb.4091:                             ;   in Loop: Header=BB2_4075 Depth=2
	s_or_b64 exec, exec, s[92:93]
	v_add_u32_e32 v1, 0xffffff81, v1
	v_cndmask_b32_e32 v1, v1, v59, vcc
	v_lshrrev_b32_e32 v4, 23, v37
	v_add3_u32 v4, v3, v1, v4
	v_add_u32_e32 v3, 6, v4
	v_and_b32_e32 v1, 0xfffff, v38
	v_add_u32_e32 v28, v1, v37
	v_cmp_ne_u32_e32 vcc, 0, v3
                                        ; implicit-def: $vgpr37_vgpr38
                                        ; implicit-def: $vgpr1
	s_and_saveexec_b64 s[18:19], vcc
	s_xor_b64 s[18:19], exec, s[18:19]
; %bb.4092:                             ;   in Loop: Header=BB2_4075 Depth=2
	v_cmp_lt_u64_e32 vcc, s[58:59], v[28:29]
	v_add_u32_e32 v1, 7, v4
	v_cndmask_b32_e32 v1, v3, v1, vcc
	v_cndmask_b32_e64 v3, 0, 1, vcc
	v_lshrrev_b64 v[37:38], v3, v[28:29]
; %bb.4093:                             ;   in Loop: Header=BB2_4075 Depth=2
	s_andn2_saveexec_b64 s[18:19], s[18:19]
; %bb.4094:                             ;   in Loop: Header=BB2_4075 Depth=2
	v_mov_b32_e32 v38, v29
	v_bfe_u32 v1, v28, 23, 1
	v_mov_b32_e32 v37, v28
; %bb.4095:                             ;   in Loop: Header=BB2_4075 Depth=2
	s_or_b64 exec, exec, s[18:19]
	v_lshrrev_b64 v[3:4], 20, v[37:38]
	v_cmp_gt_i32_e32 vcc, 16, v1
	v_cndmask_b32_e32 v38, 0, v4, vcc
	v_cndmask_b32_e32 v37, 7, v3, vcc
	v_cmp_ne_u64_e32 vcc, 0, v[37:38]
	v_cmp_ne_u32_e64 s[18:19], 0, v1
	s_or_b64 s[18:19], s[18:19], vcc
                                        ; implicit-def: $vgpr3
	s_and_saveexec_b64 s[92:93], s[18:19]
	s_xor_b64 s[18:19], exec, s[92:93]
; %bb.4096:                             ;   in Loop: Header=BB2_4075 Depth=2
	v_min_i32_e32 v1, 15, v1
	v_lshl_or_b32 v0, v1, 3, v0
	v_and_or_b32 v3, v37, 7, v0
                                        ; implicit-def: $vgpr0
; %bb.4097:                             ;   in Loop: Header=BB2_4075 Depth=2
	s_andn2_saveexec_b64 s[18:19], s[18:19]
; %bb.4098:                             ;   in Loop: Header=BB2_4075 Depth=2
	v_mov_b32_e32 v3, v0
; %bb.4099:                             ;   in Loop: Header=BB2_4075 Depth=2
	s_or_b64 exec, exec, s[18:19]
.LBB2_4100:                             ;   in Loop: Header=BB2_4075 Depth=2
	s_or_b64 exec, exec, s[90:91]
                                        ; implicit-def: $vgpr0
.LBB2_4101:                             ;   in Loop: Header=BB2_4075 Depth=2
	s_andn2_saveexec_b64 s[18:19], s[88:89]
; %bb.4102:                             ;   in Loop: Header=BB2_4075 Depth=2
	v_or_b32_e32 v3, 0x7e, v0
; %bb.4103:                             ;   in Loop: Header=BB2_4075 Depth=2
	s_or_b64 exec, exec, s[18:19]
                                        ; implicit-def: $vgpr1
.LBB2_4104:                             ;   in Loop: Header=BB2_4075 Depth=2
	s_andn2_saveexec_b64 s[18:19], s[78:79]
; %bb.4105:                             ;   in Loop: Header=BB2_4075 Depth=2
	v_or_b32_sdwa v3, v1, s39 dst_sel:DWORD dst_unused:UNUSED_PAD src0_sel:BYTE_3 src1_sel:DWORD
; %bb.4106:                             ;   in Loop: Header=BB2_4075 Depth=2
	s_or_b64 exec, exec, s[18:19]
	flat_load_ubyte v0, v[10:11] offset:64 glc slc
	v_mov_b32_e32 v1, 0
	s_waitcnt vmcnt(0) lgkmcnt(0)
	v_cmp_ne_u16_e32 vcc, 0, v0
	s_and_saveexec_b64 s[18:19], vcc
	s_cbranch_execz .LBB2_4112
; %bb.4107:                             ;   in Loop: Header=BB2_4075 Depth=2
	v_cmp_ne_u16_e32 vcc, s50, v0
	v_bfrev_b32_e32 v1, 1
	s_and_saveexec_b64 s[78:79], vcc
	s_cbranch_execz .LBB2_4111
; %bb.4108:                             ;   in Loop: Header=BB2_4075 Depth=2
	v_and_b32_e32 v28, 0xffff, v0
	v_and_b32_e32 v4, 0x7f, v28
	v_cmp_ne_u32_e32 vcc, s39, v4
	v_mov_b32_e32 v1, 0x7f800001
	s_and_saveexec_b64 s[88:89], vcc
	s_cbranch_execz .LBB2_4110
; %bb.4109:                             ;   in Loop: Header=BB2_4075 Depth=2
	v_and_b32_e32 v1, 7, v28
	v_lshrrev_b32_e32 v6, 3, v4
	v_cmp_gt_u32_e32 vcc, 8, v4
	v_ffbh_u32_e32 v4, v1
	v_min_u32_e32 v7, 32, v4
	v_subrev_u32_e32 v4, 28, v7
	v_lshlrev_b64 v[4:5], v4, v[28:29]
	v_sub_u32_e32 v5, 29, v7
	v_and_b32_e32 v4, 7, v4
	v_cndmask_b32_e32 v5, v6, v5, vcc
	v_cndmask_b32_e32 v1, v1, v4, vcc
	v_lshlrev_b32_e32 v0, 24, v0
	v_lshlrev_b32_e32 v1, 20, v1
	v_and_b32_e32 v0, 0x80000000, v0
	v_lshl_add_u32 v4, v5, 23, v57
	v_or3_b32 v1, v0, v4, v1
.LBB2_4110:                             ;   in Loop: Header=BB2_4075 Depth=2
	s_or_b64 exec, exec, s[88:89]
.LBB2_4111:                             ;   in Loop: Header=BB2_4075 Depth=2
	s_or_b64 exec, exec, s[78:79]
.LBB2_4112:                             ;   in Loop: Header=BB2_4075 Depth=2
	s_or_b64 exec, exec, s[18:19]
	v_mul_f32_e32 v1, s94, v1
	v_and_b32_e32 v28, 0x7f800000, v1
	v_cmp_ne_u64_e32 vcc, s[46:47], v[28:29]
                                        ; implicit-def: $vgpr30
	s_and_saveexec_b64 s[18:19], vcc
	s_xor_b64 s[78:79], exec, s[18:19]
	s_cbranch_execz .LBB2_4130
; %bb.4113:                             ;   in Loop: Header=BB2_4075 Depth=2
	v_and_b32_e32 v28, 0x7fffffff, v1
	v_cmp_gt_u64_e32 vcc, s[56:57], v[28:29]
	v_and_b32_sdwa v0, v1, s50 dst_sel:DWORD dst_unused:UNUSED_PAD src0_sel:BYTE_3 src1_sel:DWORD
                                        ; implicit-def: $vgpr30
	s_and_saveexec_b64 s[18:19], vcc
	s_xor_b64 s[88:89], exec, s[18:19]
	s_cbranch_execz .LBB2_4127
; %bb.4114:                             ;   in Loop: Header=BB2_4075 Depth=2
	v_cmp_ne_u32_e32 vcc, 0, v1
	v_mov_b32_e32 v30, 0
	s_and_saveexec_b64 s[90:91], vcc
	s_cbranch_execz .LBB2_4126
; %bb.4115:                             ;   in Loop: Header=BB2_4075 Depth=2
	v_and_b32_e32 v5, 0x7fffff, v1
	v_bfe_u32 v1, v1, 23, 8
	v_cmp_gt_u32_e64 s[18:19], s51, v1
	v_sub_u32_e32 v4, 0x79, v1
	v_cmp_eq_u32_e32 vcc, 0, v1
	v_cndmask_b32_e64 v4, 0, v4, s[18:19]
	v_or_b32_e32 v6, 0x800000, v5
	v_cndmask_b32_e32 v4, v4, v58, vcc
	v_cndmask_b32_e32 v28, v6, v5, vcc
	v_add_u32_e32 v5, 20, v4
	v_lshlrev_b64 v[5:6], v5, -1
	v_add_u32_e32 v7, 19, v4
	v_lshlrev_b64 v[7:8], v7, 1
	v_lshrrev_b64 v[37:38], v4, v[28:29]
	v_bfi_b32 v6, v6, 0, 0
	v_bfi_b32 v5, v5, 0, v28
	v_cmp_eq_u64_e64 s[18:19], v[5:6], v[7:8]
	v_mov_b32_e32 v39, v38
	v_mov_b32_e32 v38, v37
	s_and_saveexec_b64 s[92:93], s[18:19]
; %bb.4116:                             ;   in Loop: Header=BB2_4075 Depth=2
	v_bfe_u32 v5, v37, 20, 1
	v_add_co_u32_e64 v5, s[18:19], v37, v5
	v_add_co_u32_e64 v38, s[18:19], -1, v5
; %bb.4117:                             ;   in Loop: Header=BB2_4075 Depth=2
	s_or_b64 exec, exec, s[92:93]
	v_add_u32_e32 v1, 0xffffff81, v1
	v_cndmask_b32_e32 v1, v1, v59, vcc
	v_lshrrev_b32_e32 v5, 23, v37
	v_add3_u32 v5, v4, v1, v5
	v_add_u32_e32 v4, 6, v5
	v_and_b32_e32 v1, 0xfffff, v38
	v_add_u32_e32 v28, v1, v37
	v_cmp_ne_u32_e32 vcc, 0, v4
                                        ; implicit-def: $vgpr37_vgpr38
                                        ; implicit-def: $vgpr1
	s_and_saveexec_b64 s[18:19], vcc
	s_xor_b64 s[18:19], exec, s[18:19]
; %bb.4118:                             ;   in Loop: Header=BB2_4075 Depth=2
	v_cmp_lt_u64_e32 vcc, s[58:59], v[28:29]
	v_add_u32_e32 v1, 7, v5
	v_cndmask_b32_e32 v1, v4, v1, vcc
	v_cndmask_b32_e64 v4, 0, 1, vcc
	v_lshrrev_b64 v[37:38], v4, v[28:29]
; %bb.4119:                             ;   in Loop: Header=BB2_4075 Depth=2
	s_andn2_saveexec_b64 s[18:19], s[18:19]
; %bb.4120:                             ;   in Loop: Header=BB2_4075 Depth=2
	v_mov_b32_e32 v38, v29
	v_bfe_u32 v1, v28, 23, 1
	v_mov_b32_e32 v37, v28
; %bb.4121:                             ;   in Loop: Header=BB2_4075 Depth=2
	s_or_b64 exec, exec, s[18:19]
	v_lshrrev_b64 v[4:5], 20, v[37:38]
	v_cmp_gt_i32_e32 vcc, 16, v1
	v_cndmask_b32_e32 v38, 0, v5, vcc
	v_cndmask_b32_e32 v37, 7, v4, vcc
	v_cmp_ne_u64_e32 vcc, 0, v[37:38]
	v_cmp_ne_u32_e64 s[18:19], 0, v1
	s_or_b64 s[18:19], s[18:19], vcc
                                        ; implicit-def: $vgpr30
	s_and_saveexec_b64 s[92:93], s[18:19]
	s_xor_b64 s[18:19], exec, s[92:93]
; %bb.4122:                             ;   in Loop: Header=BB2_4075 Depth=2
	v_min_i32_e32 v1, 15, v1
	v_lshl_or_b32 v0, v1, 3, v0
	v_and_or_b32 v30, v37, 7, v0
                                        ; implicit-def: $vgpr0
; %bb.4123:                             ;   in Loop: Header=BB2_4075 Depth=2
	s_andn2_saveexec_b64 s[18:19], s[18:19]
; %bb.4124:                             ;   in Loop: Header=BB2_4075 Depth=2
	v_mov_b32_e32 v30, v0
; %bb.4125:                             ;   in Loop: Header=BB2_4075 Depth=2
	s_or_b64 exec, exec, s[18:19]
.LBB2_4126:                             ;   in Loop: Header=BB2_4075 Depth=2
	s_or_b64 exec, exec, s[90:91]
                                        ; implicit-def: $vgpr0
.LBB2_4127:                             ;   in Loop: Header=BB2_4075 Depth=2
	s_andn2_saveexec_b64 s[18:19], s[88:89]
; %bb.4128:                             ;   in Loop: Header=BB2_4075 Depth=2
	v_or_b32_e32 v30, 0x7e, v0
; %bb.4129:                             ;   in Loop: Header=BB2_4075 Depth=2
	s_or_b64 exec, exec, s[18:19]
                                        ; implicit-def: $vgpr1
.LBB2_4130:                             ;   in Loop: Header=BB2_4075 Depth=2
	s_andn2_saveexec_b64 s[18:19], s[78:79]
; %bb.4131:                             ;   in Loop: Header=BB2_4075 Depth=2
	v_or_b32_sdwa v30, v1, s39 dst_sel:DWORD dst_unused:UNUSED_PAD src0_sel:BYTE_3 src1_sel:DWORD
; %bb.4132:                             ;   in Loop: Header=BB2_4075 Depth=2
	s_or_b64 exec, exec, s[18:19]
	flat_load_ubyte v0, v[10:11] offset:128 glc slc
	v_mov_b32_e32 v1, 0
	s_waitcnt vmcnt(0) lgkmcnt(0)
	v_cmp_ne_u16_e32 vcc, 0, v0
	s_and_saveexec_b64 s[18:19], vcc
	s_cbranch_execz .LBB2_4138
; %bb.4133:                             ;   in Loop: Header=BB2_4075 Depth=2
	v_cmp_ne_u16_e32 vcc, s50, v0
	v_bfrev_b32_e32 v1, 1
	s_and_saveexec_b64 s[78:79], vcc
	s_cbranch_execz .LBB2_4137
; %bb.4134:                             ;   in Loop: Header=BB2_4075 Depth=2
	v_and_b32_e32 v28, 0xffff, v0
	v_and_b32_e32 v4, 0x7f, v28
	v_cmp_ne_u32_e32 vcc, s39, v4
	v_mov_b32_e32 v1, 0x7f800001
	s_and_saveexec_b64 s[88:89], vcc
	s_cbranch_execz .LBB2_4136
; %bb.4135:                             ;   in Loop: Header=BB2_4075 Depth=2
	v_and_b32_e32 v1, 7, v28
	v_lshrrev_b32_e32 v6, 3, v4
	v_cmp_gt_u32_e32 vcc, 8, v4
	v_ffbh_u32_e32 v4, v1
	v_min_u32_e32 v7, 32, v4
	v_subrev_u32_e32 v4, 28, v7
	v_lshlrev_b64 v[4:5], v4, v[28:29]
	v_sub_u32_e32 v5, 29, v7
	v_and_b32_e32 v4, 7, v4
	v_cndmask_b32_e32 v5, v6, v5, vcc
	v_cndmask_b32_e32 v1, v1, v4, vcc
	v_lshlrev_b32_e32 v0, 24, v0
	v_lshlrev_b32_e32 v1, 20, v1
	v_and_b32_e32 v0, 0x80000000, v0
	v_lshl_add_u32 v4, v5, 23, v57
	v_or3_b32 v1, v0, v4, v1
.LBB2_4136:                             ;   in Loop: Header=BB2_4075 Depth=2
	s_or_b64 exec, exec, s[88:89]
.LBB2_4137:                             ;   in Loop: Header=BB2_4075 Depth=2
	s_or_b64 exec, exec, s[78:79]
.LBB2_4138:                             ;   in Loop: Header=BB2_4075 Depth=2
	s_or_b64 exec, exec, s[18:19]
	v_mul_f32_e32 v1, s94, v1
	v_and_b32_e32 v28, 0x7f800000, v1
	v_cmp_ne_u64_e32 vcc, s[46:47], v[28:29]
                                        ; implicit-def: $vgpr27
	s_and_saveexec_b64 s[18:19], vcc
	s_xor_b64 s[78:79], exec, s[18:19]
	s_cbranch_execz .LBB2_4156
; %bb.4139:                             ;   in Loop: Header=BB2_4075 Depth=2
	v_and_b32_e32 v28, 0x7fffffff, v1
	v_cmp_gt_u64_e32 vcc, s[56:57], v[28:29]
	v_and_b32_sdwa v0, v1, s50 dst_sel:DWORD dst_unused:UNUSED_PAD src0_sel:BYTE_3 src1_sel:DWORD
                                        ; implicit-def: $vgpr27
	s_and_saveexec_b64 s[18:19], vcc
	s_xor_b64 s[88:89], exec, s[18:19]
	s_cbranch_execz .LBB2_4153
; %bb.4140:                             ;   in Loop: Header=BB2_4075 Depth=2
	v_cmp_ne_u32_e32 vcc, 0, v1
	v_mov_b32_e32 v27, 0
	s_and_saveexec_b64 s[90:91], vcc
	s_cbranch_execz .LBB2_4152
; %bb.4141:                             ;   in Loop: Header=BB2_4075 Depth=2
	v_and_b32_e32 v5, 0x7fffff, v1
	v_bfe_u32 v1, v1, 23, 8
	v_cmp_gt_u32_e64 s[18:19], s51, v1
	v_sub_u32_e32 v4, 0x79, v1
	v_cmp_eq_u32_e32 vcc, 0, v1
	v_cndmask_b32_e64 v4, 0, v4, s[18:19]
	v_or_b32_e32 v6, 0x800000, v5
	v_cndmask_b32_e32 v4, v4, v58, vcc
	v_cndmask_b32_e32 v28, v6, v5, vcc
	v_add_u32_e32 v5, 20, v4
	v_lshlrev_b64 v[5:6], v5, -1
	v_add_u32_e32 v7, 19, v4
	v_lshlrev_b64 v[7:8], v7, 1
	v_lshrrev_b64 v[37:38], v4, v[28:29]
	v_bfi_b32 v6, v6, 0, 0
	v_bfi_b32 v5, v5, 0, v28
	v_cmp_eq_u64_e64 s[18:19], v[5:6], v[7:8]
	v_mov_b32_e32 v39, v38
	v_mov_b32_e32 v38, v37
	s_and_saveexec_b64 s[92:93], s[18:19]
; %bb.4142:                             ;   in Loop: Header=BB2_4075 Depth=2
	v_bfe_u32 v5, v37, 20, 1
	v_add_co_u32_e64 v5, s[18:19], v37, v5
	v_add_co_u32_e64 v38, s[18:19], -1, v5
; %bb.4143:                             ;   in Loop: Header=BB2_4075 Depth=2
	s_or_b64 exec, exec, s[92:93]
	v_add_u32_e32 v1, 0xffffff81, v1
	v_cndmask_b32_e32 v1, v1, v59, vcc
	v_lshrrev_b32_e32 v5, 23, v37
	v_add3_u32 v5, v4, v1, v5
	v_add_u32_e32 v4, 6, v5
	v_and_b32_e32 v1, 0xfffff, v38
	v_add_u32_e32 v28, v1, v37
	v_cmp_ne_u32_e32 vcc, 0, v4
                                        ; implicit-def: $vgpr37_vgpr38
                                        ; implicit-def: $vgpr1
	s_and_saveexec_b64 s[18:19], vcc
	s_xor_b64 s[18:19], exec, s[18:19]
; %bb.4144:                             ;   in Loop: Header=BB2_4075 Depth=2
	v_cmp_lt_u64_e32 vcc, s[58:59], v[28:29]
	v_add_u32_e32 v1, 7, v5
	v_cndmask_b32_e32 v1, v4, v1, vcc
	v_cndmask_b32_e64 v4, 0, 1, vcc
	v_lshrrev_b64 v[37:38], v4, v[28:29]
; %bb.4145:                             ;   in Loop: Header=BB2_4075 Depth=2
	s_andn2_saveexec_b64 s[18:19], s[18:19]
; %bb.4146:                             ;   in Loop: Header=BB2_4075 Depth=2
	v_mov_b32_e32 v38, v29
	v_bfe_u32 v1, v28, 23, 1
	v_mov_b32_e32 v37, v28
; %bb.4147:                             ;   in Loop: Header=BB2_4075 Depth=2
	s_or_b64 exec, exec, s[18:19]
	v_lshrrev_b64 v[4:5], 20, v[37:38]
	v_cmp_gt_i32_e32 vcc, 16, v1
	v_cndmask_b32_e32 v38, 0, v5, vcc
	v_cndmask_b32_e32 v37, 7, v4, vcc
	v_cmp_ne_u64_e32 vcc, 0, v[37:38]
	v_cmp_ne_u32_e64 s[18:19], 0, v1
	s_or_b64 s[18:19], s[18:19], vcc
                                        ; implicit-def: $vgpr27
	s_and_saveexec_b64 s[92:93], s[18:19]
	s_xor_b64 s[18:19], exec, s[92:93]
; %bb.4148:                             ;   in Loop: Header=BB2_4075 Depth=2
	v_min_i32_e32 v1, 15, v1
	v_lshl_or_b32 v0, v1, 3, v0
	v_and_or_b32 v27, v37, 7, v0
                                        ; implicit-def: $vgpr0
; %bb.4149:                             ;   in Loop: Header=BB2_4075 Depth=2
	s_andn2_saveexec_b64 s[18:19], s[18:19]
; %bb.4150:                             ;   in Loop: Header=BB2_4075 Depth=2
	v_mov_b32_e32 v27, v0
; %bb.4151:                             ;   in Loop: Header=BB2_4075 Depth=2
	s_or_b64 exec, exec, s[18:19]
.LBB2_4152:                             ;   in Loop: Header=BB2_4075 Depth=2
	s_or_b64 exec, exec, s[90:91]
                                        ; implicit-def: $vgpr0
.LBB2_4153:                             ;   in Loop: Header=BB2_4075 Depth=2
	s_andn2_saveexec_b64 s[18:19], s[88:89]
; %bb.4154:                             ;   in Loop: Header=BB2_4075 Depth=2
	v_or_b32_e32 v27, 0x7e, v0
; %bb.4155:                             ;   in Loop: Header=BB2_4075 Depth=2
	s_or_b64 exec, exec, s[18:19]
                                        ; implicit-def: $vgpr1
.LBB2_4156:                             ;   in Loop: Header=BB2_4075 Depth=2
	s_andn2_saveexec_b64 s[18:19], s[78:79]
; %bb.4157:                             ;   in Loop: Header=BB2_4075 Depth=2
	v_or_b32_sdwa v27, v1, s39 dst_sel:DWORD dst_unused:UNUSED_PAD src0_sel:BYTE_3 src1_sel:DWORD
; %bb.4158:                             ;   in Loop: Header=BB2_4075 Depth=2
	s_or_b64 exec, exec, s[18:19]
	flat_load_ubyte v0, v[10:11] offset:192 glc slc
	v_mov_b32_e32 v1, 0
	s_waitcnt vmcnt(0) lgkmcnt(0)
	v_cmp_ne_u16_e32 vcc, 0, v0
	s_and_saveexec_b64 s[18:19], vcc
	s_cbranch_execz .LBB2_4164
; %bb.4159:                             ;   in Loop: Header=BB2_4075 Depth=2
	v_cmp_ne_u16_e32 vcc, s50, v0
	v_bfrev_b32_e32 v1, 1
	s_and_saveexec_b64 s[78:79], vcc
	s_cbranch_execz .LBB2_4163
; %bb.4160:                             ;   in Loop: Header=BB2_4075 Depth=2
	v_and_b32_e32 v28, 0xffff, v0
	v_and_b32_e32 v4, 0x7f, v28
	v_cmp_ne_u32_e32 vcc, s39, v4
	v_mov_b32_e32 v1, 0x7f800001
	s_and_saveexec_b64 s[88:89], vcc
	s_cbranch_execz .LBB2_4162
; %bb.4161:                             ;   in Loop: Header=BB2_4075 Depth=2
	v_and_b32_e32 v1, 7, v28
	v_lshrrev_b32_e32 v6, 3, v4
	v_cmp_gt_u32_e32 vcc, 8, v4
	v_ffbh_u32_e32 v4, v1
	v_min_u32_e32 v7, 32, v4
	v_subrev_u32_e32 v4, 28, v7
	v_lshlrev_b64 v[4:5], v4, v[28:29]
	v_sub_u32_e32 v5, 29, v7
	v_and_b32_e32 v4, 7, v4
	v_cndmask_b32_e32 v5, v6, v5, vcc
	v_cndmask_b32_e32 v1, v1, v4, vcc
	v_lshlrev_b32_e32 v0, 24, v0
	v_lshlrev_b32_e32 v1, 20, v1
	v_and_b32_e32 v0, 0x80000000, v0
	v_lshl_add_u32 v4, v5, 23, v57
	v_or3_b32 v1, v0, v4, v1
.LBB2_4162:                             ;   in Loop: Header=BB2_4075 Depth=2
	s_or_b64 exec, exec, s[88:89]
.LBB2_4163:                             ;   in Loop: Header=BB2_4075 Depth=2
	s_or_b64 exec, exec, s[78:79]
.LBB2_4164:                             ;   in Loop: Header=BB2_4075 Depth=2
	s_or_b64 exec, exec, s[18:19]
	v_mul_f32_e32 v1, s94, v1
	v_and_b32_e32 v28, 0x7f800000, v1
	v_cmp_ne_u64_e32 vcc, s[46:47], v[28:29]
                                        ; implicit-def: $vgpr26
	s_and_saveexec_b64 s[18:19], vcc
	s_xor_b64 s[78:79], exec, s[18:19]
	s_cbranch_execz .LBB2_4182
; %bb.4165:                             ;   in Loop: Header=BB2_4075 Depth=2
	v_and_b32_e32 v28, 0x7fffffff, v1
	v_cmp_gt_u64_e32 vcc, s[56:57], v[28:29]
	v_and_b32_sdwa v0, v1, s50 dst_sel:DWORD dst_unused:UNUSED_PAD src0_sel:BYTE_3 src1_sel:DWORD
                                        ; implicit-def: $vgpr26
	s_and_saveexec_b64 s[18:19], vcc
	s_xor_b64 s[88:89], exec, s[18:19]
	s_cbranch_execz .LBB2_4179
; %bb.4166:                             ;   in Loop: Header=BB2_4075 Depth=2
	v_cmp_ne_u32_e32 vcc, 0, v1
	v_mov_b32_e32 v26, 0
	s_and_saveexec_b64 s[90:91], vcc
	s_cbranch_execz .LBB2_4178
; %bb.4167:                             ;   in Loop: Header=BB2_4075 Depth=2
	v_and_b32_e32 v5, 0x7fffff, v1
	v_bfe_u32 v1, v1, 23, 8
	v_cmp_gt_u32_e64 s[18:19], s51, v1
	v_sub_u32_e32 v4, 0x79, v1
	v_cmp_eq_u32_e32 vcc, 0, v1
	v_cndmask_b32_e64 v4, 0, v4, s[18:19]
	v_or_b32_e32 v6, 0x800000, v5
	v_cndmask_b32_e32 v4, v4, v58, vcc
	v_cndmask_b32_e32 v28, v6, v5, vcc
	v_add_u32_e32 v5, 20, v4
	v_lshlrev_b64 v[5:6], v5, -1
	v_add_u32_e32 v7, 19, v4
	v_lshlrev_b64 v[7:8], v7, 1
	v_lshrrev_b64 v[37:38], v4, v[28:29]
	v_bfi_b32 v6, v6, 0, 0
	v_bfi_b32 v5, v5, 0, v28
	v_cmp_eq_u64_e64 s[18:19], v[5:6], v[7:8]
	v_mov_b32_e32 v39, v38
	v_mov_b32_e32 v38, v37
	s_and_saveexec_b64 s[92:93], s[18:19]
; %bb.4168:                             ;   in Loop: Header=BB2_4075 Depth=2
	v_bfe_u32 v5, v37, 20, 1
	v_add_co_u32_e64 v5, s[18:19], v37, v5
	v_add_co_u32_e64 v38, s[18:19], -1, v5
; %bb.4169:                             ;   in Loop: Header=BB2_4075 Depth=2
	s_or_b64 exec, exec, s[92:93]
	v_add_u32_e32 v1, 0xffffff81, v1
	v_cndmask_b32_e32 v1, v1, v59, vcc
	v_lshrrev_b32_e32 v5, 23, v37
	v_add3_u32 v5, v4, v1, v5
	v_add_u32_e32 v4, 6, v5
	v_and_b32_e32 v1, 0xfffff, v38
	v_add_u32_e32 v28, v1, v37
	v_cmp_ne_u32_e32 vcc, 0, v4
                                        ; implicit-def: $vgpr37_vgpr38
                                        ; implicit-def: $vgpr1
	s_and_saveexec_b64 s[18:19], vcc
	s_xor_b64 s[18:19], exec, s[18:19]
; %bb.4170:                             ;   in Loop: Header=BB2_4075 Depth=2
	v_cmp_lt_u64_e32 vcc, s[58:59], v[28:29]
	v_add_u32_e32 v1, 7, v5
	v_cndmask_b32_e32 v1, v4, v1, vcc
	v_cndmask_b32_e64 v4, 0, 1, vcc
	v_lshrrev_b64 v[37:38], v4, v[28:29]
; %bb.4171:                             ;   in Loop: Header=BB2_4075 Depth=2
	s_andn2_saveexec_b64 s[18:19], s[18:19]
; %bb.4172:                             ;   in Loop: Header=BB2_4075 Depth=2
	v_mov_b32_e32 v38, v29
	v_bfe_u32 v1, v28, 23, 1
	v_mov_b32_e32 v37, v28
; %bb.4173:                             ;   in Loop: Header=BB2_4075 Depth=2
	s_or_b64 exec, exec, s[18:19]
	v_lshrrev_b64 v[4:5], 20, v[37:38]
	v_cmp_gt_i32_e32 vcc, 16, v1
	v_cndmask_b32_e32 v38, 0, v5, vcc
	v_cndmask_b32_e32 v37, 7, v4, vcc
	v_cmp_ne_u64_e32 vcc, 0, v[37:38]
	v_cmp_ne_u32_e64 s[18:19], 0, v1
	s_or_b64 s[18:19], s[18:19], vcc
                                        ; implicit-def: $vgpr26
	s_and_saveexec_b64 s[92:93], s[18:19]
	s_xor_b64 s[18:19], exec, s[92:93]
; %bb.4174:                             ;   in Loop: Header=BB2_4075 Depth=2
	v_min_i32_e32 v1, 15, v1
	v_lshl_or_b32 v0, v1, 3, v0
	v_and_or_b32 v26, v37, 7, v0
                                        ; implicit-def: $vgpr0
; %bb.4175:                             ;   in Loop: Header=BB2_4075 Depth=2
	s_andn2_saveexec_b64 s[18:19], s[18:19]
; %bb.4176:                             ;   in Loop: Header=BB2_4075 Depth=2
	v_mov_b32_e32 v26, v0
; %bb.4177:                             ;   in Loop: Header=BB2_4075 Depth=2
	s_or_b64 exec, exec, s[18:19]
.LBB2_4178:                             ;   in Loop: Header=BB2_4075 Depth=2
	s_or_b64 exec, exec, s[90:91]
                                        ; implicit-def: $vgpr0
.LBB2_4179:                             ;   in Loop: Header=BB2_4075 Depth=2
	s_andn2_saveexec_b64 s[18:19], s[88:89]
; %bb.4180:                             ;   in Loop: Header=BB2_4075 Depth=2
	v_or_b32_e32 v26, 0x7e, v0
; %bb.4181:                             ;   in Loop: Header=BB2_4075 Depth=2
	s_or_b64 exec, exec, s[18:19]
                                        ; implicit-def: $vgpr1
.LBB2_4182:                             ;   in Loop: Header=BB2_4075 Depth=2
	s_andn2_saveexec_b64 s[18:19], s[78:79]
; %bb.4183:                             ;   in Loop: Header=BB2_4075 Depth=2
	v_or_b32_sdwa v26, v1, s39 dst_sel:DWORD dst_unused:UNUSED_PAD src0_sel:BYTE_3 src1_sel:DWORD
; %bb.4184:                             ;   in Loop: Header=BB2_4075 Depth=2
	s_or_b64 exec, exec, s[18:19]
	flat_load_ubyte v0, v[10:11] offset:256 glc slc
	v_mov_b32_e32 v1, 0
	s_waitcnt vmcnt(0) lgkmcnt(0)
	v_cmp_ne_u16_e32 vcc, 0, v0
	s_and_saveexec_b64 s[18:19], vcc
	s_cbranch_execz .LBB2_4190
; %bb.4185:                             ;   in Loop: Header=BB2_4075 Depth=2
	v_cmp_ne_u16_e32 vcc, s50, v0
	v_bfrev_b32_e32 v1, 1
	s_and_saveexec_b64 s[78:79], vcc
	s_cbranch_execz .LBB2_4189
; %bb.4186:                             ;   in Loop: Header=BB2_4075 Depth=2
	v_and_b32_e32 v28, 0xffff, v0
	v_and_b32_e32 v4, 0x7f, v28
	v_cmp_ne_u32_e32 vcc, s39, v4
	v_mov_b32_e32 v1, 0x7f800001
	s_and_saveexec_b64 s[88:89], vcc
	s_cbranch_execz .LBB2_4188
; %bb.4187:                             ;   in Loop: Header=BB2_4075 Depth=2
	v_and_b32_e32 v1, 7, v28
	v_lshrrev_b32_e32 v6, 3, v4
	v_cmp_gt_u32_e32 vcc, 8, v4
	v_ffbh_u32_e32 v4, v1
	v_min_u32_e32 v7, 32, v4
	v_subrev_u32_e32 v4, 28, v7
	v_lshlrev_b64 v[4:5], v4, v[28:29]
	v_sub_u32_e32 v5, 29, v7
	v_and_b32_e32 v4, 7, v4
	v_cndmask_b32_e32 v5, v6, v5, vcc
	v_cndmask_b32_e32 v1, v1, v4, vcc
	v_lshlrev_b32_e32 v0, 24, v0
	v_lshlrev_b32_e32 v1, 20, v1
	v_and_b32_e32 v0, 0x80000000, v0
	v_lshl_add_u32 v4, v5, 23, v57
	v_or3_b32 v1, v0, v4, v1
.LBB2_4188:                             ;   in Loop: Header=BB2_4075 Depth=2
	s_or_b64 exec, exec, s[88:89]
.LBB2_4189:                             ;   in Loop: Header=BB2_4075 Depth=2
	s_or_b64 exec, exec, s[78:79]
.LBB2_4190:                             ;   in Loop: Header=BB2_4075 Depth=2
	s_or_b64 exec, exec, s[18:19]
	v_mul_f32_e32 v1, s94, v1
	v_and_b32_e32 v28, 0x7f800000, v1
	v_cmp_ne_u64_e32 vcc, s[46:47], v[28:29]
                                        ; implicit-def: $vgpr21
	s_and_saveexec_b64 s[18:19], vcc
	s_xor_b64 s[78:79], exec, s[18:19]
	s_cbranch_execz .LBB2_4208
; %bb.4191:                             ;   in Loop: Header=BB2_4075 Depth=2
	v_and_b32_e32 v28, 0x7fffffff, v1
	v_cmp_gt_u64_e32 vcc, s[56:57], v[28:29]
	v_and_b32_sdwa v0, v1, s50 dst_sel:DWORD dst_unused:UNUSED_PAD src0_sel:BYTE_3 src1_sel:DWORD
                                        ; implicit-def: $vgpr21
	s_and_saveexec_b64 s[18:19], vcc
	s_xor_b64 s[88:89], exec, s[18:19]
	s_cbranch_execz .LBB2_4205
; %bb.4192:                             ;   in Loop: Header=BB2_4075 Depth=2
	v_cmp_ne_u32_e32 vcc, 0, v1
	v_mov_b32_e32 v21, 0
	s_and_saveexec_b64 s[90:91], vcc
	s_cbranch_execz .LBB2_4204
; %bb.4193:                             ;   in Loop: Header=BB2_4075 Depth=2
	v_and_b32_e32 v5, 0x7fffff, v1
	v_bfe_u32 v1, v1, 23, 8
	v_cmp_gt_u32_e64 s[18:19], s51, v1
	v_sub_u32_e32 v4, 0x79, v1
	v_cmp_eq_u32_e32 vcc, 0, v1
	v_cndmask_b32_e64 v4, 0, v4, s[18:19]
	v_or_b32_e32 v6, 0x800000, v5
	v_cndmask_b32_e32 v4, v4, v58, vcc
	v_cndmask_b32_e32 v28, v6, v5, vcc
	v_add_u32_e32 v5, 20, v4
	v_lshlrev_b64 v[5:6], v5, -1
	v_add_u32_e32 v7, 19, v4
	v_lshlrev_b64 v[7:8], v7, 1
	v_lshrrev_b64 v[37:38], v4, v[28:29]
	v_bfi_b32 v6, v6, 0, 0
	v_bfi_b32 v5, v5, 0, v28
	v_cmp_eq_u64_e64 s[18:19], v[5:6], v[7:8]
	v_mov_b32_e32 v39, v38
	v_mov_b32_e32 v38, v37
	s_and_saveexec_b64 s[92:93], s[18:19]
; %bb.4194:                             ;   in Loop: Header=BB2_4075 Depth=2
	v_bfe_u32 v5, v37, 20, 1
	v_add_co_u32_e64 v5, s[18:19], v37, v5
	v_add_co_u32_e64 v38, s[18:19], -1, v5
; %bb.4195:                             ;   in Loop: Header=BB2_4075 Depth=2
	s_or_b64 exec, exec, s[92:93]
	v_add_u32_e32 v1, 0xffffff81, v1
	v_cndmask_b32_e32 v1, v1, v59, vcc
	v_lshrrev_b32_e32 v5, 23, v37
	v_add3_u32 v5, v4, v1, v5
	v_add_u32_e32 v4, 6, v5
	v_and_b32_e32 v1, 0xfffff, v38
	v_add_u32_e32 v28, v1, v37
	v_cmp_ne_u32_e32 vcc, 0, v4
                                        ; implicit-def: $vgpr37_vgpr38
                                        ; implicit-def: $vgpr1
	s_and_saveexec_b64 s[18:19], vcc
	s_xor_b64 s[18:19], exec, s[18:19]
; %bb.4196:                             ;   in Loop: Header=BB2_4075 Depth=2
	v_cmp_lt_u64_e32 vcc, s[58:59], v[28:29]
	v_add_u32_e32 v1, 7, v5
	v_cndmask_b32_e32 v1, v4, v1, vcc
	v_cndmask_b32_e64 v4, 0, 1, vcc
	v_lshrrev_b64 v[37:38], v4, v[28:29]
; %bb.4197:                             ;   in Loop: Header=BB2_4075 Depth=2
	s_andn2_saveexec_b64 s[18:19], s[18:19]
; %bb.4198:                             ;   in Loop: Header=BB2_4075 Depth=2
	v_mov_b32_e32 v38, v29
	v_bfe_u32 v1, v28, 23, 1
	v_mov_b32_e32 v37, v28
; %bb.4199:                             ;   in Loop: Header=BB2_4075 Depth=2
	s_or_b64 exec, exec, s[18:19]
	v_lshrrev_b64 v[4:5], 20, v[37:38]
	v_cmp_gt_i32_e32 vcc, 16, v1
	v_cndmask_b32_e32 v38, 0, v5, vcc
	v_cndmask_b32_e32 v37, 7, v4, vcc
	v_cmp_ne_u64_e32 vcc, 0, v[37:38]
	v_cmp_ne_u32_e64 s[18:19], 0, v1
	s_or_b64 s[18:19], s[18:19], vcc
                                        ; implicit-def: $vgpr21
	s_and_saveexec_b64 s[92:93], s[18:19]
	s_xor_b64 s[18:19], exec, s[92:93]
; %bb.4200:                             ;   in Loop: Header=BB2_4075 Depth=2
	v_min_i32_e32 v1, 15, v1
	v_lshl_or_b32 v0, v1, 3, v0
	v_and_or_b32 v21, v37, 7, v0
                                        ; implicit-def: $vgpr0
; %bb.4201:                             ;   in Loop: Header=BB2_4075 Depth=2
	s_andn2_saveexec_b64 s[18:19], s[18:19]
; %bb.4202:                             ;   in Loop: Header=BB2_4075 Depth=2
	v_mov_b32_e32 v21, v0
; %bb.4203:                             ;   in Loop: Header=BB2_4075 Depth=2
	s_or_b64 exec, exec, s[18:19]
.LBB2_4204:                             ;   in Loop: Header=BB2_4075 Depth=2
	s_or_b64 exec, exec, s[90:91]
                                        ; implicit-def: $vgpr0
.LBB2_4205:                             ;   in Loop: Header=BB2_4075 Depth=2
	s_andn2_saveexec_b64 s[18:19], s[88:89]
; %bb.4206:                             ;   in Loop: Header=BB2_4075 Depth=2
	v_or_b32_e32 v21, 0x7e, v0
; %bb.4207:                             ;   in Loop: Header=BB2_4075 Depth=2
	s_or_b64 exec, exec, s[18:19]
                                        ; implicit-def: $vgpr1
.LBB2_4208:                             ;   in Loop: Header=BB2_4075 Depth=2
	s_andn2_saveexec_b64 s[18:19], s[78:79]
; %bb.4209:                             ;   in Loop: Header=BB2_4075 Depth=2
	v_or_b32_sdwa v21, v1, s39 dst_sel:DWORD dst_unused:UNUSED_PAD src0_sel:BYTE_3 src1_sel:DWORD
; %bb.4210:                             ;   in Loop: Header=BB2_4075 Depth=2
	s_or_b64 exec, exec, s[18:19]
	flat_load_ubyte v0, v[10:11] offset:320 glc slc
	v_mov_b32_e32 v1, 0
	s_waitcnt vmcnt(0) lgkmcnt(0)
	v_cmp_ne_u16_e32 vcc, 0, v0
	s_and_saveexec_b64 s[18:19], vcc
	s_cbranch_execz .LBB2_4216
; %bb.4211:                             ;   in Loop: Header=BB2_4075 Depth=2
	v_cmp_ne_u16_e32 vcc, s50, v0
	v_bfrev_b32_e32 v1, 1
	s_and_saveexec_b64 s[78:79], vcc
	s_cbranch_execz .LBB2_4215
; %bb.4212:                             ;   in Loop: Header=BB2_4075 Depth=2
	v_and_b32_e32 v28, 0xffff, v0
	v_and_b32_e32 v4, 0x7f, v28
	v_cmp_ne_u32_e32 vcc, s39, v4
	v_mov_b32_e32 v1, 0x7f800001
	s_and_saveexec_b64 s[88:89], vcc
	s_cbranch_execz .LBB2_4214
; %bb.4213:                             ;   in Loop: Header=BB2_4075 Depth=2
	v_and_b32_e32 v1, 7, v28
	v_lshrrev_b32_e32 v6, 3, v4
	v_cmp_gt_u32_e32 vcc, 8, v4
	v_ffbh_u32_e32 v4, v1
	v_min_u32_e32 v7, 32, v4
	v_subrev_u32_e32 v4, 28, v7
	v_lshlrev_b64 v[4:5], v4, v[28:29]
	v_sub_u32_e32 v5, 29, v7
	v_and_b32_e32 v4, 7, v4
	v_cndmask_b32_e32 v5, v6, v5, vcc
	v_cndmask_b32_e32 v1, v1, v4, vcc
	v_lshlrev_b32_e32 v0, 24, v0
	v_lshlrev_b32_e32 v1, 20, v1
	v_and_b32_e32 v0, 0x80000000, v0
	v_lshl_add_u32 v4, v5, 23, v57
	v_or3_b32 v1, v0, v4, v1
.LBB2_4214:                             ;   in Loop: Header=BB2_4075 Depth=2
	s_or_b64 exec, exec, s[88:89]
.LBB2_4215:                             ;   in Loop: Header=BB2_4075 Depth=2
	s_or_b64 exec, exec, s[78:79]
.LBB2_4216:                             ;   in Loop: Header=BB2_4075 Depth=2
	s_or_b64 exec, exec, s[18:19]
	v_mul_f32_e32 v1, s94, v1
	v_and_b32_e32 v28, 0x7f800000, v1
	v_cmp_ne_u64_e32 vcc, s[46:47], v[28:29]
                                        ; implicit-def: $vgpr20
	s_and_saveexec_b64 s[18:19], vcc
	s_xor_b64 s[78:79], exec, s[18:19]
	s_cbranch_execz .LBB2_4234
; %bb.4217:                             ;   in Loop: Header=BB2_4075 Depth=2
	v_and_b32_e32 v28, 0x7fffffff, v1
	v_cmp_gt_u64_e32 vcc, s[56:57], v[28:29]
	v_and_b32_sdwa v0, v1, s50 dst_sel:DWORD dst_unused:UNUSED_PAD src0_sel:BYTE_3 src1_sel:DWORD
                                        ; implicit-def: $vgpr20
	s_and_saveexec_b64 s[18:19], vcc
	s_xor_b64 s[88:89], exec, s[18:19]
	s_cbranch_execz .LBB2_4231
; %bb.4218:                             ;   in Loop: Header=BB2_4075 Depth=2
	v_cmp_ne_u32_e32 vcc, 0, v1
	v_mov_b32_e32 v20, 0
	s_and_saveexec_b64 s[90:91], vcc
	s_cbranch_execz .LBB2_4230
; %bb.4219:                             ;   in Loop: Header=BB2_4075 Depth=2
	v_and_b32_e32 v5, 0x7fffff, v1
	v_bfe_u32 v1, v1, 23, 8
	v_cmp_gt_u32_e64 s[18:19], s51, v1
	v_sub_u32_e32 v4, 0x79, v1
	v_cmp_eq_u32_e32 vcc, 0, v1
	v_cndmask_b32_e64 v4, 0, v4, s[18:19]
	v_or_b32_e32 v6, 0x800000, v5
	v_cndmask_b32_e32 v4, v4, v58, vcc
	v_cndmask_b32_e32 v28, v6, v5, vcc
	v_add_u32_e32 v5, 20, v4
	v_lshlrev_b64 v[5:6], v5, -1
	v_add_u32_e32 v7, 19, v4
	v_lshlrev_b64 v[7:8], v7, 1
	v_lshrrev_b64 v[37:38], v4, v[28:29]
	v_bfi_b32 v6, v6, 0, 0
	v_bfi_b32 v5, v5, 0, v28
	v_cmp_eq_u64_e64 s[18:19], v[5:6], v[7:8]
	v_mov_b32_e32 v39, v38
	v_mov_b32_e32 v38, v37
	s_and_saveexec_b64 s[92:93], s[18:19]
; %bb.4220:                             ;   in Loop: Header=BB2_4075 Depth=2
	v_bfe_u32 v5, v37, 20, 1
	v_add_co_u32_e64 v5, s[18:19], v37, v5
	v_add_co_u32_e64 v38, s[18:19], -1, v5
; %bb.4221:                             ;   in Loop: Header=BB2_4075 Depth=2
	s_or_b64 exec, exec, s[92:93]
	v_add_u32_e32 v1, 0xffffff81, v1
	v_cndmask_b32_e32 v1, v1, v59, vcc
	v_lshrrev_b32_e32 v5, 23, v37
	v_add3_u32 v5, v4, v1, v5
	v_add_u32_e32 v4, 6, v5
	v_and_b32_e32 v1, 0xfffff, v38
	v_add_u32_e32 v28, v1, v37
	v_cmp_ne_u32_e32 vcc, 0, v4
                                        ; implicit-def: $vgpr37_vgpr38
                                        ; implicit-def: $vgpr1
	s_and_saveexec_b64 s[18:19], vcc
	s_xor_b64 s[18:19], exec, s[18:19]
; %bb.4222:                             ;   in Loop: Header=BB2_4075 Depth=2
	v_cmp_lt_u64_e32 vcc, s[58:59], v[28:29]
	v_add_u32_e32 v1, 7, v5
	v_cndmask_b32_e32 v1, v4, v1, vcc
	v_cndmask_b32_e64 v4, 0, 1, vcc
	v_lshrrev_b64 v[37:38], v4, v[28:29]
; %bb.4223:                             ;   in Loop: Header=BB2_4075 Depth=2
	s_andn2_saveexec_b64 s[18:19], s[18:19]
; %bb.4224:                             ;   in Loop: Header=BB2_4075 Depth=2
	v_mov_b32_e32 v38, v29
	v_bfe_u32 v1, v28, 23, 1
	v_mov_b32_e32 v37, v28
; %bb.4225:                             ;   in Loop: Header=BB2_4075 Depth=2
	s_or_b64 exec, exec, s[18:19]
	v_lshrrev_b64 v[4:5], 20, v[37:38]
	v_cmp_gt_i32_e32 vcc, 16, v1
	v_cndmask_b32_e32 v38, 0, v5, vcc
	v_cndmask_b32_e32 v37, 7, v4, vcc
	v_cmp_ne_u64_e32 vcc, 0, v[37:38]
	v_cmp_ne_u32_e64 s[18:19], 0, v1
	s_or_b64 s[18:19], s[18:19], vcc
                                        ; implicit-def: $vgpr20
	s_and_saveexec_b64 s[92:93], s[18:19]
	s_xor_b64 s[18:19], exec, s[92:93]
; %bb.4226:                             ;   in Loop: Header=BB2_4075 Depth=2
	v_min_i32_e32 v1, 15, v1
	v_lshl_or_b32 v0, v1, 3, v0
	v_and_or_b32 v20, v37, 7, v0
                                        ; implicit-def: $vgpr0
; %bb.4227:                             ;   in Loop: Header=BB2_4075 Depth=2
	s_andn2_saveexec_b64 s[18:19], s[18:19]
; %bb.4228:                             ;   in Loop: Header=BB2_4075 Depth=2
	v_mov_b32_e32 v20, v0
; %bb.4229:                             ;   in Loop: Header=BB2_4075 Depth=2
	s_or_b64 exec, exec, s[18:19]
.LBB2_4230:                             ;   in Loop: Header=BB2_4075 Depth=2
	s_or_b64 exec, exec, s[90:91]
                                        ; implicit-def: $vgpr0
.LBB2_4231:                             ;   in Loop: Header=BB2_4075 Depth=2
	s_andn2_saveexec_b64 s[18:19], s[88:89]
; %bb.4232:                             ;   in Loop: Header=BB2_4075 Depth=2
	v_or_b32_e32 v20, 0x7e, v0
; %bb.4233:                             ;   in Loop: Header=BB2_4075 Depth=2
	s_or_b64 exec, exec, s[18:19]
                                        ; implicit-def: $vgpr1
.LBB2_4234:                             ;   in Loop: Header=BB2_4075 Depth=2
	s_andn2_saveexec_b64 s[18:19], s[78:79]
; %bb.4235:                             ;   in Loop: Header=BB2_4075 Depth=2
	v_or_b32_sdwa v20, v1, s39 dst_sel:DWORD dst_unused:UNUSED_PAD src0_sel:BYTE_3 src1_sel:DWORD
; %bb.4236:                             ;   in Loop: Header=BB2_4075 Depth=2
	s_or_b64 exec, exec, s[18:19]
	flat_load_ubyte v0, v[10:11] offset:384 glc slc
	v_mov_b32_e32 v1, 0
	s_waitcnt vmcnt(0) lgkmcnt(0)
	v_cmp_ne_u16_e32 vcc, 0, v0
	s_and_saveexec_b64 s[18:19], vcc
	s_cbranch_execz .LBB2_4242
; %bb.4237:                             ;   in Loop: Header=BB2_4075 Depth=2
	v_cmp_ne_u16_e32 vcc, s50, v0
	v_bfrev_b32_e32 v1, 1
	s_and_saveexec_b64 s[78:79], vcc
	s_cbranch_execz .LBB2_4241
; %bb.4238:                             ;   in Loop: Header=BB2_4075 Depth=2
	v_and_b32_e32 v28, 0xffff, v0
	v_and_b32_e32 v4, 0x7f, v28
	v_cmp_ne_u32_e32 vcc, s39, v4
	v_mov_b32_e32 v1, 0x7f800001
	s_and_saveexec_b64 s[88:89], vcc
	s_cbranch_execz .LBB2_4240
; %bb.4239:                             ;   in Loop: Header=BB2_4075 Depth=2
	v_and_b32_e32 v1, 7, v28
	v_lshrrev_b32_e32 v6, 3, v4
	v_cmp_gt_u32_e32 vcc, 8, v4
	v_ffbh_u32_e32 v4, v1
	v_min_u32_e32 v7, 32, v4
	v_subrev_u32_e32 v4, 28, v7
	v_lshlrev_b64 v[4:5], v4, v[28:29]
	v_sub_u32_e32 v5, 29, v7
	v_and_b32_e32 v4, 7, v4
	v_cndmask_b32_e32 v5, v6, v5, vcc
	v_cndmask_b32_e32 v1, v1, v4, vcc
	v_lshlrev_b32_e32 v0, 24, v0
	v_lshlrev_b32_e32 v1, 20, v1
	v_and_b32_e32 v0, 0x80000000, v0
	v_lshl_add_u32 v4, v5, 23, v57
	v_or3_b32 v1, v0, v4, v1
.LBB2_4240:                             ;   in Loop: Header=BB2_4075 Depth=2
	s_or_b64 exec, exec, s[88:89]
.LBB2_4241:                             ;   in Loop: Header=BB2_4075 Depth=2
	s_or_b64 exec, exec, s[78:79]
.LBB2_4242:                             ;   in Loop: Header=BB2_4075 Depth=2
	s_or_b64 exec, exec, s[18:19]
	v_mul_f32_e32 v1, s94, v1
	v_and_b32_e32 v28, 0x7f800000, v1
	v_cmp_ne_u64_e32 vcc, s[46:47], v[28:29]
                                        ; implicit-def: $vgpr17
	s_and_saveexec_b64 s[18:19], vcc
	s_xor_b64 s[78:79], exec, s[18:19]
	s_cbranch_execz .LBB2_4260
; %bb.4243:                             ;   in Loop: Header=BB2_4075 Depth=2
	v_and_b32_e32 v28, 0x7fffffff, v1
	v_cmp_gt_u64_e32 vcc, s[56:57], v[28:29]
	v_and_b32_sdwa v0, v1, s50 dst_sel:DWORD dst_unused:UNUSED_PAD src0_sel:BYTE_3 src1_sel:DWORD
                                        ; implicit-def: $vgpr17
	s_and_saveexec_b64 s[18:19], vcc
	s_xor_b64 s[88:89], exec, s[18:19]
	s_cbranch_execz .LBB2_4257
; %bb.4244:                             ;   in Loop: Header=BB2_4075 Depth=2
	v_cmp_ne_u32_e32 vcc, 0, v1
	v_mov_b32_e32 v17, 0
	s_and_saveexec_b64 s[90:91], vcc
	s_cbranch_execz .LBB2_4256
; %bb.4245:                             ;   in Loop: Header=BB2_4075 Depth=2
	v_and_b32_e32 v5, 0x7fffff, v1
	v_bfe_u32 v1, v1, 23, 8
	v_cmp_gt_u32_e64 s[18:19], s51, v1
	v_sub_u32_e32 v4, 0x79, v1
	v_cmp_eq_u32_e32 vcc, 0, v1
	v_cndmask_b32_e64 v4, 0, v4, s[18:19]
	v_or_b32_e32 v6, 0x800000, v5
	v_cndmask_b32_e32 v4, v4, v58, vcc
	v_cndmask_b32_e32 v28, v6, v5, vcc
	v_add_u32_e32 v5, 20, v4
	v_lshlrev_b64 v[5:6], v5, -1
	v_add_u32_e32 v7, 19, v4
	v_lshlrev_b64 v[7:8], v7, 1
	v_lshrrev_b64 v[37:38], v4, v[28:29]
	v_bfi_b32 v6, v6, 0, 0
	v_bfi_b32 v5, v5, 0, v28
	v_cmp_eq_u64_e64 s[18:19], v[5:6], v[7:8]
	v_mov_b32_e32 v39, v38
	v_mov_b32_e32 v38, v37
	s_and_saveexec_b64 s[92:93], s[18:19]
; %bb.4246:                             ;   in Loop: Header=BB2_4075 Depth=2
	v_bfe_u32 v5, v37, 20, 1
	v_add_co_u32_e64 v5, s[18:19], v37, v5
	v_add_co_u32_e64 v38, s[18:19], -1, v5
; %bb.4247:                             ;   in Loop: Header=BB2_4075 Depth=2
	s_or_b64 exec, exec, s[92:93]
	v_add_u32_e32 v1, 0xffffff81, v1
	v_cndmask_b32_e32 v1, v1, v59, vcc
	v_lshrrev_b32_e32 v5, 23, v37
	v_add3_u32 v5, v4, v1, v5
	v_add_u32_e32 v4, 6, v5
	v_and_b32_e32 v1, 0xfffff, v38
	v_add_u32_e32 v28, v1, v37
	v_cmp_ne_u32_e32 vcc, 0, v4
                                        ; implicit-def: $vgpr37_vgpr38
                                        ; implicit-def: $vgpr1
	s_and_saveexec_b64 s[18:19], vcc
	s_xor_b64 s[18:19], exec, s[18:19]
; %bb.4248:                             ;   in Loop: Header=BB2_4075 Depth=2
	v_cmp_lt_u64_e32 vcc, s[58:59], v[28:29]
	v_add_u32_e32 v1, 7, v5
	v_cndmask_b32_e32 v1, v4, v1, vcc
	v_cndmask_b32_e64 v4, 0, 1, vcc
	v_lshrrev_b64 v[37:38], v4, v[28:29]
; %bb.4249:                             ;   in Loop: Header=BB2_4075 Depth=2
	s_andn2_saveexec_b64 s[18:19], s[18:19]
; %bb.4250:                             ;   in Loop: Header=BB2_4075 Depth=2
	v_mov_b32_e32 v38, v29
	v_bfe_u32 v1, v28, 23, 1
	v_mov_b32_e32 v37, v28
; %bb.4251:                             ;   in Loop: Header=BB2_4075 Depth=2
	s_or_b64 exec, exec, s[18:19]
	v_lshrrev_b64 v[4:5], 20, v[37:38]
	v_cmp_gt_i32_e32 vcc, 16, v1
	v_cndmask_b32_e32 v38, 0, v5, vcc
	v_cndmask_b32_e32 v37, 7, v4, vcc
	v_cmp_ne_u64_e32 vcc, 0, v[37:38]
	v_cmp_ne_u32_e64 s[18:19], 0, v1
	s_or_b64 s[18:19], s[18:19], vcc
                                        ; implicit-def: $vgpr17
	s_and_saveexec_b64 s[92:93], s[18:19]
	s_xor_b64 s[18:19], exec, s[92:93]
; %bb.4252:                             ;   in Loop: Header=BB2_4075 Depth=2
	v_min_i32_e32 v1, 15, v1
	v_lshl_or_b32 v0, v1, 3, v0
	v_and_or_b32 v17, v37, 7, v0
                                        ; implicit-def: $vgpr0
; %bb.4253:                             ;   in Loop: Header=BB2_4075 Depth=2
	s_andn2_saveexec_b64 s[18:19], s[18:19]
; %bb.4254:                             ;   in Loop: Header=BB2_4075 Depth=2
	v_mov_b32_e32 v17, v0
; %bb.4255:                             ;   in Loop: Header=BB2_4075 Depth=2
	s_or_b64 exec, exec, s[18:19]
.LBB2_4256:                             ;   in Loop: Header=BB2_4075 Depth=2
	s_or_b64 exec, exec, s[90:91]
                                        ; implicit-def: $vgpr0
.LBB2_4257:                             ;   in Loop: Header=BB2_4075 Depth=2
	s_andn2_saveexec_b64 s[18:19], s[88:89]
; %bb.4258:                             ;   in Loop: Header=BB2_4075 Depth=2
	v_or_b32_e32 v17, 0x7e, v0
; %bb.4259:                             ;   in Loop: Header=BB2_4075 Depth=2
	s_or_b64 exec, exec, s[18:19]
                                        ; implicit-def: $vgpr1
.LBB2_4260:                             ;   in Loop: Header=BB2_4075 Depth=2
	s_andn2_saveexec_b64 s[18:19], s[78:79]
; %bb.4261:                             ;   in Loop: Header=BB2_4075 Depth=2
	v_or_b32_sdwa v17, v1, s39 dst_sel:DWORD dst_unused:UNUSED_PAD src0_sel:BYTE_3 src1_sel:DWORD
; %bb.4262:                             ;   in Loop: Header=BB2_4075 Depth=2
	s_or_b64 exec, exec, s[18:19]
	flat_load_ubyte v0, v[10:11] offset:448 glc slc
	v_mov_b32_e32 v1, 0
	s_waitcnt vmcnt(0) lgkmcnt(0)
	v_cmp_ne_u16_e32 vcc, 0, v0
	s_and_saveexec_b64 s[18:19], vcc
	s_cbranch_execz .LBB2_4268
; %bb.4263:                             ;   in Loop: Header=BB2_4075 Depth=2
	v_cmp_ne_u16_e32 vcc, s50, v0
	v_bfrev_b32_e32 v1, 1
	s_and_saveexec_b64 s[78:79], vcc
	s_cbranch_execz .LBB2_4267
; %bb.4264:                             ;   in Loop: Header=BB2_4075 Depth=2
	v_and_b32_e32 v28, 0xffff, v0
	v_and_b32_e32 v4, 0x7f, v28
	v_cmp_ne_u32_e32 vcc, s39, v4
	v_mov_b32_e32 v1, 0x7f800001
	s_and_saveexec_b64 s[88:89], vcc
	s_cbranch_execz .LBB2_4266
; %bb.4265:                             ;   in Loop: Header=BB2_4075 Depth=2
	v_and_b32_e32 v1, 7, v28
	v_lshrrev_b32_e32 v6, 3, v4
	v_cmp_gt_u32_e32 vcc, 8, v4
	v_ffbh_u32_e32 v4, v1
	v_min_u32_e32 v7, 32, v4
	v_subrev_u32_e32 v4, 28, v7
	v_lshlrev_b64 v[4:5], v4, v[28:29]
	v_sub_u32_e32 v5, 29, v7
	v_and_b32_e32 v4, 7, v4
	v_cndmask_b32_e32 v5, v6, v5, vcc
	v_cndmask_b32_e32 v1, v1, v4, vcc
	v_lshlrev_b32_e32 v0, 24, v0
	v_lshlrev_b32_e32 v1, 20, v1
	v_and_b32_e32 v0, 0x80000000, v0
	v_lshl_add_u32 v4, v5, 23, v57
	v_or3_b32 v1, v0, v4, v1
.LBB2_4266:                             ;   in Loop: Header=BB2_4075 Depth=2
	s_or_b64 exec, exec, s[88:89]
.LBB2_4267:                             ;   in Loop: Header=BB2_4075 Depth=2
	s_or_b64 exec, exec, s[78:79]
.LBB2_4268:                             ;   in Loop: Header=BB2_4075 Depth=2
	s_or_b64 exec, exec, s[18:19]
	v_mul_f32_e32 v4, s94, v1
	v_and_b32_e32 v28, 0x7f800000, v4
	v_cmp_ne_u64_e32 vcc, s[46:47], v[28:29]
                                        ; implicit-def: $vgpr0
	s_and_saveexec_b64 s[18:19], vcc
	s_xor_b64 s[78:79], exec, s[18:19]
	s_cbranch_execz .LBB2_4286
; %bb.4269:                             ;   in Loop: Header=BB2_4075 Depth=2
	v_and_b32_e32 v28, 0x7fffffff, v4
	v_cmp_gt_u64_e32 vcc, s[56:57], v[28:29]
	v_and_b32_sdwa v1, v4, s50 dst_sel:DWORD dst_unused:UNUSED_PAD src0_sel:BYTE_3 src1_sel:DWORD
                                        ; implicit-def: $vgpr0
	s_and_saveexec_b64 s[18:19], vcc
	s_xor_b64 s[88:89], exec, s[18:19]
	s_cbranch_execz .LBB2_4283
; %bb.4270:                             ;   in Loop: Header=BB2_4075 Depth=2
	v_cmp_ne_u32_e32 vcc, 0, v4
	v_mov_b32_e32 v0, 0
	s_and_saveexec_b64 s[90:91], vcc
	s_cbranch_execz .LBB2_4282
; %bb.4271:                             ;   in Loop: Header=BB2_4075 Depth=2
	v_bfe_u32 v0, v4, 23, 8
	v_and_b32_e32 v5, 0x7fffff, v4
	v_cmp_gt_u32_e64 s[18:19], s51, v0
	v_sub_u32_e32 v4, 0x79, v0
	v_cmp_eq_u32_e32 vcc, 0, v0
	v_cndmask_b32_e64 v4, 0, v4, s[18:19]
	v_or_b32_e32 v6, 0x800000, v5
	v_cndmask_b32_e32 v4, v4, v58, vcc
	v_cndmask_b32_e32 v28, v6, v5, vcc
	v_add_u32_e32 v5, 20, v4
	v_lshlrev_b64 v[5:6], v5, -1
	v_add_u32_e32 v7, 19, v4
	v_lshlrev_b64 v[7:8], v7, 1
	v_lshrrev_b64 v[37:38], v4, v[28:29]
	v_bfi_b32 v6, v6, 0, 0
	v_bfi_b32 v5, v5, 0, v28
	v_cmp_eq_u64_e64 s[18:19], v[5:6], v[7:8]
	v_mov_b32_e32 v39, v38
	v_mov_b32_e32 v38, v37
	s_and_saveexec_b64 s[92:93], s[18:19]
; %bb.4272:                             ;   in Loop: Header=BB2_4075 Depth=2
	v_bfe_u32 v5, v37, 20, 1
	v_add_co_u32_e64 v5, s[18:19], v37, v5
	v_add_co_u32_e64 v38, s[18:19], -1, v5
; %bb.4273:                             ;   in Loop: Header=BB2_4075 Depth=2
	s_or_b64 exec, exec, s[92:93]
	v_add_u32_e32 v0, 0xffffff81, v0
	v_cndmask_b32_e32 v0, v0, v59, vcc
	v_lshrrev_b32_e32 v5, 23, v37
	v_add3_u32 v5, v4, v0, v5
	v_add_u32_e32 v0, 6, v5
	v_and_b32_e32 v4, 0xfffff, v38
	v_add_u32_e32 v28, v4, v37
	v_cmp_ne_u32_e32 vcc, 0, v0
                                        ; implicit-def: $vgpr37_vgpr38
                                        ; implicit-def: $vgpr4
	s_and_saveexec_b64 s[18:19], vcc
	s_xor_b64 s[18:19], exec, s[18:19]
; %bb.4274:                             ;   in Loop: Header=BB2_4075 Depth=2
	v_cmp_lt_u64_e32 vcc, s[58:59], v[28:29]
	v_add_u32_e32 v4, 7, v5
	v_cndmask_b32_e32 v4, v0, v4, vcc
	v_cndmask_b32_e64 v0, 0, 1, vcc
	v_lshrrev_b64 v[37:38], v0, v[28:29]
; %bb.4275:                             ;   in Loop: Header=BB2_4075 Depth=2
	s_andn2_saveexec_b64 s[18:19], s[18:19]
; %bb.4276:                             ;   in Loop: Header=BB2_4075 Depth=2
	v_mov_b32_e32 v38, v29
	v_bfe_u32 v4, v28, 23, 1
	v_mov_b32_e32 v37, v28
; %bb.4277:                             ;   in Loop: Header=BB2_4075 Depth=2
	s_or_b64 exec, exec, s[18:19]
	v_lshrrev_b64 v[5:6], 20, v[37:38]
	v_cmp_gt_i32_e32 vcc, 16, v4
	v_cndmask_b32_e32 v38, 0, v6, vcc
	v_cndmask_b32_e32 v37, 7, v5, vcc
	v_cmp_ne_u64_e32 vcc, 0, v[37:38]
	v_cmp_ne_u32_e64 s[18:19], 0, v4
	s_or_b64 s[18:19], s[18:19], vcc
                                        ; implicit-def: $vgpr0
	s_and_saveexec_b64 s[92:93], s[18:19]
	s_xor_b64 s[18:19], exec, s[92:93]
; %bb.4278:                             ;   in Loop: Header=BB2_4075 Depth=2
	v_min_i32_e32 v0, 15, v4
	v_lshl_or_b32 v0, v0, 3, v1
	v_and_or_b32 v0, v37, 7, v0
                                        ; implicit-def: $vgpr1
; %bb.4279:                             ;   in Loop: Header=BB2_4075 Depth=2
	s_andn2_saveexec_b64 s[18:19], s[18:19]
; %bb.4280:                             ;   in Loop: Header=BB2_4075 Depth=2
	v_mov_b32_e32 v0, v1
; %bb.4281:                             ;   in Loop: Header=BB2_4075 Depth=2
	s_or_b64 exec, exec, s[18:19]
.LBB2_4282:                             ;   in Loop: Header=BB2_4075 Depth=2
	s_or_b64 exec, exec, s[90:91]
                                        ; implicit-def: $vgpr1
.LBB2_4283:                             ;   in Loop: Header=BB2_4075 Depth=2
	s_andn2_saveexec_b64 s[18:19], s[88:89]
; %bb.4284:                             ;   in Loop: Header=BB2_4075 Depth=2
	v_or_b32_e32 v0, 0x7e, v1
; %bb.4285:                             ;   in Loop: Header=BB2_4075 Depth=2
	s_or_b64 exec, exec, s[18:19]
                                        ; implicit-def: $vgpr4
.LBB2_4286:                             ;   in Loop: Header=BB2_4075 Depth=2
	s_andn2_saveexec_b64 s[18:19], s[78:79]
; %bb.4287:                             ;   in Loop: Header=BB2_4075 Depth=2
	v_or_b32_sdwa v0, v4, s39 dst_sel:DWORD dst_unused:UNUSED_PAD src0_sel:BYTE_3 src1_sel:DWORD
; %bb.4288:                             ;   in Loop: Header=BB2_4075 Depth=2
	s_or_b64 exec, exec, s[18:19]
	flat_load_ubyte v37, v[12:13] glc slc
	flat_load_ubyte v23, v[12:13] offset:64 glc slc
	flat_load_ubyte v22, v[12:13] offset:128 glc slc
	flat_load_ubyte v4, v[12:13] offset:192 glc slc
	flat_load_ubyte v5, v[12:13] offset:256 glc slc
	flat_load_ubyte v48, v[12:13] offset:320 glc slc
	flat_load_ubyte v31, v[12:13] offset:384 glc slc
	flat_load_ubyte v1, v[12:13] offset:448 glc slc
	v_and_b32_e32 v28, 0xff, v3
	v_cmp_ne_u16_e32 vcc, 0, v28
	v_mov_b32_e32 v38, 0
	v_mov_b32_e32 v39, 0
	s_and_saveexec_b64 s[18:19], vcc
	s_cbranch_execz .LBB2_4294
; %bb.4289:                             ;   in Loop: Header=BB2_4075 Depth=2
	v_cmp_ne_u16_e32 vcc, s50, v28
	v_bfrev_b32_e32 v39, 1
	s_and_saveexec_b64 s[78:79], vcc
	s_cbranch_execz .LBB2_4293
; %bb.4290:                             ;   in Loop: Header=BB2_4075 Depth=2
	v_and_b32_e32 v6, 0x7f, v3
	v_cmp_ne_u32_e32 vcc, s39, v6
	v_mov_b32_e32 v39, 0x7f800001
	s_and_saveexec_b64 s[88:89], vcc
	s_cbranch_execz .LBB2_4292
; %bb.4291:                             ;   in Loop: Header=BB2_4075 Depth=2
	v_and_b32_e32 v8, 7, v28
	v_lshrrev_b32_e32 v9, 3, v6
	v_cmp_gt_u32_e32 vcc, 8, v6
	v_ffbh_u32_e32 v6, v8
	v_min_u32_e32 v39, 32, v6
	v_subrev_u32_e32 v6, 28, v39
	v_lshlrev_b64 v[6:7], v6, v[28:29]
	v_sub_u32_e32 v7, 29, v39
	v_and_b32_e32 v6, 7, v6
	v_cndmask_b32_e32 v7, v9, v7, vcc
	v_cndmask_b32_e32 v6, v8, v6, vcc
	v_lshlrev_b32_e32 v3, 24, v3
	v_lshlrev_b32_e32 v6, 20, v6
	v_and_b32_e32 v3, 0x80000000, v3
	v_lshl_add_u32 v7, v7, 23, v57
	v_or3_b32 v39, v3, v7, v6
.LBB2_4292:                             ;   in Loop: Header=BB2_4075 Depth=2
	s_or_b64 exec, exec, s[88:89]
.LBB2_4293:                             ;   in Loop: Header=BB2_4075 Depth=2
	s_or_b64 exec, exec, s[78:79]
.LBB2_4294:                             ;   in Loop: Header=BB2_4075 Depth=2
	s_or_b64 exec, exec, s[18:19]
	s_waitcnt vmcnt(0) lgkmcnt(0)
	v_and_b32_e32 v28, 0xff, v37
	v_cmp_ne_u16_e32 vcc, 0, v28
	s_and_saveexec_b64 s[18:19], vcc
	s_cbranch_execz .LBB2_4300
; %bb.4295:                             ;   in Loop: Header=BB2_4075 Depth=2
	v_cmp_ne_u16_e32 vcc, s50, v28
	v_bfrev_b32_e32 v38, 1
	s_and_saveexec_b64 s[78:79], vcc
	s_cbranch_execz .LBB2_4299
; %bb.4296:                             ;   in Loop: Header=BB2_4075 Depth=2
	v_and_b32_e32 v3, 0x7f, v37
	v_cmp_ne_u32_e32 vcc, s39, v3
	v_mov_b32_e32 v38, 0x7f800001
	s_and_saveexec_b64 s[88:89], vcc
	s_cbranch_execz .LBB2_4298
; %bb.4297:                             ;   in Loop: Header=BB2_4075 Depth=2
	v_and_b32_e32 v8, 7, v28
	v_lshrrev_b32_e32 v9, 3, v3
	v_cmp_gt_u32_e32 vcc, 8, v3
	v_ffbh_u32_e32 v3, v8
	v_min_u32_e32 v3, 32, v3
	v_subrev_u32_e32 v6, 28, v3
	v_lshlrev_b64 v[6:7], v6, v[28:29]
	v_sub_u32_e32 v3, 29, v3
	v_and_b32_e32 v6, 7, v6
	v_cndmask_b32_e32 v3, v9, v3, vcc
	v_cndmask_b32_e32 v6, v8, v6, vcc
	v_lshlrev_b32_e32 v7, 24, v37
	v_lshlrev_b32_e32 v6, 20, v6
	v_and_b32_e32 v7, 0x80000000, v7
	v_lshl_add_u32 v3, v3, 23, v57
	v_or3_b32 v38, v7, v3, v6
.LBB2_4298:                             ;   in Loop: Header=BB2_4075 Depth=2
	s_or_b64 exec, exec, s[88:89]
.LBB2_4299:                             ;   in Loop: Header=BB2_4075 Depth=2
	s_or_b64 exec, exec, s[78:79]
.LBB2_4300:                             ;   in Loop: Header=BB2_4075 Depth=2
	s_or_b64 exec, exec, s[18:19]
	v_add_f32_e32 v37, v39, v38
	v_and_b32_e32 v28, 0x7f800000, v37
	v_cmp_ne_u64_e32 vcc, s[46:47], v[28:29]
                                        ; implicit-def: $vgpr3
	s_and_saveexec_b64 s[18:19], vcc
	s_xor_b64 s[78:79], exec, s[18:19]
	s_cbranch_execz .LBB2_4318
; %bb.4301:                             ;   in Loop: Header=BB2_4075 Depth=2
	v_and_b32_e32 v28, 0x7fffffff, v37
	v_cmp_gt_u64_e32 vcc, s[56:57], v[28:29]
	v_and_b32_sdwa v49, v37, s50 dst_sel:DWORD dst_unused:UNUSED_PAD src0_sel:BYTE_3 src1_sel:DWORD
                                        ; implicit-def: $vgpr3
	s_and_saveexec_b64 s[18:19], vcc
	s_xor_b64 s[88:89], exec, s[18:19]
	s_cbranch_execz .LBB2_4315
; %bb.4302:                             ;   in Loop: Header=BB2_4075 Depth=2
	v_cmp_ne_u32_e32 vcc, 0, v37
	v_mov_b32_e32 v3, 0
	s_and_saveexec_b64 s[90:91], vcc
	s_cbranch_execz .LBB2_4314
; %bb.4303:                             ;   in Loop: Header=BB2_4075 Depth=2
	v_bfe_u32 v3, v37, 23, 8
	v_cmp_gt_u32_e64 s[18:19], s51, v3
	v_sub_u32_e32 v6, 0x79, v3
	v_and_b32_e32 v7, 0x7fffff, v37
	v_cmp_eq_u32_e32 vcc, 0, v3
	v_cndmask_b32_e64 v6, 0, v6, s[18:19]
	v_or_b32_e32 v8, 0x800000, v7
	v_cndmask_b32_e32 v6, v6, v58, vcc
	v_cndmask_b32_e32 v28, v8, v7, vcc
	v_add_u32_e32 v7, 20, v6
	v_lshlrev_b64 v[7:8], v7, -1
	v_add_u32_e32 v9, 19, v6
	v_lshlrev_b64 v[37:38], v9, 1
	v_bfi_b32 v8, v8, 0, 0
	v_bfi_b32 v7, v7, 0, v28
	v_cmp_eq_u64_e64 s[18:19], v[7:8], v[37:38]
	v_lshrrev_b64 v[37:38], v6, v[28:29]
	v_mov_b32_e32 v39, v38
	v_mov_b32_e32 v38, v37
	s_and_saveexec_b64 s[92:93], s[18:19]
; %bb.4304:                             ;   in Loop: Header=BB2_4075 Depth=2
	v_bfe_u32 v7, v37, 20, 1
	v_add_co_u32_e64 v7, s[18:19], v37, v7
	v_add_co_u32_e64 v38, s[18:19], -1, v7
; %bb.4305:                             ;   in Loop: Header=BB2_4075 Depth=2
	s_or_b64 exec, exec, s[92:93]
	v_add_u32_e32 v3, 0xffffff81, v3
	v_cndmask_b32_e32 v3, v3, v59, vcc
	v_lshrrev_b32_e32 v7, 23, v37
	v_add3_u32 v6, v6, v3, v7
	v_add_u32_e32 v3, 6, v6
	v_and_b32_e32 v7, 0xfffff, v38
	v_add_u32_e32 v28, v7, v37
	v_cmp_ne_u32_e32 vcc, 0, v3
                                        ; implicit-def: $vgpr37_vgpr38
                                        ; implicit-def: $vgpr39
	s_and_saveexec_b64 s[18:19], vcc
	s_xor_b64 s[18:19], exec, s[18:19]
; %bb.4306:                             ;   in Loop: Header=BB2_4075 Depth=2
	v_cmp_lt_u64_e32 vcc, s[58:59], v[28:29]
	v_add_u32_e32 v6, 7, v6
	v_cndmask_b32_e32 v39, v3, v6, vcc
	v_cndmask_b32_e64 v3, 0, 1, vcc
	v_lshrrev_b64 v[37:38], v3, v[28:29]
; %bb.4307:                             ;   in Loop: Header=BB2_4075 Depth=2
	s_andn2_saveexec_b64 s[18:19], s[18:19]
; %bb.4308:                             ;   in Loop: Header=BB2_4075 Depth=2
	v_mov_b32_e32 v38, v29
	v_bfe_u32 v39, v28, 23, 1
	v_mov_b32_e32 v37, v28
; %bb.4309:                             ;   in Loop: Header=BB2_4075 Depth=2
	s_or_b64 exec, exec, s[18:19]
	v_lshrrev_b64 v[6:7], 20, v[37:38]
	v_cmp_gt_i32_e32 vcc, 16, v39
	v_cndmask_b32_e32 v38, 0, v7, vcc
	v_cndmask_b32_e32 v37, 7, v6, vcc
	v_cmp_ne_u64_e32 vcc, 0, v[37:38]
	v_cmp_ne_u32_e64 s[18:19], 0, v39
	s_or_b64 s[18:19], s[18:19], vcc
                                        ; implicit-def: $vgpr3
	s_and_saveexec_b64 s[92:93], s[18:19]
	s_xor_b64 s[18:19], exec, s[92:93]
; %bb.4310:                             ;   in Loop: Header=BB2_4075 Depth=2
	v_min_i32_e32 v3, 15, v39
	v_lshl_or_b32 v3, v3, 3, v49
	v_and_or_b32 v3, v37, 7, v3
                                        ; implicit-def: $vgpr49
; %bb.4311:                             ;   in Loop: Header=BB2_4075 Depth=2
	s_andn2_saveexec_b64 s[18:19], s[18:19]
; %bb.4312:                             ;   in Loop: Header=BB2_4075 Depth=2
	v_mov_b32_e32 v3, v49
; %bb.4313:                             ;   in Loop: Header=BB2_4075 Depth=2
	s_or_b64 exec, exec, s[18:19]
.LBB2_4314:                             ;   in Loop: Header=BB2_4075 Depth=2
	s_or_b64 exec, exec, s[90:91]
                                        ; implicit-def: $vgpr49
.LBB2_4315:                             ;   in Loop: Header=BB2_4075 Depth=2
	s_andn2_saveexec_b64 s[18:19], s[88:89]
; %bb.4316:                             ;   in Loop: Header=BB2_4075 Depth=2
	v_or_b32_e32 v3, 0x7e, v49
; %bb.4317:                             ;   in Loop: Header=BB2_4075 Depth=2
	s_or_b64 exec, exec, s[18:19]
                                        ; implicit-def: $vgpr37
.LBB2_4318:                             ;   in Loop: Header=BB2_4075 Depth=2
	s_andn2_saveexec_b64 s[18:19], s[78:79]
; %bb.4319:                             ;   in Loop: Header=BB2_4075 Depth=2
	v_or_b32_sdwa v3, v37, s39 dst_sel:DWORD dst_unused:UNUSED_PAD src0_sel:BYTE_3 src1_sel:DWORD
; %bb.4320:                             ;   in Loop: Header=BB2_4075 Depth=2
	s_or_b64 exec, exec, s[18:19]
	v_and_b32_e32 v28, 0xff, v30
	v_cmp_ne_u16_e32 vcc, 0, v28
	v_mov_b32_e32 v37, 0
	v_mov_b32_e32 v38, 0
	s_and_saveexec_b64 s[18:19], vcc
	s_cbranch_execz .LBB2_4326
; %bb.4321:                             ;   in Loop: Header=BB2_4075 Depth=2
	v_cmp_ne_u16_e32 vcc, s50, v28
	v_bfrev_b32_e32 v38, 1
	s_and_saveexec_b64 s[78:79], vcc
	s_cbranch_execz .LBB2_4325
; %bb.4322:                             ;   in Loop: Header=BB2_4075 Depth=2
	v_and_b32_e32 v6, 0x7f, v30
	v_cmp_ne_u32_e32 vcc, s39, v6
	v_mov_b32_e32 v38, 0x7f800001
	s_and_saveexec_b64 s[88:89], vcc
	s_cbranch_execz .LBB2_4324
; %bb.4323:                             ;   in Loop: Header=BB2_4075 Depth=2
	v_and_b32_e32 v8, 7, v28
	v_lshrrev_b32_e32 v9, 3, v6
	v_cmp_gt_u32_e32 vcc, 8, v6
	v_ffbh_u32_e32 v6, v8
	v_min_u32_e32 v38, 32, v6
	v_subrev_u32_e32 v6, 28, v38
	v_lshlrev_b64 v[6:7], v6, v[28:29]
	v_sub_u32_e32 v7, 29, v38
	v_and_b32_e32 v6, 7, v6
	v_cndmask_b32_e32 v7, v9, v7, vcc
	v_cndmask_b32_e32 v6, v8, v6, vcc
	v_lshlrev_b32_e32 v8, 24, v30
	v_lshlrev_b32_e32 v6, 20, v6
	v_and_b32_e32 v8, 0x80000000, v8
	v_lshl_add_u32 v7, v7, 23, v57
	v_or3_b32 v38, v8, v7, v6
.LBB2_4324:                             ;   in Loop: Header=BB2_4075 Depth=2
	s_or_b64 exec, exec, s[88:89]
.LBB2_4325:                             ;   in Loop: Header=BB2_4075 Depth=2
	s_or_b64 exec, exec, s[78:79]
.LBB2_4326:                             ;   in Loop: Header=BB2_4075 Depth=2
	s_or_b64 exec, exec, s[18:19]
	v_and_b32_e32 v28, 0xff, v23
	v_cmp_ne_u16_e32 vcc, 0, v28
	s_and_saveexec_b64 s[18:19], vcc
	s_cbranch_execz .LBB2_4332
; %bb.4327:                             ;   in Loop: Header=BB2_4075 Depth=2
	v_cmp_ne_u16_e32 vcc, s50, v28
	v_bfrev_b32_e32 v37, 1
	s_and_saveexec_b64 s[78:79], vcc
	s_cbranch_execz .LBB2_4331
; %bb.4328:                             ;   in Loop: Header=BB2_4075 Depth=2
	v_and_b32_e32 v6, 0x7f, v23
	v_cmp_ne_u32_e32 vcc, s39, v6
	v_mov_b32_e32 v37, 0x7f800001
	s_and_saveexec_b64 s[88:89], vcc
	s_cbranch_execz .LBB2_4330
; %bb.4329:                             ;   in Loop: Header=BB2_4075 Depth=2
	v_and_b32_e32 v8, 7, v28
	v_lshrrev_b32_e32 v9, 3, v6
	v_cmp_gt_u32_e32 vcc, 8, v6
	v_ffbh_u32_e32 v6, v8
	v_min_u32_e32 v30, 32, v6
	v_subrev_u32_e32 v6, 28, v30
	v_lshlrev_b64 v[6:7], v6, v[28:29]
	v_sub_u32_e32 v7, 29, v30
	v_and_b32_e32 v6, 7, v6
	v_cndmask_b32_e32 v7, v9, v7, vcc
	v_cndmask_b32_e32 v6, v8, v6, vcc
	v_lshlrev_b32_e32 v8, 24, v23
	v_lshlrev_b32_e32 v6, 20, v6
	v_and_b32_e32 v8, 0x80000000, v8
	v_lshl_add_u32 v7, v7, 23, v57
	v_or3_b32 v37, v8, v7, v6
.LBB2_4330:                             ;   in Loop: Header=BB2_4075 Depth=2
	s_or_b64 exec, exec, s[88:89]
.LBB2_4331:                             ;   in Loop: Header=BB2_4075 Depth=2
	s_or_b64 exec, exec, s[78:79]
.LBB2_4332:                             ;   in Loop: Header=BB2_4075 Depth=2
	s_or_b64 exec, exec, s[18:19]
	v_add_f32_e32 v37, v38, v37
	v_and_b32_e32 v28, 0x7f800000, v37
	v_cmp_ne_u64_e32 vcc, s[46:47], v[28:29]
                                        ; implicit-def: $vgpr30
	s_and_saveexec_b64 s[18:19], vcc
	s_xor_b64 s[78:79], exec, s[18:19]
	s_cbranch_execz .LBB2_4350
; %bb.4333:                             ;   in Loop: Header=BB2_4075 Depth=2
	v_and_b32_e32 v28, 0x7fffffff, v37
	v_cmp_gt_u64_e32 vcc, s[56:57], v[28:29]
	v_and_b32_sdwa v23, v37, s50 dst_sel:DWORD dst_unused:UNUSED_PAD src0_sel:BYTE_3 src1_sel:DWORD
                                        ; implicit-def: $vgpr30
	s_and_saveexec_b64 s[18:19], vcc
	s_xor_b64 s[88:89], exec, s[18:19]
	s_cbranch_execz .LBB2_4347
; %bb.4334:                             ;   in Loop: Header=BB2_4075 Depth=2
	v_cmp_ne_u32_e32 vcc, 0, v37
	v_mov_b32_e32 v30, 0
	s_and_saveexec_b64 s[90:91], vcc
	s_cbranch_execz .LBB2_4346
; %bb.4335:                             ;   in Loop: Header=BB2_4075 Depth=2
	v_bfe_u32 v30, v37, 23, 8
	v_cmp_gt_u32_e64 s[18:19], s51, v30
	v_sub_u32_e32 v6, 0x79, v30
	v_and_b32_e32 v7, 0x7fffff, v37
	v_cmp_eq_u32_e32 vcc, 0, v30
	v_cndmask_b32_e64 v6, 0, v6, s[18:19]
	v_or_b32_e32 v8, 0x800000, v7
	v_cndmask_b32_e32 v6, v6, v58, vcc
	v_cndmask_b32_e32 v28, v8, v7, vcc
	v_add_u32_e32 v7, 20, v6
	v_lshlrev_b64 v[7:8], v7, -1
	v_add_u32_e32 v9, 19, v6
	v_lshlrev_b64 v[37:38], v9, 1
	v_bfi_b32 v8, v8, 0, 0
	v_bfi_b32 v7, v7, 0, v28
	v_cmp_eq_u64_e64 s[18:19], v[7:8], v[37:38]
	v_lshrrev_b64 v[37:38], v6, v[28:29]
	v_mov_b32_e32 v39, v38
	v_mov_b32_e32 v38, v37
	s_and_saveexec_b64 s[92:93], s[18:19]
; %bb.4336:                             ;   in Loop: Header=BB2_4075 Depth=2
	v_bfe_u32 v7, v37, 20, 1
	v_add_co_u32_e64 v7, s[18:19], v37, v7
	v_add_co_u32_e64 v38, s[18:19], -1, v7
; %bb.4337:                             ;   in Loop: Header=BB2_4075 Depth=2
	s_or_b64 exec, exec, s[92:93]
	v_add_u32_e32 v7, 0xffffff81, v30
	v_cndmask_b32_e32 v7, v7, v59, vcc
	v_lshrrev_b32_e32 v8, 23, v37
	v_add3_u32 v7, v6, v7, v8
	v_add_u32_e32 v6, 6, v7
	v_and_b32_e32 v8, 0xfffff, v38
	v_add_u32_e32 v28, v8, v37
	v_cmp_ne_u32_e32 vcc, 0, v6
                                        ; implicit-def: $vgpr37_vgpr38
                                        ; implicit-def: $vgpr39
	s_and_saveexec_b64 s[18:19], vcc
	s_xor_b64 s[18:19], exec, s[18:19]
; %bb.4338:                             ;   in Loop: Header=BB2_4075 Depth=2
	v_cmp_lt_u64_e32 vcc, s[58:59], v[28:29]
	v_add_u32_e32 v7, 7, v7
	v_cndmask_b32_e32 v39, v6, v7, vcc
	v_cndmask_b32_e64 v6, 0, 1, vcc
	v_lshrrev_b64 v[37:38], v6, v[28:29]
; %bb.4339:                             ;   in Loop: Header=BB2_4075 Depth=2
	s_andn2_saveexec_b64 s[18:19], s[18:19]
; %bb.4340:                             ;   in Loop: Header=BB2_4075 Depth=2
	v_mov_b32_e32 v38, v29
	v_bfe_u32 v39, v28, 23, 1
	v_mov_b32_e32 v37, v28
; %bb.4341:                             ;   in Loop: Header=BB2_4075 Depth=2
	s_or_b64 exec, exec, s[18:19]
	v_lshrrev_b64 v[6:7], 20, v[37:38]
	v_cmp_gt_i32_e32 vcc, 16, v39
	v_cndmask_b32_e32 v38, 0, v7, vcc
	v_cndmask_b32_e32 v37, 7, v6, vcc
	v_cmp_ne_u64_e32 vcc, 0, v[37:38]
	v_cmp_ne_u32_e64 s[18:19], 0, v39
	s_or_b64 s[18:19], s[18:19], vcc
                                        ; implicit-def: $vgpr30
	s_and_saveexec_b64 s[92:93], s[18:19]
	s_xor_b64 s[18:19], exec, s[92:93]
; %bb.4342:                             ;   in Loop: Header=BB2_4075 Depth=2
	v_min_i32_e32 v6, 15, v39
	v_lshl_or_b32 v6, v6, 3, v23
	v_and_or_b32 v30, v37, 7, v6
                                        ; implicit-def: $vgpr23
; %bb.4343:                             ;   in Loop: Header=BB2_4075 Depth=2
	s_andn2_saveexec_b64 s[18:19], s[18:19]
; %bb.4344:                             ;   in Loop: Header=BB2_4075 Depth=2
	v_mov_b32_e32 v30, v23
; %bb.4345:                             ;   in Loop: Header=BB2_4075 Depth=2
	s_or_b64 exec, exec, s[18:19]
.LBB2_4346:                             ;   in Loop: Header=BB2_4075 Depth=2
	s_or_b64 exec, exec, s[90:91]
                                        ; implicit-def: $vgpr23
.LBB2_4347:                             ;   in Loop: Header=BB2_4075 Depth=2
	s_andn2_saveexec_b64 s[18:19], s[88:89]
; %bb.4348:                             ;   in Loop: Header=BB2_4075 Depth=2
	v_or_b32_e32 v30, 0x7e, v23
; %bb.4349:                             ;   in Loop: Header=BB2_4075 Depth=2
	s_or_b64 exec, exec, s[18:19]
                                        ; implicit-def: $vgpr37
.LBB2_4350:                             ;   in Loop: Header=BB2_4075 Depth=2
	s_andn2_saveexec_b64 s[18:19], s[78:79]
; %bb.4351:                             ;   in Loop: Header=BB2_4075 Depth=2
	v_or_b32_sdwa v30, v37, s39 dst_sel:DWORD dst_unused:UNUSED_PAD src0_sel:BYTE_3 src1_sel:DWORD
; %bb.4352:                             ;   in Loop: Header=BB2_4075 Depth=2
	s_or_b64 exec, exec, s[18:19]
	v_and_b32_e32 v28, 0xff, v27
	v_cmp_ne_u16_e32 vcc, 0, v28
	v_mov_b32_e32 v23, 0
	v_mov_b32_e32 v37, 0
	s_and_saveexec_b64 s[18:19], vcc
	s_cbranch_execz .LBB2_4358
; %bb.4353:                             ;   in Loop: Header=BB2_4075 Depth=2
	v_cmp_ne_u16_e32 vcc, s50, v28
	v_bfrev_b32_e32 v37, 1
	s_and_saveexec_b64 s[78:79], vcc
	s_cbranch_execz .LBB2_4357
; %bb.4354:                             ;   in Loop: Header=BB2_4075 Depth=2
	v_and_b32_e32 v6, 0x7f, v27
	v_cmp_ne_u32_e32 vcc, s39, v6
	v_mov_b32_e32 v37, 0x7f800001
	s_and_saveexec_b64 s[88:89], vcc
	s_cbranch_execz .LBB2_4356
; %bb.4355:                             ;   in Loop: Header=BB2_4075 Depth=2
	v_and_b32_e32 v8, 7, v28
	v_lshrrev_b32_e32 v9, 3, v6
	v_cmp_gt_u32_e32 vcc, 8, v6
	v_ffbh_u32_e32 v6, v8
	v_min_u32_e32 v37, 32, v6
	v_subrev_u32_e32 v6, 28, v37
	v_lshlrev_b64 v[6:7], v6, v[28:29]
	v_sub_u32_e32 v7, 29, v37
	v_and_b32_e32 v6, 7, v6
	v_cndmask_b32_e32 v7, v9, v7, vcc
	v_cndmask_b32_e32 v6, v8, v6, vcc
	v_lshlrev_b32_e32 v8, 24, v27
	v_lshlrev_b32_e32 v6, 20, v6
	v_and_b32_e32 v8, 0x80000000, v8
	v_lshl_add_u32 v7, v7, 23, v57
	v_or3_b32 v37, v8, v7, v6
.LBB2_4356:                             ;   in Loop: Header=BB2_4075 Depth=2
	s_or_b64 exec, exec, s[88:89]
.LBB2_4357:                             ;   in Loop: Header=BB2_4075 Depth=2
	s_or_b64 exec, exec, s[78:79]
.LBB2_4358:                             ;   in Loop: Header=BB2_4075 Depth=2
	s_or_b64 exec, exec, s[18:19]
	v_and_b32_e32 v28, 0xff, v22
	v_cmp_ne_u16_e32 vcc, 0, v28
	s_and_saveexec_b64 s[18:19], vcc
	s_cbranch_execz .LBB2_4364
; %bb.4359:                             ;   in Loop: Header=BB2_4075 Depth=2
	v_cmp_ne_u16_e32 vcc, s50, v28
	v_bfrev_b32_e32 v23, 1
	s_and_saveexec_b64 s[78:79], vcc
	s_cbranch_execz .LBB2_4363
; %bb.4360:                             ;   in Loop: Header=BB2_4075 Depth=2
	v_and_b32_e32 v6, 0x7f, v22
	v_cmp_ne_u32_e32 vcc, s39, v6
	v_mov_b32_e32 v23, 0x7f800001
	s_and_saveexec_b64 s[88:89], vcc
	s_cbranch_execz .LBB2_4362
; %bb.4361:                             ;   in Loop: Header=BB2_4075 Depth=2
	v_and_b32_e32 v8, 7, v28
	v_lshrrev_b32_e32 v9, 3, v6
	v_cmp_gt_u32_e32 vcc, 8, v6
	v_ffbh_u32_e32 v6, v8
	v_min_u32_e32 v23, 32, v6
	v_subrev_u32_e32 v6, 28, v23
	v_lshlrev_b64 v[6:7], v6, v[28:29]
	v_sub_u32_e32 v7, 29, v23
	v_and_b32_e32 v6, 7, v6
	v_cndmask_b32_e32 v7, v9, v7, vcc
	v_cndmask_b32_e32 v6, v8, v6, vcc
	v_lshlrev_b32_e32 v8, 24, v22
	v_lshlrev_b32_e32 v6, 20, v6
	v_and_b32_e32 v8, 0x80000000, v8
	v_lshl_add_u32 v7, v7, 23, v57
	v_or3_b32 v23, v8, v7, v6
.LBB2_4362:                             ;   in Loop: Header=BB2_4075 Depth=2
	s_or_b64 exec, exec, s[88:89]
.LBB2_4363:                             ;   in Loop: Header=BB2_4075 Depth=2
	s_or_b64 exec, exec, s[78:79]
.LBB2_4364:                             ;   in Loop: Header=BB2_4075 Depth=2
	s_or_b64 exec, exec, s[18:19]
	v_add_f32_e32 v23, v37, v23
	v_and_b32_e32 v28, 0x7f800000, v23
	v_cmp_ne_u64_e32 vcc, s[46:47], v[28:29]
                                        ; implicit-def: $vgpr27
	s_and_saveexec_b64 s[18:19], vcc
	s_xor_b64 s[78:79], exec, s[18:19]
	s_cbranch_execz .LBB2_4382
; %bb.4365:                             ;   in Loop: Header=BB2_4075 Depth=2
	v_and_b32_e32 v28, 0x7fffffff, v23
	v_cmp_gt_u64_e32 vcc, s[56:57], v[28:29]
	v_and_b32_sdwa v22, v23, s50 dst_sel:DWORD dst_unused:UNUSED_PAD src0_sel:BYTE_3 src1_sel:DWORD
                                        ; implicit-def: $vgpr27
	s_and_saveexec_b64 s[18:19], vcc
	s_xor_b64 s[88:89], exec, s[18:19]
	s_cbranch_execz .LBB2_4379
; %bb.4366:                             ;   in Loop: Header=BB2_4075 Depth=2
	v_cmp_ne_u32_e32 vcc, 0, v23
	v_mov_b32_e32 v27, 0
	s_and_saveexec_b64 s[90:91], vcc
	s_cbranch_execz .LBB2_4378
; %bb.4367:                             ;   in Loop: Header=BB2_4075 Depth=2
	v_and_b32_e32 v7, 0x7fffff, v23
	v_bfe_u32 v23, v23, 23, 8
	v_cmp_gt_u32_e64 s[18:19], s51, v23
	v_sub_u32_e32 v6, 0x79, v23
	v_cmp_eq_u32_e32 vcc, 0, v23
	v_cndmask_b32_e64 v6, 0, v6, s[18:19]
	v_or_b32_e32 v8, 0x800000, v7
	v_cndmask_b32_e32 v6, v6, v58, vcc
	v_cndmask_b32_e32 v28, v8, v7, vcc
	v_add_u32_e32 v7, 20, v6
	v_lshlrev_b64 v[7:8], v7, -1
	v_add_u32_e32 v9, 19, v6
	v_lshlrev_b64 v[37:38], v9, 1
	v_bfi_b32 v8, v8, 0, 0
	v_bfi_b32 v7, v7, 0, v28
	v_cmp_eq_u64_e64 s[18:19], v[7:8], v[37:38]
	v_lshrrev_b64 v[37:38], v6, v[28:29]
	v_mov_b32_e32 v39, v38
	v_mov_b32_e32 v38, v37
	s_and_saveexec_b64 s[92:93], s[18:19]
; %bb.4368:                             ;   in Loop: Header=BB2_4075 Depth=2
	v_bfe_u32 v7, v37, 20, 1
	v_add_co_u32_e64 v7, s[18:19], v37, v7
	v_add_co_u32_e64 v38, s[18:19], -1, v7
; %bb.4369:                             ;   in Loop: Header=BB2_4075 Depth=2
	s_or_b64 exec, exec, s[92:93]
	v_add_u32_e32 v7, 0xffffff81, v23
	v_cndmask_b32_e32 v7, v7, v59, vcc
	v_lshrrev_b32_e32 v8, 23, v37
	v_add3_u32 v7, v6, v7, v8
	v_add_u32_e32 v6, 6, v7
	v_and_b32_e32 v8, 0xfffff, v38
	v_add_u32_e32 v28, v8, v37
	v_cmp_ne_u32_e32 vcc, 0, v6
                                        ; implicit-def: $vgpr37_vgpr38
                                        ; implicit-def: $vgpr23
	s_and_saveexec_b64 s[18:19], vcc
	s_xor_b64 s[18:19], exec, s[18:19]
; %bb.4370:                             ;   in Loop: Header=BB2_4075 Depth=2
	v_cmp_lt_u64_e32 vcc, s[58:59], v[28:29]
	v_add_u32_e32 v7, 7, v7
	v_cndmask_b32_e32 v23, v6, v7, vcc
	v_cndmask_b32_e64 v6, 0, 1, vcc
	v_lshrrev_b64 v[37:38], v6, v[28:29]
; %bb.4371:                             ;   in Loop: Header=BB2_4075 Depth=2
	s_andn2_saveexec_b64 s[18:19], s[18:19]
; %bb.4372:                             ;   in Loop: Header=BB2_4075 Depth=2
	v_mov_b32_e32 v38, v29
	v_bfe_u32 v23, v28, 23, 1
	v_mov_b32_e32 v37, v28
; %bb.4373:                             ;   in Loop: Header=BB2_4075 Depth=2
	s_or_b64 exec, exec, s[18:19]
	v_lshrrev_b64 v[6:7], 20, v[37:38]
	v_cmp_gt_i32_e32 vcc, 16, v23
	v_cndmask_b32_e32 v38, 0, v7, vcc
	v_cndmask_b32_e32 v37, 7, v6, vcc
	v_cmp_ne_u64_e32 vcc, 0, v[37:38]
	v_cmp_ne_u32_e64 s[18:19], 0, v23
	s_or_b64 s[18:19], s[18:19], vcc
                                        ; implicit-def: $vgpr27
	s_and_saveexec_b64 s[92:93], s[18:19]
	s_xor_b64 s[18:19], exec, s[92:93]
; %bb.4374:                             ;   in Loop: Header=BB2_4075 Depth=2
	v_min_i32_e32 v6, 15, v23
	v_lshl_or_b32 v6, v6, 3, v22
	v_and_or_b32 v27, v37, 7, v6
                                        ; implicit-def: $vgpr22
; %bb.4375:                             ;   in Loop: Header=BB2_4075 Depth=2
	s_andn2_saveexec_b64 s[18:19], s[18:19]
; %bb.4376:                             ;   in Loop: Header=BB2_4075 Depth=2
	v_mov_b32_e32 v27, v22
; %bb.4377:                             ;   in Loop: Header=BB2_4075 Depth=2
	s_or_b64 exec, exec, s[18:19]
.LBB2_4378:                             ;   in Loop: Header=BB2_4075 Depth=2
	s_or_b64 exec, exec, s[90:91]
                                        ; implicit-def: $vgpr22
.LBB2_4379:                             ;   in Loop: Header=BB2_4075 Depth=2
	s_andn2_saveexec_b64 s[18:19], s[88:89]
; %bb.4380:                             ;   in Loop: Header=BB2_4075 Depth=2
	v_or_b32_e32 v27, 0x7e, v22
; %bb.4381:                             ;   in Loop: Header=BB2_4075 Depth=2
	s_or_b64 exec, exec, s[18:19]
                                        ; implicit-def: $vgpr23
.LBB2_4382:                             ;   in Loop: Header=BB2_4075 Depth=2
	s_andn2_saveexec_b64 s[18:19], s[78:79]
; %bb.4383:                             ;   in Loop: Header=BB2_4075 Depth=2
	v_or_b32_sdwa v27, v23, s39 dst_sel:DWORD dst_unused:UNUSED_PAD src0_sel:BYTE_3 src1_sel:DWORD
; %bb.4384:                             ;   in Loop: Header=BB2_4075 Depth=2
	s_or_b64 exec, exec, s[18:19]
	v_and_b32_e32 v28, 0xff, v26
	v_cmp_ne_u16_e32 vcc, 0, v28
	v_mov_b32_e32 v22, 0
	v_mov_b32_e32 v23, 0
	s_and_saveexec_b64 s[18:19], vcc
	s_cbranch_execz .LBB2_4390
; %bb.4385:                             ;   in Loop: Header=BB2_4075 Depth=2
	v_cmp_ne_u16_e32 vcc, s50, v28
	v_bfrev_b32_e32 v23, 1
	s_and_saveexec_b64 s[78:79], vcc
	s_cbranch_execz .LBB2_4389
; %bb.4386:                             ;   in Loop: Header=BB2_4075 Depth=2
	v_and_b32_e32 v6, 0x7f, v26
	v_cmp_ne_u32_e32 vcc, s39, v6
	v_mov_b32_e32 v23, 0x7f800001
	s_and_saveexec_b64 s[88:89], vcc
	s_cbranch_execz .LBB2_4388
; %bb.4387:                             ;   in Loop: Header=BB2_4075 Depth=2
	v_and_b32_e32 v8, 7, v28
	v_lshrrev_b32_e32 v9, 3, v6
	v_cmp_gt_u32_e32 vcc, 8, v6
	v_ffbh_u32_e32 v6, v8
	v_min_u32_e32 v23, 32, v6
	v_subrev_u32_e32 v6, 28, v23
	v_lshlrev_b64 v[6:7], v6, v[28:29]
	v_sub_u32_e32 v7, 29, v23
	v_and_b32_e32 v6, 7, v6
	v_cndmask_b32_e32 v7, v9, v7, vcc
	v_cndmask_b32_e32 v6, v8, v6, vcc
	v_lshlrev_b32_e32 v8, 24, v26
	v_lshlrev_b32_e32 v6, 20, v6
	v_and_b32_e32 v8, 0x80000000, v8
	v_lshl_add_u32 v7, v7, 23, v57
	v_or3_b32 v23, v8, v7, v6
.LBB2_4388:                             ;   in Loop: Header=BB2_4075 Depth=2
	s_or_b64 exec, exec, s[88:89]
.LBB2_4389:                             ;   in Loop: Header=BB2_4075 Depth=2
	s_or_b64 exec, exec, s[78:79]
.LBB2_4390:                             ;   in Loop: Header=BB2_4075 Depth=2
	s_or_b64 exec, exec, s[18:19]
	v_and_b32_e32 v28, 0xff, v4
	v_cmp_ne_u16_e32 vcc, 0, v28
	s_and_saveexec_b64 s[18:19], vcc
	s_cbranch_execz .LBB2_4396
; %bb.4391:                             ;   in Loop: Header=BB2_4075 Depth=2
	v_cmp_ne_u16_e32 vcc, s50, v28
	v_bfrev_b32_e32 v22, 1
	s_and_saveexec_b64 s[78:79], vcc
	s_cbranch_execz .LBB2_4395
; %bb.4392:                             ;   in Loop: Header=BB2_4075 Depth=2
	v_and_b32_e32 v6, 0x7f, v4
	v_cmp_ne_u32_e32 vcc, s39, v6
	v_mov_b32_e32 v22, 0x7f800001
	s_and_saveexec_b64 s[88:89], vcc
	s_cbranch_execz .LBB2_4394
; %bb.4393:                             ;   in Loop: Header=BB2_4075 Depth=2
	v_and_b32_e32 v8, 7, v28
	v_lshrrev_b32_e32 v9, 3, v6
	v_cmp_gt_u32_e32 vcc, 8, v6
	v_ffbh_u32_e32 v6, v8
	v_min_u32_e32 v22, 32, v6
	v_subrev_u32_e32 v6, 28, v22
	v_lshlrev_b64 v[6:7], v6, v[28:29]
	v_sub_u32_e32 v7, 29, v22
	v_and_b32_e32 v6, 7, v6
	v_cndmask_b32_e32 v7, v9, v7, vcc
	v_cndmask_b32_e32 v6, v8, v6, vcc
	v_lshlrev_b32_e32 v4, 24, v4
	v_lshlrev_b32_e32 v6, 20, v6
	v_and_b32_e32 v4, 0x80000000, v4
	v_lshl_add_u32 v7, v7, 23, v57
	v_or3_b32 v22, v4, v7, v6
.LBB2_4394:                             ;   in Loop: Header=BB2_4075 Depth=2
	s_or_b64 exec, exec, s[88:89]
.LBB2_4395:                             ;   in Loop: Header=BB2_4075 Depth=2
	s_or_b64 exec, exec, s[78:79]
.LBB2_4396:                             ;   in Loop: Header=BB2_4075 Depth=2
	s_or_b64 exec, exec, s[18:19]
	v_add_f32_e32 v23, v23, v22
	v_and_b32_e32 v28, 0x7f800000, v23
	v_cmp_ne_u64_e32 vcc, s[46:47], v[28:29]
                                        ; implicit-def: $vgpr4
	s_and_saveexec_b64 s[18:19], vcc
	s_xor_b64 s[78:79], exec, s[18:19]
	s_cbranch_execz .LBB2_4414
; %bb.4397:                             ;   in Loop: Header=BB2_4075 Depth=2
	v_and_b32_e32 v28, 0x7fffffff, v23
	v_cmp_gt_u64_e32 vcc, s[56:57], v[28:29]
	v_and_b32_sdwa v22, v23, s50 dst_sel:DWORD dst_unused:UNUSED_PAD src0_sel:BYTE_3 src1_sel:DWORD
                                        ; implicit-def: $vgpr4
	s_and_saveexec_b64 s[18:19], vcc
	s_xor_b64 s[88:89], exec, s[18:19]
	s_cbranch_execz .LBB2_4411
; %bb.4398:                             ;   in Loop: Header=BB2_4075 Depth=2
	v_cmp_ne_u32_e32 vcc, 0, v23
	v_mov_b32_e32 v4, 0
	s_and_saveexec_b64 s[90:91], vcc
	s_cbranch_execz .LBB2_4410
; %bb.4399:                             ;   in Loop: Header=BB2_4075 Depth=2
	v_bfe_u32 v4, v23, 23, 8
	v_cmp_gt_u32_e64 s[18:19], s51, v4
	v_sub_u32_e32 v6, 0x79, v4
	v_and_b32_e32 v7, 0x7fffff, v23
	v_cmp_eq_u32_e32 vcc, 0, v4
	v_cndmask_b32_e64 v6, 0, v6, s[18:19]
	v_or_b32_e32 v8, 0x800000, v7
	v_cndmask_b32_e32 v6, v6, v58, vcc
	v_cndmask_b32_e32 v28, v8, v7, vcc
	v_add_u32_e32 v7, 20, v6
	v_lshlrev_b64 v[7:8], v7, -1
	v_add_u32_e32 v9, 19, v6
	v_lshlrev_b64 v[37:38], v9, 1
	v_bfi_b32 v8, v8, 0, 0
	v_bfi_b32 v7, v7, 0, v28
	v_cmp_eq_u64_e64 s[18:19], v[7:8], v[37:38]
	v_lshrrev_b64 v[37:38], v6, v[28:29]
	v_mov_b32_e32 v39, v38
	v_mov_b32_e32 v38, v37
	s_and_saveexec_b64 s[92:93], s[18:19]
; %bb.4400:                             ;   in Loop: Header=BB2_4075 Depth=2
	v_bfe_u32 v7, v37, 20, 1
	v_add_co_u32_e64 v7, s[18:19], v37, v7
	v_add_co_u32_e64 v38, s[18:19], -1, v7
; %bb.4401:                             ;   in Loop: Header=BB2_4075 Depth=2
	s_or_b64 exec, exec, s[92:93]
	v_add_u32_e32 v4, 0xffffff81, v4
	v_cndmask_b32_e32 v4, v4, v59, vcc
	v_lshrrev_b32_e32 v7, 23, v37
	v_add3_u32 v6, v6, v4, v7
	v_add_u32_e32 v4, 6, v6
	v_and_b32_e32 v7, 0xfffff, v38
	v_add_u32_e32 v28, v7, v37
	v_cmp_ne_u32_e32 vcc, 0, v4
                                        ; implicit-def: $vgpr37_vgpr38
                                        ; implicit-def: $vgpr23
	s_and_saveexec_b64 s[18:19], vcc
	s_xor_b64 s[18:19], exec, s[18:19]
; %bb.4402:                             ;   in Loop: Header=BB2_4075 Depth=2
	v_cmp_lt_u64_e32 vcc, s[58:59], v[28:29]
	v_add_u32_e32 v6, 7, v6
	v_cndmask_b32_e32 v23, v4, v6, vcc
	v_cndmask_b32_e64 v4, 0, 1, vcc
	v_lshrrev_b64 v[37:38], v4, v[28:29]
; %bb.4403:                             ;   in Loop: Header=BB2_4075 Depth=2
	s_andn2_saveexec_b64 s[18:19], s[18:19]
; %bb.4404:                             ;   in Loop: Header=BB2_4075 Depth=2
	v_mov_b32_e32 v38, v29
	v_bfe_u32 v23, v28, 23, 1
	v_mov_b32_e32 v37, v28
; %bb.4405:                             ;   in Loop: Header=BB2_4075 Depth=2
	s_or_b64 exec, exec, s[18:19]
	v_lshrrev_b64 v[6:7], 20, v[37:38]
	v_cmp_gt_i32_e32 vcc, 16, v23
	v_cndmask_b32_e32 v38, 0, v7, vcc
	v_cndmask_b32_e32 v37, 7, v6, vcc
	v_cmp_ne_u64_e32 vcc, 0, v[37:38]
	v_cmp_ne_u32_e64 s[18:19], 0, v23
	s_or_b64 s[18:19], s[18:19], vcc
                                        ; implicit-def: $vgpr4
	s_and_saveexec_b64 s[92:93], s[18:19]
	s_xor_b64 s[18:19], exec, s[92:93]
; %bb.4406:                             ;   in Loop: Header=BB2_4075 Depth=2
	v_min_i32_e32 v4, 15, v23
	v_lshl_or_b32 v4, v4, 3, v22
	v_and_or_b32 v4, v37, 7, v4
                                        ; implicit-def: $vgpr22
; %bb.4407:                             ;   in Loop: Header=BB2_4075 Depth=2
	s_andn2_saveexec_b64 s[18:19], s[18:19]
; %bb.4408:                             ;   in Loop: Header=BB2_4075 Depth=2
	v_mov_b32_e32 v4, v22
; %bb.4409:                             ;   in Loop: Header=BB2_4075 Depth=2
	s_or_b64 exec, exec, s[18:19]
.LBB2_4410:                             ;   in Loop: Header=BB2_4075 Depth=2
	s_or_b64 exec, exec, s[90:91]
                                        ; implicit-def: $vgpr22
.LBB2_4411:                             ;   in Loop: Header=BB2_4075 Depth=2
	s_andn2_saveexec_b64 s[18:19], s[88:89]
; %bb.4412:                             ;   in Loop: Header=BB2_4075 Depth=2
	v_or_b32_e32 v4, 0x7e, v22
; %bb.4413:                             ;   in Loop: Header=BB2_4075 Depth=2
	s_or_b64 exec, exec, s[18:19]
                                        ; implicit-def: $vgpr23
.LBB2_4414:                             ;   in Loop: Header=BB2_4075 Depth=2
	s_andn2_saveexec_b64 s[18:19], s[78:79]
; %bb.4415:                             ;   in Loop: Header=BB2_4075 Depth=2
	v_or_b32_sdwa v4, v23, s39 dst_sel:DWORD dst_unused:UNUSED_PAD src0_sel:BYTE_3 src1_sel:DWORD
; %bb.4416:                             ;   in Loop: Header=BB2_4075 Depth=2
	s_or_b64 exec, exec, s[18:19]
	v_and_b32_e32 v28, 0xff, v21
	v_cmp_ne_u16_e32 vcc, 0, v28
	v_mov_b32_e32 v22, 0
	v_mov_b32_e32 v23, 0
	s_and_saveexec_b64 s[18:19], vcc
	s_cbranch_execz .LBB2_4422
; %bb.4417:                             ;   in Loop: Header=BB2_4075 Depth=2
	v_cmp_ne_u16_e32 vcc, s50, v28
	v_bfrev_b32_e32 v23, 1
	s_and_saveexec_b64 s[78:79], vcc
	s_cbranch_execz .LBB2_4421
; %bb.4418:                             ;   in Loop: Header=BB2_4075 Depth=2
	v_and_b32_e32 v6, 0x7f, v21
	v_cmp_ne_u32_e32 vcc, s39, v6
	v_mov_b32_e32 v23, 0x7f800001
	s_and_saveexec_b64 s[88:89], vcc
	s_cbranch_execz .LBB2_4420
; %bb.4419:                             ;   in Loop: Header=BB2_4075 Depth=2
	v_and_b32_e32 v8, 7, v28
	v_lshrrev_b32_e32 v9, 3, v6
	v_cmp_gt_u32_e32 vcc, 8, v6
	v_ffbh_u32_e32 v6, v8
	v_min_u32_e32 v23, 32, v6
	v_subrev_u32_e32 v6, 28, v23
	v_lshlrev_b64 v[6:7], v6, v[28:29]
	v_sub_u32_e32 v7, 29, v23
	v_and_b32_e32 v6, 7, v6
	v_cndmask_b32_e32 v7, v9, v7, vcc
	v_cndmask_b32_e32 v6, v8, v6, vcc
	v_lshlrev_b32_e32 v8, 24, v21
	v_lshlrev_b32_e32 v6, 20, v6
	v_and_b32_e32 v8, 0x80000000, v8
	v_lshl_add_u32 v7, v7, 23, v57
	v_or3_b32 v23, v8, v7, v6
.LBB2_4420:                             ;   in Loop: Header=BB2_4075 Depth=2
	s_or_b64 exec, exec, s[88:89]
.LBB2_4421:                             ;   in Loop: Header=BB2_4075 Depth=2
	s_or_b64 exec, exec, s[78:79]
.LBB2_4422:                             ;   in Loop: Header=BB2_4075 Depth=2
	s_or_b64 exec, exec, s[18:19]
	v_and_b32_e32 v28, 0xff, v5
	v_cmp_ne_u16_e32 vcc, 0, v28
	s_and_saveexec_b64 s[18:19], vcc
	s_cbranch_execz .LBB2_4428
; %bb.4423:                             ;   in Loop: Header=BB2_4075 Depth=2
	v_cmp_ne_u16_e32 vcc, s50, v28
	v_bfrev_b32_e32 v22, 1
	s_and_saveexec_b64 s[78:79], vcc
	s_cbranch_execz .LBB2_4427
; %bb.4424:                             ;   in Loop: Header=BB2_4075 Depth=2
	v_and_b32_e32 v6, 0x7f, v5
	v_cmp_ne_u32_e32 vcc, s39, v6
	v_mov_b32_e32 v22, 0x7f800001
	s_and_saveexec_b64 s[88:89], vcc
	s_cbranch_execz .LBB2_4426
; %bb.4425:                             ;   in Loop: Header=BB2_4075 Depth=2
	v_and_b32_e32 v8, 7, v28
	v_lshrrev_b32_e32 v9, 3, v6
	v_cmp_gt_u32_e32 vcc, 8, v6
	v_ffbh_u32_e32 v6, v8
	v_min_u32_e32 v21, 32, v6
	v_subrev_u32_e32 v6, 28, v21
	v_lshlrev_b64 v[6:7], v6, v[28:29]
	v_sub_u32_e32 v7, 29, v21
	v_and_b32_e32 v6, 7, v6
	v_cndmask_b32_e32 v7, v9, v7, vcc
	v_cndmask_b32_e32 v6, v8, v6, vcc
	v_lshlrev_b32_e32 v5, 24, v5
	v_lshlrev_b32_e32 v6, 20, v6
	v_and_b32_e32 v5, 0x80000000, v5
	v_lshl_add_u32 v7, v7, 23, v57
	v_or3_b32 v22, v5, v7, v6
.LBB2_4426:                             ;   in Loop: Header=BB2_4075 Depth=2
	s_or_b64 exec, exec, s[88:89]
.LBB2_4427:                             ;   in Loop: Header=BB2_4075 Depth=2
	s_or_b64 exec, exec, s[78:79]
.LBB2_4428:                             ;   in Loop: Header=BB2_4075 Depth=2
	s_or_b64 exec, exec, s[18:19]
	v_add_f32_e32 v22, v23, v22
	v_and_b32_e32 v28, 0x7f800000, v22
	v_cmp_ne_u64_e32 vcc, s[46:47], v[28:29]
                                        ; implicit-def: $vgpr5
	s_and_saveexec_b64 s[18:19], vcc
	s_xor_b64 s[78:79], exec, s[18:19]
	s_cbranch_execz .LBB2_4446
; %bb.4429:                             ;   in Loop: Header=BB2_4075 Depth=2
	v_and_b32_e32 v28, 0x7fffffff, v22
	v_cmp_gt_u64_e32 vcc, s[56:57], v[28:29]
	v_and_b32_sdwa v21, v22, s50 dst_sel:DWORD dst_unused:UNUSED_PAD src0_sel:BYTE_3 src1_sel:DWORD
                                        ; implicit-def: $vgpr5
	s_and_saveexec_b64 s[18:19], vcc
	s_xor_b64 s[88:89], exec, s[18:19]
	s_cbranch_execz .LBB2_4443
; %bb.4430:                             ;   in Loop: Header=BB2_4075 Depth=2
	v_cmp_ne_u32_e32 vcc, 0, v22
	v_mov_b32_e32 v5, 0
	s_and_saveexec_b64 s[90:91], vcc
	s_cbranch_execz .LBB2_4442
; %bb.4431:                             ;   in Loop: Header=BB2_4075 Depth=2
	v_bfe_u32 v5, v22, 23, 8
	v_cmp_gt_u32_e64 s[18:19], s51, v5
	v_sub_u32_e32 v6, 0x79, v5
	v_and_b32_e32 v7, 0x7fffff, v22
	v_cmp_eq_u32_e32 vcc, 0, v5
	v_cndmask_b32_e64 v6, 0, v6, s[18:19]
	v_or_b32_e32 v8, 0x800000, v7
	v_cndmask_b32_e32 v6, v6, v58, vcc
	v_cndmask_b32_e32 v28, v8, v7, vcc
	v_add_u32_e32 v7, 20, v6
	v_lshlrev_b64 v[7:8], v7, -1
	v_add_u32_e32 v9, 19, v6
	v_lshlrev_b64 v[22:23], v9, 1
	v_lshrrev_b64 v[37:38], v6, v[28:29]
	v_bfi_b32 v8, v8, 0, 0
	v_bfi_b32 v7, v7, 0, v28
	v_cmp_eq_u64_e64 s[18:19], v[7:8], v[22:23]
	v_mov_b32_e32 v39, v38
	v_mov_b32_e32 v38, v37
	s_and_saveexec_b64 s[92:93], s[18:19]
; %bb.4432:                             ;   in Loop: Header=BB2_4075 Depth=2
	v_bfe_u32 v7, v37, 20, 1
	v_add_co_u32_e64 v7, s[18:19], v37, v7
	v_add_co_u32_e64 v38, s[18:19], -1, v7
; %bb.4433:                             ;   in Loop: Header=BB2_4075 Depth=2
	s_or_b64 exec, exec, s[92:93]
	v_add_u32_e32 v5, 0xffffff81, v5
	v_cndmask_b32_e32 v5, v5, v59, vcc
	v_lshrrev_b32_e32 v7, 23, v37
	v_add3_u32 v6, v6, v5, v7
	v_add_u32_e32 v5, 6, v6
	v_and_b32_e32 v7, 0xfffff, v38
	v_add_u32_e32 v28, v7, v37
	v_cmp_ne_u32_e32 vcc, 0, v5
                                        ; implicit-def: $vgpr37_vgpr38
                                        ; implicit-def: $vgpr22
	s_and_saveexec_b64 s[18:19], vcc
	s_xor_b64 s[18:19], exec, s[18:19]
; %bb.4434:                             ;   in Loop: Header=BB2_4075 Depth=2
	v_cmp_lt_u64_e32 vcc, s[58:59], v[28:29]
	v_add_u32_e32 v6, 7, v6
	v_cndmask_b32_e32 v22, v5, v6, vcc
	v_cndmask_b32_e64 v5, 0, 1, vcc
	v_lshrrev_b64 v[37:38], v5, v[28:29]
; %bb.4435:                             ;   in Loop: Header=BB2_4075 Depth=2
	s_andn2_saveexec_b64 s[18:19], s[18:19]
; %bb.4436:                             ;   in Loop: Header=BB2_4075 Depth=2
	v_mov_b32_e32 v38, v29
	v_bfe_u32 v22, v28, 23, 1
	v_mov_b32_e32 v37, v28
; %bb.4437:                             ;   in Loop: Header=BB2_4075 Depth=2
	s_or_b64 exec, exec, s[18:19]
	v_lshrrev_b64 v[5:6], 20, v[37:38]
	v_cmp_gt_i32_e32 vcc, 16, v22
	v_cndmask_b32_e32 v38, 0, v6, vcc
	v_cndmask_b32_e32 v37, 7, v5, vcc
	v_cmp_ne_u64_e32 vcc, 0, v[37:38]
	v_cmp_ne_u32_e64 s[18:19], 0, v22
	s_or_b64 s[18:19], s[18:19], vcc
                                        ; implicit-def: $vgpr5
	s_and_saveexec_b64 s[92:93], s[18:19]
	s_xor_b64 s[18:19], exec, s[92:93]
; %bb.4438:                             ;   in Loop: Header=BB2_4075 Depth=2
	v_min_i32_e32 v5, 15, v22
	v_lshl_or_b32 v5, v5, 3, v21
	v_and_or_b32 v5, v37, 7, v5
                                        ; implicit-def: $vgpr21
; %bb.4439:                             ;   in Loop: Header=BB2_4075 Depth=2
	s_andn2_saveexec_b64 s[18:19], s[18:19]
; %bb.4440:                             ;   in Loop: Header=BB2_4075 Depth=2
	v_mov_b32_e32 v5, v21
; %bb.4441:                             ;   in Loop: Header=BB2_4075 Depth=2
	s_or_b64 exec, exec, s[18:19]
.LBB2_4442:                             ;   in Loop: Header=BB2_4075 Depth=2
	s_or_b64 exec, exec, s[90:91]
                                        ; implicit-def: $vgpr21
.LBB2_4443:                             ;   in Loop: Header=BB2_4075 Depth=2
	s_andn2_saveexec_b64 s[18:19], s[88:89]
; %bb.4444:                             ;   in Loop: Header=BB2_4075 Depth=2
	v_or_b32_e32 v5, 0x7e, v21
; %bb.4445:                             ;   in Loop: Header=BB2_4075 Depth=2
	s_or_b64 exec, exec, s[18:19]
                                        ; implicit-def: $vgpr22
.LBB2_4446:                             ;   in Loop: Header=BB2_4075 Depth=2
	s_andn2_saveexec_b64 s[18:19], s[78:79]
; %bb.4447:                             ;   in Loop: Header=BB2_4075 Depth=2
	v_or_b32_sdwa v5, v22, s39 dst_sel:DWORD dst_unused:UNUSED_PAD src0_sel:BYTE_3 src1_sel:DWORD
; %bb.4448:                             ;   in Loop: Header=BB2_4075 Depth=2
	s_or_b64 exec, exec, s[18:19]
	v_and_b32_e32 v28, 0xff, v20
	v_cmp_ne_u16_e32 vcc, 0, v28
	v_mov_b32_e32 v21, 0
	v_mov_b32_e32 v22, 0
	s_and_saveexec_b64 s[18:19], vcc
	s_cbranch_execz .LBB2_4454
; %bb.4449:                             ;   in Loop: Header=BB2_4075 Depth=2
	v_cmp_ne_u16_e32 vcc, s50, v28
	v_bfrev_b32_e32 v22, 1
	s_and_saveexec_b64 s[78:79], vcc
	s_cbranch_execz .LBB2_4453
; %bb.4450:                             ;   in Loop: Header=BB2_4075 Depth=2
	v_and_b32_e32 v6, 0x7f, v20
	v_cmp_ne_u32_e32 vcc, s39, v6
	v_mov_b32_e32 v22, 0x7f800001
	s_and_saveexec_b64 s[88:89], vcc
	s_cbranch_execz .LBB2_4452
; %bb.4451:                             ;   in Loop: Header=BB2_4075 Depth=2
	v_and_b32_e32 v8, 7, v28
	v_lshrrev_b32_e32 v9, 3, v6
	v_cmp_gt_u32_e32 vcc, 8, v6
	v_ffbh_u32_e32 v6, v8
	v_min_u32_e32 v22, 32, v6
	v_subrev_u32_e32 v6, 28, v22
	v_lshlrev_b64 v[6:7], v6, v[28:29]
	v_sub_u32_e32 v7, 29, v22
	v_and_b32_e32 v6, 7, v6
	v_cndmask_b32_e32 v7, v9, v7, vcc
	v_cndmask_b32_e32 v6, v8, v6, vcc
	v_lshlrev_b32_e32 v8, 24, v20
	v_lshlrev_b32_e32 v6, 20, v6
	v_and_b32_e32 v8, 0x80000000, v8
	v_lshl_add_u32 v7, v7, 23, v57
	v_or3_b32 v22, v8, v7, v6
.LBB2_4452:                             ;   in Loop: Header=BB2_4075 Depth=2
	s_or_b64 exec, exec, s[88:89]
.LBB2_4453:                             ;   in Loop: Header=BB2_4075 Depth=2
	s_or_b64 exec, exec, s[78:79]
.LBB2_4454:                             ;   in Loop: Header=BB2_4075 Depth=2
	s_or_b64 exec, exec, s[18:19]
	v_and_b32_e32 v28, 0xff, v48
	v_cmp_ne_u16_e32 vcc, 0, v28
	s_and_saveexec_b64 s[18:19], vcc
	s_cbranch_execz .LBB2_4460
; %bb.4455:                             ;   in Loop: Header=BB2_4075 Depth=2
	v_cmp_ne_u16_e32 vcc, s50, v28
	v_bfrev_b32_e32 v21, 1
	s_and_saveexec_b64 s[78:79], vcc
	s_cbranch_execz .LBB2_4459
; %bb.4456:                             ;   in Loop: Header=BB2_4075 Depth=2
	v_and_b32_e32 v6, 0x7f, v48
	v_cmp_ne_u32_e32 vcc, s39, v6
	v_mov_b32_e32 v21, 0x7f800001
	s_and_saveexec_b64 s[88:89], vcc
	s_cbranch_execz .LBB2_4458
; %bb.4457:                             ;   in Loop: Header=BB2_4075 Depth=2
	v_and_b32_e32 v8, 7, v28
	v_lshrrev_b32_e32 v9, 3, v6
	v_cmp_gt_u32_e32 vcc, 8, v6
	v_ffbh_u32_e32 v6, v8
	v_min_u32_e32 v20, 32, v6
	v_subrev_u32_e32 v6, 28, v20
	v_lshlrev_b64 v[6:7], v6, v[28:29]
	v_sub_u32_e32 v7, 29, v20
	v_and_b32_e32 v6, 7, v6
	v_cndmask_b32_e32 v7, v9, v7, vcc
	v_cndmask_b32_e32 v6, v8, v6, vcc
	v_lshlrev_b32_e32 v8, 24, v48
	v_lshlrev_b32_e32 v6, 20, v6
	v_and_b32_e32 v8, 0x80000000, v8
	v_lshl_add_u32 v7, v7, 23, v57
	v_or3_b32 v21, v8, v7, v6
.LBB2_4458:                             ;   in Loop: Header=BB2_4075 Depth=2
	s_or_b64 exec, exec, s[88:89]
.LBB2_4459:                             ;   in Loop: Header=BB2_4075 Depth=2
	s_or_b64 exec, exec, s[78:79]
.LBB2_4460:                             ;   in Loop: Header=BB2_4075 Depth=2
	s_or_b64 exec, exec, s[18:19]
	v_add_f32_e32 v22, v22, v21
	v_and_b32_e32 v28, 0x7f800000, v22
	v_cmp_ne_u64_e32 vcc, s[46:47], v[28:29]
                                        ; implicit-def: $vgpr20
	s_and_saveexec_b64 s[18:19], vcc
	s_xor_b64 s[78:79], exec, s[18:19]
	s_cbranch_execz .LBB2_4478
; %bb.4461:                             ;   in Loop: Header=BB2_4075 Depth=2
	v_and_b32_e32 v28, 0x7fffffff, v22
	v_cmp_gt_u64_e32 vcc, s[56:57], v[28:29]
	v_and_b32_sdwa v21, v22, s50 dst_sel:DWORD dst_unused:UNUSED_PAD src0_sel:BYTE_3 src1_sel:DWORD
                                        ; implicit-def: $vgpr20
	s_and_saveexec_b64 s[18:19], vcc
	s_xor_b64 s[88:89], exec, s[18:19]
	s_cbranch_execz .LBB2_4475
; %bb.4462:                             ;   in Loop: Header=BB2_4075 Depth=2
	v_cmp_ne_u32_e32 vcc, 0, v22
	v_mov_b32_e32 v20, 0
	s_and_saveexec_b64 s[90:91], vcc
	s_cbranch_execz .LBB2_4474
; %bb.4463:                             ;   in Loop: Header=BB2_4075 Depth=2
	v_bfe_u32 v20, v22, 23, 8
	v_cmp_gt_u32_e64 s[18:19], s51, v20
	v_sub_u32_e32 v6, 0x79, v20
	v_and_b32_e32 v7, 0x7fffff, v22
	v_cmp_eq_u32_e32 vcc, 0, v20
	v_cndmask_b32_e64 v6, 0, v6, s[18:19]
	v_or_b32_e32 v8, 0x800000, v7
	v_cndmask_b32_e32 v6, v6, v58, vcc
	v_cndmask_b32_e32 v28, v8, v7, vcc
	v_add_u32_e32 v7, 20, v6
	v_lshlrev_b64 v[7:8], v7, -1
	v_add_u32_e32 v9, 19, v6
	v_lshlrev_b64 v[22:23], v9, 1
	v_lshrrev_b64 v[37:38], v6, v[28:29]
	v_bfi_b32 v8, v8, 0, 0
	v_bfi_b32 v7, v7, 0, v28
	v_cmp_eq_u64_e64 s[18:19], v[7:8], v[22:23]
	v_mov_b32_e32 v39, v38
	v_mov_b32_e32 v38, v37
	s_and_saveexec_b64 s[92:93], s[18:19]
; %bb.4464:                             ;   in Loop: Header=BB2_4075 Depth=2
	v_bfe_u32 v7, v37, 20, 1
	v_add_co_u32_e64 v7, s[18:19], v37, v7
	v_add_co_u32_e64 v38, s[18:19], -1, v7
; %bb.4465:                             ;   in Loop: Header=BB2_4075 Depth=2
	s_or_b64 exec, exec, s[92:93]
	v_add_u32_e32 v7, 0xffffff81, v20
	v_cndmask_b32_e32 v7, v7, v59, vcc
	v_lshrrev_b32_e32 v8, 23, v37
	v_add3_u32 v7, v6, v7, v8
	v_add_u32_e32 v6, 6, v7
	v_and_b32_e32 v8, 0xfffff, v38
	v_add_u32_e32 v28, v8, v37
	v_cmp_ne_u32_e32 vcc, 0, v6
                                        ; implicit-def: $vgpr37_vgpr38
                                        ; implicit-def: $vgpr22
	s_and_saveexec_b64 s[18:19], vcc
	s_xor_b64 s[18:19], exec, s[18:19]
; %bb.4466:                             ;   in Loop: Header=BB2_4075 Depth=2
	v_cmp_lt_u64_e32 vcc, s[58:59], v[28:29]
	v_add_u32_e32 v7, 7, v7
	v_cndmask_b32_e32 v22, v6, v7, vcc
	v_cndmask_b32_e64 v6, 0, 1, vcc
	v_lshrrev_b64 v[37:38], v6, v[28:29]
; %bb.4467:                             ;   in Loop: Header=BB2_4075 Depth=2
	s_andn2_saveexec_b64 s[18:19], s[18:19]
; %bb.4468:                             ;   in Loop: Header=BB2_4075 Depth=2
	v_mov_b32_e32 v38, v29
	v_bfe_u32 v22, v28, 23, 1
	v_mov_b32_e32 v37, v28
; %bb.4469:                             ;   in Loop: Header=BB2_4075 Depth=2
	s_or_b64 exec, exec, s[18:19]
	v_lshrrev_b64 v[6:7], 20, v[37:38]
	v_cmp_gt_i32_e32 vcc, 16, v22
	v_cndmask_b32_e32 v38, 0, v7, vcc
	v_cndmask_b32_e32 v37, 7, v6, vcc
	v_cmp_ne_u64_e32 vcc, 0, v[37:38]
	v_cmp_ne_u32_e64 s[18:19], 0, v22
	s_or_b64 s[18:19], s[18:19], vcc
                                        ; implicit-def: $vgpr20
	s_and_saveexec_b64 s[92:93], s[18:19]
	s_xor_b64 s[18:19], exec, s[92:93]
; %bb.4470:                             ;   in Loop: Header=BB2_4075 Depth=2
	v_min_i32_e32 v6, 15, v22
	v_lshl_or_b32 v6, v6, 3, v21
	v_and_or_b32 v20, v37, 7, v6
                                        ; implicit-def: $vgpr21
; %bb.4471:                             ;   in Loop: Header=BB2_4075 Depth=2
	s_andn2_saveexec_b64 s[18:19], s[18:19]
; %bb.4472:                             ;   in Loop: Header=BB2_4075 Depth=2
	v_mov_b32_e32 v20, v21
; %bb.4473:                             ;   in Loop: Header=BB2_4075 Depth=2
	s_or_b64 exec, exec, s[18:19]
.LBB2_4474:                             ;   in Loop: Header=BB2_4075 Depth=2
	s_or_b64 exec, exec, s[90:91]
                                        ; implicit-def: $vgpr21
.LBB2_4475:                             ;   in Loop: Header=BB2_4075 Depth=2
	s_andn2_saveexec_b64 s[18:19], s[88:89]
; %bb.4476:                             ;   in Loop: Header=BB2_4075 Depth=2
	v_or_b32_e32 v20, 0x7e, v21
; %bb.4477:                             ;   in Loop: Header=BB2_4075 Depth=2
	s_or_b64 exec, exec, s[18:19]
                                        ; implicit-def: $vgpr22
.LBB2_4478:                             ;   in Loop: Header=BB2_4075 Depth=2
	s_andn2_saveexec_b64 s[18:19], s[78:79]
; %bb.4479:                             ;   in Loop: Header=BB2_4075 Depth=2
	v_or_b32_sdwa v20, v22, s39 dst_sel:DWORD dst_unused:UNUSED_PAD src0_sel:BYTE_3 src1_sel:DWORD
; %bb.4480:                             ;   in Loop: Header=BB2_4075 Depth=2
	s_or_b64 exec, exec, s[18:19]
	v_and_b32_e32 v28, 0xff, v17
	v_cmp_ne_u16_e32 vcc, 0, v28
	v_mov_b32_e32 v21, 0
	v_mov_b32_e32 v22, 0
	s_and_saveexec_b64 s[18:19], vcc
	s_cbranch_execz .LBB2_4486
; %bb.4481:                             ;   in Loop: Header=BB2_4075 Depth=2
	v_cmp_ne_u16_e32 vcc, s50, v28
	v_bfrev_b32_e32 v22, 1
	s_and_saveexec_b64 s[78:79], vcc
	s_cbranch_execz .LBB2_4485
; %bb.4482:                             ;   in Loop: Header=BB2_4075 Depth=2
	v_and_b32_e32 v6, 0x7f, v17
	v_cmp_ne_u32_e32 vcc, s39, v6
	v_mov_b32_e32 v22, 0x7f800001
	s_and_saveexec_b64 s[88:89], vcc
	s_cbranch_execz .LBB2_4484
; %bb.4483:                             ;   in Loop: Header=BB2_4075 Depth=2
	v_and_b32_e32 v8, 7, v28
	v_lshrrev_b32_e32 v9, 3, v6
	v_cmp_gt_u32_e32 vcc, 8, v6
	v_ffbh_u32_e32 v6, v8
	v_min_u32_e32 v22, 32, v6
	v_subrev_u32_e32 v6, 28, v22
	v_lshlrev_b64 v[6:7], v6, v[28:29]
	v_sub_u32_e32 v7, 29, v22
	v_and_b32_e32 v6, 7, v6
	v_cndmask_b32_e32 v7, v9, v7, vcc
	v_cndmask_b32_e32 v6, v8, v6, vcc
	v_lshlrev_b32_e32 v8, 24, v17
	v_lshlrev_b32_e32 v6, 20, v6
	v_and_b32_e32 v8, 0x80000000, v8
	v_lshl_add_u32 v7, v7, 23, v57
	v_or3_b32 v22, v8, v7, v6
.LBB2_4484:                             ;   in Loop: Header=BB2_4075 Depth=2
	s_or_b64 exec, exec, s[88:89]
.LBB2_4485:                             ;   in Loop: Header=BB2_4075 Depth=2
	s_or_b64 exec, exec, s[78:79]
.LBB2_4486:                             ;   in Loop: Header=BB2_4075 Depth=2
	s_or_b64 exec, exec, s[18:19]
	v_and_b32_e32 v28, 0xff, v31
	v_cmp_ne_u16_e32 vcc, 0, v28
	s_and_saveexec_b64 s[18:19], vcc
	s_cbranch_execz .LBB2_4492
; %bb.4487:                             ;   in Loop: Header=BB2_4075 Depth=2
	v_cmp_ne_u16_e32 vcc, s50, v28
	v_bfrev_b32_e32 v21, 1
	s_and_saveexec_b64 s[78:79], vcc
	s_cbranch_execz .LBB2_4491
; %bb.4488:                             ;   in Loop: Header=BB2_4075 Depth=2
	v_and_b32_e32 v6, 0x7f, v31
	v_cmp_ne_u32_e32 vcc, s39, v6
	v_mov_b32_e32 v21, 0x7f800001
	s_and_saveexec_b64 s[88:89], vcc
	s_cbranch_execz .LBB2_4490
; %bb.4489:                             ;   in Loop: Header=BB2_4075 Depth=2
	v_and_b32_e32 v8, 7, v28
	v_lshrrev_b32_e32 v9, 3, v6
	v_cmp_gt_u32_e32 vcc, 8, v6
	v_ffbh_u32_e32 v6, v8
	v_min_u32_e32 v17, 32, v6
	v_subrev_u32_e32 v6, 28, v17
	v_lshlrev_b64 v[6:7], v6, v[28:29]
	v_sub_u32_e32 v7, 29, v17
	v_and_b32_e32 v6, 7, v6
	v_cndmask_b32_e32 v7, v9, v7, vcc
	v_cndmask_b32_e32 v6, v8, v6, vcc
	v_lshlrev_b32_e32 v8, 24, v31
	v_lshlrev_b32_e32 v6, 20, v6
	v_and_b32_e32 v8, 0x80000000, v8
	v_lshl_add_u32 v7, v7, 23, v57
	v_or3_b32 v21, v8, v7, v6
.LBB2_4490:                             ;   in Loop: Header=BB2_4075 Depth=2
	s_or_b64 exec, exec, s[88:89]
.LBB2_4491:                             ;   in Loop: Header=BB2_4075 Depth=2
	s_or_b64 exec, exec, s[78:79]
.LBB2_4492:                             ;   in Loop: Header=BB2_4075 Depth=2
	s_or_b64 exec, exec, s[18:19]
	v_add_f32_e32 v22, v22, v21
	v_and_b32_e32 v28, 0x7f800000, v22
	v_cmp_ne_u64_e32 vcc, s[46:47], v[28:29]
                                        ; implicit-def: $vgpr17
	s_and_saveexec_b64 s[18:19], vcc
	s_xor_b64 s[78:79], exec, s[18:19]
	s_cbranch_execz .LBB2_4510
; %bb.4493:                             ;   in Loop: Header=BB2_4075 Depth=2
	v_and_b32_e32 v28, 0x7fffffff, v22
	v_cmp_gt_u64_e32 vcc, s[56:57], v[28:29]
	v_and_b32_sdwa v21, v22, s50 dst_sel:DWORD dst_unused:UNUSED_PAD src0_sel:BYTE_3 src1_sel:DWORD
                                        ; implicit-def: $vgpr17
	s_and_saveexec_b64 s[18:19], vcc
	s_xor_b64 s[88:89], exec, s[18:19]
	s_cbranch_execz .LBB2_4507
; %bb.4494:                             ;   in Loop: Header=BB2_4075 Depth=2
	v_cmp_ne_u32_e32 vcc, 0, v22
	v_mov_b32_e32 v17, 0
	s_and_saveexec_b64 s[90:91], vcc
	s_cbranch_execz .LBB2_4506
; %bb.4495:                             ;   in Loop: Header=BB2_4075 Depth=2
	v_bfe_u32 v17, v22, 23, 8
	v_cmp_gt_u32_e64 s[18:19], s51, v17
	v_sub_u32_e32 v6, 0x79, v17
	v_and_b32_e32 v7, 0x7fffff, v22
	v_cmp_eq_u32_e32 vcc, 0, v17
	v_cndmask_b32_e64 v6, 0, v6, s[18:19]
	v_or_b32_e32 v8, 0x800000, v7
	v_cndmask_b32_e32 v6, v6, v58, vcc
	v_cndmask_b32_e32 v28, v8, v7, vcc
	v_add_u32_e32 v7, 20, v6
	v_lshlrev_b64 v[7:8], v7, -1
	v_add_u32_e32 v9, 19, v6
	v_lshlrev_b64 v[22:23], v9, 1
	v_lshrrev_b64 v[37:38], v6, v[28:29]
	v_bfi_b32 v8, v8, 0, 0
	v_bfi_b32 v7, v7, 0, v28
	v_cmp_eq_u64_e64 s[18:19], v[7:8], v[22:23]
	v_mov_b32_e32 v39, v38
	v_mov_b32_e32 v38, v37
	s_and_saveexec_b64 s[92:93], s[18:19]
; %bb.4496:                             ;   in Loop: Header=BB2_4075 Depth=2
	v_bfe_u32 v7, v37, 20, 1
	v_add_co_u32_e64 v7, s[18:19], v37, v7
	v_add_co_u32_e64 v38, s[18:19], -1, v7
; %bb.4497:                             ;   in Loop: Header=BB2_4075 Depth=2
	s_or_b64 exec, exec, s[92:93]
	v_add_u32_e32 v7, 0xffffff81, v17
	v_cndmask_b32_e32 v7, v7, v59, vcc
	v_lshrrev_b32_e32 v8, 23, v37
	v_add3_u32 v7, v6, v7, v8
	v_add_u32_e32 v6, 6, v7
	v_and_b32_e32 v8, 0xfffff, v38
	v_add_u32_e32 v28, v8, v37
	v_cmp_ne_u32_e32 vcc, 0, v6
                                        ; implicit-def: $vgpr37_vgpr38
                                        ; implicit-def: $vgpr22
	s_and_saveexec_b64 s[18:19], vcc
	s_xor_b64 s[18:19], exec, s[18:19]
; %bb.4498:                             ;   in Loop: Header=BB2_4075 Depth=2
	v_cmp_lt_u64_e32 vcc, s[58:59], v[28:29]
	v_add_u32_e32 v7, 7, v7
	v_cndmask_b32_e32 v22, v6, v7, vcc
	v_cndmask_b32_e64 v6, 0, 1, vcc
	v_lshrrev_b64 v[37:38], v6, v[28:29]
; %bb.4499:                             ;   in Loop: Header=BB2_4075 Depth=2
	s_andn2_saveexec_b64 s[18:19], s[18:19]
; %bb.4500:                             ;   in Loop: Header=BB2_4075 Depth=2
	v_mov_b32_e32 v38, v29
	v_bfe_u32 v22, v28, 23, 1
	v_mov_b32_e32 v37, v28
; %bb.4501:                             ;   in Loop: Header=BB2_4075 Depth=2
	s_or_b64 exec, exec, s[18:19]
	v_lshrrev_b64 v[6:7], 20, v[37:38]
	v_cmp_gt_i32_e32 vcc, 16, v22
	v_cndmask_b32_e32 v38, 0, v7, vcc
	v_cndmask_b32_e32 v37, 7, v6, vcc
	v_cmp_ne_u64_e32 vcc, 0, v[37:38]
	v_cmp_ne_u32_e64 s[18:19], 0, v22
	s_or_b64 s[18:19], s[18:19], vcc
                                        ; implicit-def: $vgpr17
	s_and_saveexec_b64 s[92:93], s[18:19]
	s_xor_b64 s[18:19], exec, s[92:93]
; %bb.4502:                             ;   in Loop: Header=BB2_4075 Depth=2
	v_min_i32_e32 v6, 15, v22
	v_lshl_or_b32 v6, v6, 3, v21
	v_and_or_b32 v17, v37, 7, v6
                                        ; implicit-def: $vgpr21
; %bb.4503:                             ;   in Loop: Header=BB2_4075 Depth=2
	s_andn2_saveexec_b64 s[18:19], s[18:19]
; %bb.4504:                             ;   in Loop: Header=BB2_4075 Depth=2
	v_mov_b32_e32 v17, v21
; %bb.4505:                             ;   in Loop: Header=BB2_4075 Depth=2
	s_or_b64 exec, exec, s[18:19]
.LBB2_4506:                             ;   in Loop: Header=BB2_4075 Depth=2
	s_or_b64 exec, exec, s[90:91]
                                        ; implicit-def: $vgpr21
.LBB2_4507:                             ;   in Loop: Header=BB2_4075 Depth=2
	s_andn2_saveexec_b64 s[18:19], s[88:89]
; %bb.4508:                             ;   in Loop: Header=BB2_4075 Depth=2
	v_or_b32_e32 v17, 0x7e, v21
; %bb.4509:                             ;   in Loop: Header=BB2_4075 Depth=2
	s_or_b64 exec, exec, s[18:19]
                                        ; implicit-def: $vgpr22
.LBB2_4510:                             ;   in Loop: Header=BB2_4075 Depth=2
	s_andn2_saveexec_b64 s[18:19], s[78:79]
; %bb.4511:                             ;   in Loop: Header=BB2_4075 Depth=2
	v_or_b32_sdwa v17, v22, s39 dst_sel:DWORD dst_unused:UNUSED_PAD src0_sel:BYTE_3 src1_sel:DWORD
; %bb.4512:                             ;   in Loop: Header=BB2_4075 Depth=2
	s_or_b64 exec, exec, s[18:19]
	v_and_b32_e32 v28, 0xff, v0
	v_cmp_ne_u16_e32 vcc, 0, v28
	v_mov_b32_e32 v21, 0
	v_mov_b32_e32 v22, 0
	s_and_saveexec_b64 s[18:19], vcc
	s_cbranch_execz .LBB2_4518
; %bb.4513:                             ;   in Loop: Header=BB2_4075 Depth=2
	v_cmp_ne_u16_e32 vcc, s50, v28
	v_bfrev_b32_e32 v22, 1
	s_and_saveexec_b64 s[78:79], vcc
	s_cbranch_execz .LBB2_4517
; %bb.4514:                             ;   in Loop: Header=BB2_4075 Depth=2
	v_and_b32_e32 v6, 0x7f, v0
	v_cmp_ne_u32_e32 vcc, s39, v6
	v_mov_b32_e32 v22, 0x7f800001
	s_and_saveexec_b64 s[88:89], vcc
	s_cbranch_execz .LBB2_4516
; %bb.4515:                             ;   in Loop: Header=BB2_4075 Depth=2
	v_and_b32_e32 v8, 7, v28
	v_lshrrev_b32_e32 v9, 3, v6
	v_cmp_gt_u32_e32 vcc, 8, v6
	v_ffbh_u32_e32 v6, v8
	v_min_u32_e32 v22, 32, v6
	v_subrev_u32_e32 v6, 28, v22
	v_lshlrev_b64 v[6:7], v6, v[28:29]
	v_sub_u32_e32 v7, 29, v22
	v_and_b32_e32 v6, 7, v6
	v_cndmask_b32_e32 v7, v9, v7, vcc
	v_cndmask_b32_e32 v6, v8, v6, vcc
	v_lshlrev_b32_e32 v0, 24, v0
	v_lshlrev_b32_e32 v6, 20, v6
	v_and_b32_e32 v0, 0x80000000, v0
	v_lshl_add_u32 v7, v7, 23, v57
	v_or3_b32 v22, v0, v7, v6
.LBB2_4516:                             ;   in Loop: Header=BB2_4075 Depth=2
	s_or_b64 exec, exec, s[88:89]
.LBB2_4517:                             ;   in Loop: Header=BB2_4075 Depth=2
	s_or_b64 exec, exec, s[78:79]
.LBB2_4518:                             ;   in Loop: Header=BB2_4075 Depth=2
	s_or_b64 exec, exec, s[18:19]
	v_and_b32_e32 v28, 0xff, v1
	v_cmp_ne_u16_e32 vcc, 0, v28
	s_and_saveexec_b64 s[18:19], vcc
	s_cbranch_execz .LBB2_4524
; %bb.4519:                             ;   in Loop: Header=BB2_4075 Depth=2
	v_cmp_ne_u16_e32 vcc, s50, v28
	v_bfrev_b32_e32 v21, 1
	s_and_saveexec_b64 s[78:79], vcc
	s_cbranch_execz .LBB2_4523
; %bb.4520:                             ;   in Loop: Header=BB2_4075 Depth=2
	v_and_b32_e32 v0, 0x7f, v1
	v_cmp_ne_u32_e32 vcc, s39, v0
	v_mov_b32_e32 v21, 0x7f800001
	s_and_saveexec_b64 s[88:89], vcc
	s_cbranch_execz .LBB2_4522
; %bb.4521:                             ;   in Loop: Header=BB2_4075 Depth=2
	v_and_b32_e32 v8, 7, v28
	v_lshrrev_b32_e32 v9, 3, v0
	v_cmp_gt_u32_e32 vcc, 8, v0
	v_ffbh_u32_e32 v0, v8
	v_min_u32_e32 v0, 32, v0
	v_subrev_u32_e32 v6, 28, v0
	v_lshlrev_b64 v[6:7], v6, v[28:29]
	v_sub_u32_e32 v0, 29, v0
	v_and_b32_e32 v6, 7, v6
	v_cndmask_b32_e32 v0, v9, v0, vcc
	v_cndmask_b32_e32 v6, v8, v6, vcc
	v_lshlrev_b32_e32 v1, 24, v1
	v_lshlrev_b32_e32 v6, 20, v6
	v_and_b32_e32 v1, 0x80000000, v1
	v_lshl_add_u32 v0, v0, 23, v57
	v_or3_b32 v21, v1, v0, v6
.LBB2_4522:                             ;   in Loop: Header=BB2_4075 Depth=2
	s_or_b64 exec, exec, s[88:89]
.LBB2_4523:                             ;   in Loop: Header=BB2_4075 Depth=2
	s_or_b64 exec, exec, s[78:79]
.LBB2_4524:                             ;   in Loop: Header=BB2_4075 Depth=2
	s_or_b64 exec, exec, s[18:19]
	v_add_f32_e32 v21, v22, v21
	v_and_b32_e32 v28, 0x7f800000, v21
	v_cmp_ne_u64_e32 vcc, s[46:47], v[28:29]
                                        ; implicit-def: $vgpr1
	s_and_saveexec_b64 s[18:19], vcc
	s_xor_b64 s[78:79], exec, s[18:19]
	s_cbranch_execz .LBB2_4542
; %bb.4525:                             ;   in Loop: Header=BB2_4075 Depth=2
	v_and_b32_e32 v28, 0x7fffffff, v21
	v_cmp_gt_u64_e32 vcc, s[56:57], v[28:29]
	v_and_b32_sdwa v0, v21, s50 dst_sel:DWORD dst_unused:UNUSED_PAD src0_sel:BYTE_3 src1_sel:DWORD
                                        ; implicit-def: $vgpr1
	s_and_saveexec_b64 s[18:19], vcc
	s_xor_b64 s[88:89], exec, s[18:19]
	s_cbranch_execz .LBB2_4539
; %bb.4526:                             ;   in Loop: Header=BB2_4075 Depth=2
	v_cmp_ne_u32_e32 vcc, 0, v21
	v_mov_b32_e32 v1, 0
	s_and_saveexec_b64 s[90:91], vcc
	s_cbranch_execz .LBB2_4538
; %bb.4527:                             ;   in Loop: Header=BB2_4075 Depth=2
	v_bfe_u32 v1, v21, 23, 8
	v_cmp_gt_u32_e64 s[18:19], s51, v1
	v_sub_u32_e32 v6, 0x79, v1
	v_and_b32_e32 v7, 0x7fffff, v21
	v_cmp_eq_u32_e32 vcc, 0, v1
	v_cndmask_b32_e64 v6, 0, v6, s[18:19]
	v_or_b32_e32 v8, 0x800000, v7
	v_cndmask_b32_e32 v6, v6, v58, vcc
	v_cndmask_b32_e32 v28, v8, v7, vcc
	v_add_u32_e32 v7, 20, v6
	v_lshlrev_b64 v[7:8], v7, -1
	v_add_u32_e32 v9, 19, v6
	v_lshlrev_b64 v[21:22], v9, 1
	v_lshrrev_b64 v[37:38], v6, v[28:29]
	v_bfi_b32 v8, v8, 0, 0
	v_bfi_b32 v7, v7, 0, v28
	v_cmp_eq_u64_e64 s[18:19], v[7:8], v[21:22]
	v_mov_b32_e32 v39, v38
	v_mov_b32_e32 v38, v37
	s_and_saveexec_b64 s[92:93], s[18:19]
; %bb.4528:                             ;   in Loop: Header=BB2_4075 Depth=2
	v_bfe_u32 v7, v37, 20, 1
	v_add_co_u32_e64 v7, s[18:19], v37, v7
	v_add_co_u32_e64 v38, s[18:19], -1, v7
; %bb.4529:                             ;   in Loop: Header=BB2_4075 Depth=2
	s_or_b64 exec, exec, s[92:93]
	v_add_u32_e32 v1, 0xffffff81, v1
	v_cndmask_b32_e32 v1, v1, v59, vcc
	v_lshrrev_b32_e32 v7, 23, v37
	v_add3_u32 v6, v6, v1, v7
	v_add_u32_e32 v1, 6, v6
	v_and_b32_e32 v7, 0xfffff, v38
	v_add_u32_e32 v28, v7, v37
	v_cmp_ne_u32_e32 vcc, 0, v1
                                        ; implicit-def: $vgpr37_vgpr38
                                        ; implicit-def: $vgpr21
	s_and_saveexec_b64 s[18:19], vcc
	s_xor_b64 s[18:19], exec, s[18:19]
; %bb.4530:                             ;   in Loop: Header=BB2_4075 Depth=2
	v_cmp_lt_u64_e32 vcc, s[58:59], v[28:29]
	v_add_u32_e32 v6, 7, v6
	v_cndmask_b32_e32 v21, v1, v6, vcc
	v_cndmask_b32_e64 v1, 0, 1, vcc
	v_lshrrev_b64 v[37:38], v1, v[28:29]
; %bb.4531:                             ;   in Loop: Header=BB2_4075 Depth=2
	s_andn2_saveexec_b64 s[18:19], s[18:19]
; %bb.4532:                             ;   in Loop: Header=BB2_4075 Depth=2
	v_mov_b32_e32 v38, v29
	v_bfe_u32 v21, v28, 23, 1
	v_mov_b32_e32 v37, v28
; %bb.4533:                             ;   in Loop: Header=BB2_4075 Depth=2
	s_or_b64 exec, exec, s[18:19]
	v_lshrrev_b64 v[6:7], 20, v[37:38]
	v_cmp_gt_i32_e32 vcc, 16, v21
	v_cndmask_b32_e32 v38, 0, v7, vcc
	v_cndmask_b32_e32 v37, 7, v6, vcc
	v_cmp_ne_u64_e32 vcc, 0, v[37:38]
	v_cmp_ne_u32_e64 s[18:19], 0, v21
	s_or_b64 s[18:19], s[18:19], vcc
                                        ; implicit-def: $vgpr1
	s_and_saveexec_b64 s[92:93], s[18:19]
	s_xor_b64 s[18:19], exec, s[92:93]
; %bb.4534:                             ;   in Loop: Header=BB2_4075 Depth=2
	v_min_i32_e32 v1, 15, v21
	v_lshl_or_b32 v0, v1, 3, v0
	v_and_or_b32 v1, v37, 7, v0
                                        ; implicit-def: $vgpr0
; %bb.4535:                             ;   in Loop: Header=BB2_4075 Depth=2
	s_andn2_saveexec_b64 s[18:19], s[18:19]
; %bb.4536:                             ;   in Loop: Header=BB2_4075 Depth=2
	v_mov_b32_e32 v1, v0
; %bb.4537:                             ;   in Loop: Header=BB2_4075 Depth=2
	s_or_b64 exec, exec, s[18:19]
.LBB2_4538:                             ;   in Loop: Header=BB2_4075 Depth=2
	s_or_b64 exec, exec, s[90:91]
                                        ; implicit-def: $vgpr0
.LBB2_4539:                             ;   in Loop: Header=BB2_4075 Depth=2
	s_andn2_saveexec_b64 s[18:19], s[88:89]
; %bb.4540:                             ;   in Loop: Header=BB2_4075 Depth=2
	v_or_b32_e32 v1, 0x7e, v0
; %bb.4541:                             ;   in Loop: Header=BB2_4075 Depth=2
	s_or_b64 exec, exec, s[18:19]
                                        ; implicit-def: $vgpr21
.LBB2_4542:                             ;   in Loop: Header=BB2_4075 Depth=2
	s_andn2_saveexec_b64 s[18:19], s[78:79]
	s_cbranch_execz .LBB2_4074
; %bb.4543:                             ;   in Loop: Header=BB2_4075 Depth=2
	v_or_b32_sdwa v1, v21, s39 dst_sel:DWORD dst_unused:UNUSED_PAD src0_sel:BYTE_3 src1_sel:DWORD
	s_branch .LBB2_4074
.LBB2_4544:                             ;   in Loop: Header=BB2_2373 Depth=1
	s_or_b64 exec, exec, s[76:77]
	v_mov_b32_e32 v4, v54
.LBB2_4545:                             ;   in Loop: Header=BB2_2373 Depth=1
	s_or_b64 exec, exec, s[74:75]
	v_and_b32_e32 v1, 0x7ffffe00, v4
	v_cmp_ne_u32_e32 vcc, v4, v1
	s_and_b64 exec, exec, vcc
	s_cbranch_execz .LBB2_4612
; %bb.4546:                             ;   in Loop: Header=BB2_2373 Depth=1
	v_lshlrev_b32_e32 v0, 6, v15
	v_sub_u32_e32 v0, v14, v0
	v_lshlrev_b32_e32 v3, 6, v16
	v_sub_u32_e32 v3, v0, v3
	v_and_b32_e32 v0, 0x1ff, v4
	v_sub_u32_e32 v0, v0, v3
	v_cmp_lt_i32_e32 vcc, 0, v0
	s_and_b64 exec, exec, vcc
	s_cbranch_execz .LBB2_4612
; %bb.4547:                             ;   in Loop: Header=BB2_2373 Depth=1
	s_trap 2
	ds_read_b128 v[4:7], v0
	ds_read_b64 v[8:9], v0
	v_add3_u32 v1, v1, v53, v3
	v_ashrrev_i32_e32 v3, 31, v1
	s_mov_b64 s[74:75], 0
	s_waitcnt lgkmcnt(0)
	v_add_co_u32_e32 v10, vcc, v4, v1
	v_addc_co_u32_e32 v11, vcc, v5, v3, vcc
	v_add_co_u32_e32 v12, vcc, v6, v1
	v_addc_co_u32_e32 v13, vcc, v7, v3, vcc
	;; [unrolled: 2-line block ×3, first 2 shown]
	s_branch .LBB2_4549
.LBB2_4548:                             ;   in Loop: Header=BB2_4549 Depth=2
	s_or_b64 exec, exec, s[18:19]
	v_add_co_u32_e32 v10, vcc, v10, v50
	v_addc_co_u32_e32 v11, vcc, 0, v11, vcc
	v_add_co_u32_e32 v12, vcc, v12, v50
	v_addc_co_u32_e32 v13, vcc, 0, v13, vcc
	v_sub_u32_e32 v0, v0, v50
	v_cmp_gt_i32_e32 vcc, 1, v0
	flat_store_byte v[35:36], v3 glc slc
	s_or_b64 s[74:75], vcc, s[74:75]
	v_add_co_u32_e32 v35, vcc, v35, v50
	v_addc_co_u32_e32 v36, vcc, 0, v36, vcc
	s_andn2_b64 exec, exec, s[74:75]
	s_cbranch_execz .LBB2_4612
.LBB2_4549:                             ;   Parent Loop BB2_2373 Depth=1
                                        ; =>  This Inner Loop Header: Depth=2
	s_trap 2
	ds_read_b64 v[37:38], v0
	s_waitcnt lgkmcnt(0)
	v_cmp_eq_u32_sdwa s[76:77], v37, v29 src0_sel:BYTE_0 src1_sel:DWORD
	v_readfirstlane_b32 s18, v37
	s_and_b64 vcc, exec, s[76:77]
	v_readfirstlane_b32 s19, v38
	s_cbranch_vccnz .LBB2_4553
; %bb.4550:                             ;   in Loop: Header=BB2_4549 Depth=2
	v_cmp_eq_u32_sdwa s[76:77], v37, s50 src0_sel:BYTE_0 src1_sel:DWORD
	s_and_b64 vcc, exec, s[76:77]
	s_brev_b32 s88, 1
	s_cbranch_vccnz .LBB2_4554
; %bb.4551:                             ;   in Loop: Header=BB2_4549 Depth=2
	s_and_b32 s76, s18, 0x7f
	s_cmpk_eq_i32 s76, 0x7f
	s_mov_b32 s88, 0x7f800001
	s_cbranch_scc1 .LBB2_4554
; %bb.4552:                             ;   in Loop: Header=BB2_4549 Depth=2
	s_and_b32 s77, s18, 7
	s_flbit_i32_b32 s77, s77
	s_min_u32 s77, s77, 32
	s_lshr_b32 s78, s76, 3
	s_sub_i32 s79, s77, 28
	s_sub_i32 s77, 29, s77
	s_cmp_lt_u32 s76, 8
	s_cselect_b32 s76, s79, 0
	s_cselect_b32 s78, s77, s78
	s_lshl_b64 s[76:77], s[18:19], s76
	s_lshl_b32 s19, s76, 20
	s_lshl_b32 s18, s18, 24
	;; [unrolled: 1-line block ×3, first 2 shown]
	s_and_b32 s18, s18, 0x80000000
	s_add_i32 s76, s76, 0x3c000000
	s_and_b32 s19, s19, 0x700000
	s_or_b32 s18, s18, s76
	s_or_b32 s88, s18, s19
	s_branch .LBB2_4554
.LBB2_4553:                             ;   in Loop: Header=BB2_4549 Depth=2
	s_mov_b32 s88, 0
.LBB2_4554:                             ;   in Loop: Header=BB2_4549 Depth=2
	flat_load_ubyte v1, v[10:11] glc slc
	v_mov_b32_e32 v3, 0
	s_waitcnt vmcnt(0) lgkmcnt(0)
	v_cmp_ne_u16_e32 vcc, 0, v1
	s_and_saveexec_b64 s[18:19], vcc
	s_cbranch_execz .LBB2_4560
; %bb.4555:                             ;   in Loop: Header=BB2_4549 Depth=2
	v_cmp_ne_u16_e32 vcc, s50, v1
	v_bfrev_b32_e32 v3, 1
	s_and_saveexec_b64 s[76:77], vcc
	s_cbranch_execz .LBB2_4559
; %bb.4556:                             ;   in Loop: Header=BB2_4549 Depth=2
	v_and_b32_e32 v28, 0xffff, v1
	v_and_b32_e32 v4, 0x7f, v28
	v_cmp_ne_u32_e32 vcc, s39, v4
	v_mov_b32_e32 v3, 0x7f800001
	s_and_saveexec_b64 s[78:79], vcc
	s_cbranch_execz .LBB2_4558
; %bb.4557:                             ;   in Loop: Header=BB2_4549 Depth=2
	v_and_b32_e32 v3, 7, v28
	v_ffbh_u32_e32 v5, v3
	v_min_u32_e32 v8, 32, v5
	v_subrev_u32_e32 v5, 28, v8
	v_lshlrev_b64 v[5:6], v5, v[28:29]
	v_lshrrev_b32_e32 v7, 3, v4
	v_sub_u32_e32 v6, 29, v8
	v_and_b32_e32 v5, 7, v5
	v_cmp_gt_u32_e32 vcc, 8, v4
	v_cndmask_b32_e32 v4, v7, v6, vcc
	v_cndmask_b32_e32 v3, v3, v5, vcc
	v_lshlrev_b32_e32 v1, 24, v1
	v_lshlrev_b32_e32 v3, 20, v3
	v_and_b32_e32 v1, 0x80000000, v1
	v_lshl_add_u32 v4, v4, 23, v57
	v_or3_b32 v3, v1, v4, v3
.LBB2_4558:                             ;   in Loop: Header=BB2_4549 Depth=2
	s_or_b64 exec, exec, s[78:79]
.LBB2_4559:                             ;   in Loop: Header=BB2_4549 Depth=2
	s_or_b64 exec, exec, s[76:77]
.LBB2_4560:                             ;   in Loop: Header=BB2_4549 Depth=2
	s_or_b64 exec, exec, s[18:19]
	v_mul_f32_e32 v4, s88, v3
	v_and_b32_e32 v28, 0x7f800000, v4
	v_cmp_ne_u64_e32 vcc, s[46:47], v[28:29]
                                        ; implicit-def: $vgpr3
	s_and_saveexec_b64 s[18:19], vcc
	s_xor_b64 s[76:77], exec, s[18:19]
	s_cbranch_execz .LBB2_4578
; %bb.4561:                             ;   in Loop: Header=BB2_4549 Depth=2
	v_and_b32_e32 v28, 0x7fffffff, v4
	v_cmp_gt_u64_e32 vcc, s[56:57], v[28:29]
	v_and_b32_sdwa v1, v4, s50 dst_sel:DWORD dst_unused:UNUSED_PAD src0_sel:BYTE_3 src1_sel:DWORD
                                        ; implicit-def: $vgpr3
	s_and_saveexec_b64 s[18:19], vcc
	s_xor_b64 s[78:79], exec, s[18:19]
	s_cbranch_execz .LBB2_4575
; %bb.4562:                             ;   in Loop: Header=BB2_4549 Depth=2
	v_cmp_ne_u32_e32 vcc, 0, v4
	v_mov_b32_e32 v3, 0
	s_and_saveexec_b64 s[88:89], vcc
	s_cbranch_execz .LBB2_4574
; %bb.4563:                             ;   in Loop: Header=BB2_4549 Depth=2
	v_bfe_u32 v3, v4, 23, 8
	v_and_b32_e32 v5, 0x7fffff, v4
	v_cmp_gt_u32_e64 s[18:19], s51, v3
	v_sub_u32_e32 v4, 0x79, v3
	v_cmp_eq_u32_e32 vcc, 0, v3
	v_cndmask_b32_e64 v4, 0, v4, s[18:19]
	v_or_b32_e32 v6, 0x800000, v5
	v_cndmask_b32_e32 v4, v4, v58, vcc
	v_cndmask_b32_e32 v28, v6, v5, vcc
	v_add_u32_e32 v5, 20, v4
	v_lshlrev_b64 v[5:6], v5, -1
	v_add_u32_e32 v7, 19, v4
	v_lshlrev_b64 v[7:8], v7, 1
	v_lshrrev_b64 v[37:38], v4, v[28:29]
	v_bfi_b32 v6, v6, 0, 0
	v_bfi_b32 v5, v5, 0, v28
	v_cmp_eq_u64_e64 s[18:19], v[5:6], v[7:8]
	v_mov_b32_e32 v39, v38
	v_mov_b32_e32 v38, v37
	s_and_saveexec_b64 s[90:91], s[18:19]
; %bb.4564:                             ;   in Loop: Header=BB2_4549 Depth=2
	v_bfe_u32 v5, v37, 20, 1
	v_add_co_u32_e64 v5, s[18:19], v37, v5
	v_add_co_u32_e64 v38, s[18:19], -1, v5
; %bb.4565:                             ;   in Loop: Header=BB2_4549 Depth=2
	s_or_b64 exec, exec, s[90:91]
	v_add_u32_e32 v3, 0xffffff81, v3
	v_cndmask_b32_e32 v3, v3, v59, vcc
	v_lshrrev_b32_e32 v5, 23, v37
	v_add3_u32 v5, v4, v3, v5
	v_add_u32_e32 v3, 6, v5
	v_and_b32_e32 v4, 0xfffff, v38
	v_add_u32_e32 v28, v4, v37
	v_cmp_ne_u32_e32 vcc, 0, v3
                                        ; implicit-def: $vgpr37_vgpr38
                                        ; implicit-def: $vgpr4
	s_and_saveexec_b64 s[18:19], vcc
	s_xor_b64 s[18:19], exec, s[18:19]
; %bb.4566:                             ;   in Loop: Header=BB2_4549 Depth=2
	v_cmp_lt_u64_e32 vcc, s[58:59], v[28:29]
	v_add_u32_e32 v4, 7, v5
	v_cndmask_b32_e32 v4, v3, v4, vcc
	v_cndmask_b32_e64 v3, 0, 1, vcc
	v_lshrrev_b64 v[37:38], v3, v[28:29]
; %bb.4567:                             ;   in Loop: Header=BB2_4549 Depth=2
	s_andn2_saveexec_b64 s[18:19], s[18:19]
; %bb.4568:                             ;   in Loop: Header=BB2_4549 Depth=2
	v_mov_b32_e32 v38, v29
	v_bfe_u32 v4, v28, 23, 1
	v_mov_b32_e32 v37, v28
; %bb.4569:                             ;   in Loop: Header=BB2_4549 Depth=2
	s_or_b64 exec, exec, s[18:19]
	v_lshrrev_b64 v[5:6], 20, v[37:38]
	v_cmp_gt_i32_e32 vcc, 16, v4
	v_cndmask_b32_e32 v38, 0, v6, vcc
	v_cndmask_b32_e32 v37, 7, v5, vcc
	v_cmp_ne_u64_e32 vcc, 0, v[37:38]
	v_cmp_ne_u32_e64 s[18:19], 0, v4
	s_or_b64 s[18:19], s[18:19], vcc
                                        ; implicit-def: $vgpr3
	s_and_saveexec_b64 s[90:91], s[18:19]
	s_xor_b64 s[18:19], exec, s[90:91]
; %bb.4570:                             ;   in Loop: Header=BB2_4549 Depth=2
	v_min_i32_e32 v3, 15, v4
	v_lshl_or_b32 v1, v3, 3, v1
	v_and_or_b32 v3, v37, 7, v1
                                        ; implicit-def: $vgpr1
; %bb.4571:                             ;   in Loop: Header=BB2_4549 Depth=2
	s_andn2_saveexec_b64 s[18:19], s[18:19]
; %bb.4572:                             ;   in Loop: Header=BB2_4549 Depth=2
	v_mov_b32_e32 v3, v1
; %bb.4573:                             ;   in Loop: Header=BB2_4549 Depth=2
	s_or_b64 exec, exec, s[18:19]
.LBB2_4574:                             ;   in Loop: Header=BB2_4549 Depth=2
	s_or_b64 exec, exec, s[88:89]
                                        ; implicit-def: $vgpr1
.LBB2_4575:                             ;   in Loop: Header=BB2_4549 Depth=2
	s_andn2_saveexec_b64 s[18:19], s[78:79]
; %bb.4576:                             ;   in Loop: Header=BB2_4549 Depth=2
	v_or_b32_e32 v3, 0x7e, v1
; %bb.4577:                             ;   in Loop: Header=BB2_4549 Depth=2
	s_or_b64 exec, exec, s[18:19]
                                        ; implicit-def: $vgpr4
.LBB2_4578:                             ;   in Loop: Header=BB2_4549 Depth=2
	s_andn2_saveexec_b64 s[18:19], s[76:77]
; %bb.4579:                             ;   in Loop: Header=BB2_4549 Depth=2
	v_or_b32_sdwa v3, v4, s39 dst_sel:DWORD dst_unused:UNUSED_PAD src0_sel:BYTE_3 src1_sel:DWORD
; %bb.4580:                             ;   in Loop: Header=BB2_4549 Depth=2
	s_or_b64 exec, exec, s[18:19]
	flat_load_ubyte v4, v[12:13] glc slc
	v_and_b32_e32 v28, 0xff, v3
	v_cmp_ne_u16_e32 vcc, 0, v28
	v_mov_b32_e32 v1, 0
	v_mov_b32_e32 v5, 0
	s_and_saveexec_b64 s[18:19], vcc
	s_cbranch_execz .LBB2_4586
; %bb.4581:                             ;   in Loop: Header=BB2_4549 Depth=2
	v_cmp_ne_u16_e32 vcc, s50, v28
	v_bfrev_b32_e32 v5, 1
	s_and_saveexec_b64 s[76:77], vcc
	s_cbranch_execz .LBB2_4585
; %bb.4582:                             ;   in Loop: Header=BB2_4549 Depth=2
	v_and_b32_e32 v6, 0x7f, v3
	v_cmp_ne_u32_e32 vcc, s39, v6
	v_mov_b32_e32 v5, 0x7f800001
	s_and_saveexec_b64 s[78:79], vcc
	s_cbranch_execz .LBB2_4584
; %bb.4583:                             ;   in Loop: Header=BB2_4549 Depth=2
	v_and_b32_e32 v7, 7, v28
	v_ffbh_u32_e32 v5, v7
	v_min_u32_e32 v9, 32, v5
	v_subrev_u32_e32 v5, 28, v9
	v_lshrrev_b32_e32 v8, 3, v6
	v_cmp_gt_u32_e32 vcc, 8, v6
	v_lshlrev_b64 v[5:6], v5, v[28:29]
	v_sub_u32_e32 v6, 29, v9
	v_and_b32_e32 v5, 7, v5
	v_cndmask_b32_e32 v6, v8, v6, vcc
	v_cndmask_b32_e32 v5, v7, v5, vcc
	v_lshlrev_b32_e32 v3, 24, v3
	v_lshlrev_b32_e32 v5, 20, v5
	v_and_b32_e32 v3, 0x80000000, v3
	v_lshl_add_u32 v6, v6, 23, v57
	v_or3_b32 v5, v3, v6, v5
.LBB2_4584:                             ;   in Loop: Header=BB2_4549 Depth=2
	s_or_b64 exec, exec, s[78:79]
.LBB2_4585:                             ;   in Loop: Header=BB2_4549 Depth=2
	s_or_b64 exec, exec, s[76:77]
.LBB2_4586:                             ;   in Loop: Header=BB2_4549 Depth=2
	s_or_b64 exec, exec, s[18:19]
	s_waitcnt vmcnt(0) lgkmcnt(0)
	v_and_b32_e32 v28, 0xff, v4
	v_cmp_ne_u16_e32 vcc, 0, v28
	s_and_saveexec_b64 s[18:19], vcc
	s_cbranch_execz .LBB2_4592
; %bb.4587:                             ;   in Loop: Header=BB2_4549 Depth=2
	v_cmp_ne_u16_e32 vcc, s50, v28
	v_bfrev_b32_e32 v1, 1
	s_and_saveexec_b64 s[76:77], vcc
	s_cbranch_execz .LBB2_4591
; %bb.4588:                             ;   in Loop: Header=BB2_4549 Depth=2
	v_and_b32_e32 v3, 0x7f, v4
	v_cmp_ne_u32_e32 vcc, s39, v3
	v_mov_b32_e32 v1, 0x7f800001
	s_and_saveexec_b64 s[78:79], vcc
	s_cbranch_execz .LBB2_4590
; %bb.4589:                             ;   in Loop: Header=BB2_4549 Depth=2
	v_and_b32_e32 v1, 7, v28
	v_lshrrev_b32_e32 v6, 3, v3
	v_cmp_gt_u32_e32 vcc, 8, v3
	v_ffbh_u32_e32 v3, v1
	v_min_u32_e32 v8, 32, v3
	v_lshlrev_b32_e32 v4, 24, v4
	v_subrev_u32_e32 v3, 28, v8
	v_and_b32_e32 v7, 0x80000000, v4
	v_lshlrev_b64 v[3:4], v3, v[28:29]
	v_sub_u32_e32 v4, 29, v8
	v_and_b32_e32 v3, 7, v3
	v_cndmask_b32_e32 v4, v6, v4, vcc
	v_cndmask_b32_e32 v1, v1, v3, vcc
	v_lshlrev_b32_e32 v1, 20, v1
	v_lshl_add_u32 v3, v4, 23, v57
	v_or3_b32 v1, v7, v3, v1
.LBB2_4590:                             ;   in Loop: Header=BB2_4549 Depth=2
	s_or_b64 exec, exec, s[78:79]
.LBB2_4591:                             ;   in Loop: Header=BB2_4549 Depth=2
	s_or_b64 exec, exec, s[76:77]
.LBB2_4592:                             ;   in Loop: Header=BB2_4549 Depth=2
	s_or_b64 exec, exec, s[18:19]
	v_add_f32_e32 v4, v5, v1
	v_and_b32_e32 v28, 0x7f800000, v4
	v_cmp_ne_u64_e32 vcc, s[46:47], v[28:29]
                                        ; implicit-def: $vgpr3
	s_and_saveexec_b64 s[18:19], vcc
	s_xor_b64 s[76:77], exec, s[18:19]
	s_cbranch_execz .LBB2_4610
; %bb.4593:                             ;   in Loop: Header=BB2_4549 Depth=2
	v_and_b32_e32 v28, 0x7fffffff, v4
	v_cmp_gt_u64_e32 vcc, s[56:57], v[28:29]
	v_and_b32_sdwa v1, v4, s50 dst_sel:DWORD dst_unused:UNUSED_PAD src0_sel:BYTE_3 src1_sel:DWORD
                                        ; implicit-def: $vgpr3
	s_and_saveexec_b64 s[18:19], vcc
	s_xor_b64 s[78:79], exec, s[18:19]
	s_cbranch_execz .LBB2_4607
; %bb.4594:                             ;   in Loop: Header=BB2_4549 Depth=2
	v_cmp_ne_u32_e32 vcc, 0, v4
	v_mov_b32_e32 v3, 0
	s_and_saveexec_b64 s[88:89], vcc
	s_cbranch_execz .LBB2_4606
; %bb.4595:                             ;   in Loop: Header=BB2_4549 Depth=2
	v_bfe_u32 v3, v4, 23, 8
	v_and_b32_e32 v5, 0x7fffff, v4
	v_cmp_gt_u32_e64 s[18:19], s51, v3
	v_sub_u32_e32 v4, 0x79, v3
	v_cmp_eq_u32_e32 vcc, 0, v3
	v_cndmask_b32_e64 v4, 0, v4, s[18:19]
	v_or_b32_e32 v6, 0x800000, v5
	v_cndmask_b32_e32 v4, v4, v58, vcc
	v_cndmask_b32_e32 v28, v6, v5, vcc
	v_add_u32_e32 v5, 20, v4
	v_lshlrev_b64 v[5:6], v5, -1
	v_add_u32_e32 v7, 19, v4
	v_lshlrev_b64 v[7:8], v7, 1
	v_lshrrev_b64 v[37:38], v4, v[28:29]
	v_bfi_b32 v6, v6, 0, 0
	v_bfi_b32 v5, v5, 0, v28
	v_cmp_eq_u64_e64 s[18:19], v[5:6], v[7:8]
	v_mov_b32_e32 v39, v38
	v_mov_b32_e32 v38, v37
	s_and_saveexec_b64 s[90:91], s[18:19]
; %bb.4596:                             ;   in Loop: Header=BB2_4549 Depth=2
	v_bfe_u32 v5, v37, 20, 1
	v_add_co_u32_e64 v5, s[18:19], v37, v5
	v_add_co_u32_e64 v38, s[18:19], -1, v5
; %bb.4597:                             ;   in Loop: Header=BB2_4549 Depth=2
	s_or_b64 exec, exec, s[90:91]
	v_add_u32_e32 v3, 0xffffff81, v3
	v_cndmask_b32_e32 v3, v3, v59, vcc
	v_lshrrev_b32_e32 v5, 23, v37
	v_add3_u32 v5, v4, v3, v5
	v_add_u32_e32 v3, 6, v5
	v_and_b32_e32 v4, 0xfffff, v38
	v_add_u32_e32 v28, v4, v37
	v_cmp_ne_u32_e32 vcc, 0, v3
                                        ; implicit-def: $vgpr37_vgpr38
                                        ; implicit-def: $vgpr4
	s_and_saveexec_b64 s[18:19], vcc
	s_xor_b64 s[18:19], exec, s[18:19]
; %bb.4598:                             ;   in Loop: Header=BB2_4549 Depth=2
	v_cmp_lt_u64_e32 vcc, s[58:59], v[28:29]
	v_add_u32_e32 v4, 7, v5
	v_cndmask_b32_e32 v4, v3, v4, vcc
	v_cndmask_b32_e64 v3, 0, 1, vcc
	v_lshrrev_b64 v[37:38], v3, v[28:29]
; %bb.4599:                             ;   in Loop: Header=BB2_4549 Depth=2
	s_andn2_saveexec_b64 s[18:19], s[18:19]
; %bb.4600:                             ;   in Loop: Header=BB2_4549 Depth=2
	v_mov_b32_e32 v38, v29
	v_bfe_u32 v4, v28, 23, 1
	v_mov_b32_e32 v37, v28
; %bb.4601:                             ;   in Loop: Header=BB2_4549 Depth=2
	s_or_b64 exec, exec, s[18:19]
	v_lshrrev_b64 v[5:6], 20, v[37:38]
	v_cmp_gt_i32_e32 vcc, 16, v4
	v_cndmask_b32_e32 v38, 0, v6, vcc
	v_cndmask_b32_e32 v37, 7, v5, vcc
	v_cmp_ne_u64_e32 vcc, 0, v[37:38]
	v_cmp_ne_u32_e64 s[18:19], 0, v4
	s_or_b64 s[18:19], s[18:19], vcc
                                        ; implicit-def: $vgpr3
	s_and_saveexec_b64 s[90:91], s[18:19]
	s_xor_b64 s[18:19], exec, s[90:91]
; %bb.4602:                             ;   in Loop: Header=BB2_4549 Depth=2
	v_min_i32_e32 v3, 15, v4
	v_lshl_or_b32 v1, v3, 3, v1
	v_and_or_b32 v3, v37, 7, v1
                                        ; implicit-def: $vgpr1
; %bb.4603:                             ;   in Loop: Header=BB2_4549 Depth=2
	s_andn2_saveexec_b64 s[18:19], s[18:19]
; %bb.4604:                             ;   in Loop: Header=BB2_4549 Depth=2
	v_mov_b32_e32 v3, v1
; %bb.4605:                             ;   in Loop: Header=BB2_4549 Depth=2
	s_or_b64 exec, exec, s[18:19]
.LBB2_4606:                             ;   in Loop: Header=BB2_4549 Depth=2
	s_or_b64 exec, exec, s[88:89]
                                        ; implicit-def: $vgpr1
.LBB2_4607:                             ;   in Loop: Header=BB2_4549 Depth=2
	s_andn2_saveexec_b64 s[18:19], s[78:79]
; %bb.4608:                             ;   in Loop: Header=BB2_4549 Depth=2
	v_or_b32_e32 v3, 0x7e, v1
; %bb.4609:                             ;   in Loop: Header=BB2_4549 Depth=2
	s_or_b64 exec, exec, s[18:19]
                                        ; implicit-def: $vgpr4
.LBB2_4610:                             ;   in Loop: Header=BB2_4549 Depth=2
	s_andn2_saveexec_b64 s[18:19], s[76:77]
	s_cbranch_execz .LBB2_4548
; %bb.4611:                             ;   in Loop: Header=BB2_4549 Depth=2
	v_or_b32_sdwa v3, v4, s39 dst_sel:DWORD dst_unused:UNUSED_PAD src0_sel:BYTE_3 src1_sel:DWORD
	s_branch .LBB2_4548
.LBB2_4612:                             ;   in Loop: Header=BB2_2373 Depth=1
	s_or_b64 exec, exec, s[20:21]
	buffer_load_dword v16, off, s[0:3], s33 offset:168 ; 4-byte Folded Reload
	buffer_load_dword v17, off, s[0:3], s33 offset:172 ; 4-byte Folded Reload
	v_cmp_ne_u32_e64 s[18:19], 0, v51
	s_and_saveexec_b64 s[20:21], s[10:11]
	s_cbranch_execz .LBB2_4631
.LBB2_4613:                             ;   in Loop: Header=BB2_2373 Depth=1
	s_and_saveexec_b64 s[74:75], s[40:41]
	s_xor_b64 s[74:75], exec, s[74:75]
	s_cbranch_execz .LBB2_4628
; %bb.4614:                             ;   in Loop: Header=BB2_2373 Depth=1
	s_and_saveexec_b64 s[76:77], s[12:13]
	s_cbranch_execz .LBB2_4627
; %bb.4615:                             ;   in Loop: Header=BB2_2373 Depth=1
	s_mov_b64 s[88:89], exec
	v_mbcnt_lo_u32_b32 v0, s88, 0
	v_mbcnt_hi_u32_b32 v0, s89, v0
	v_cmp_eq_u32_e32 vcc, 0, v0
	s_waitcnt vmcnt(0) lgkmcnt(0)
	buffer_wbinvl1_vol
	s_and_saveexec_b64 s[78:79], vcc
	s_cbranch_execz .LBB2_4617
; %bb.4616:                             ;   in Loop: Header=BB2_2373 Depth=1
	s_bcnt1_i32_b64 s88, s[88:89]
	v_mov_b32_e32 v28, s88
	ds_add_u64 v0, v[28:29]
	s_trap 2
.LBB2_4617:                             ;   in Loop: Header=BB2_2373 Depth=1
	s_or_b64 exec, exec, s[78:79]
	s_trap 2
	ds_read_b64 v[0:1], v0
	s_waitcnt lgkmcnt(0)
	buffer_load_dword v3, off, s[0:3], s33 offset:76 ; 4-byte Folded Reload
	buffer_load_dword v4, off, s[0:3], s33 offset:80 ; 4-byte Folded Reload
	s_waitcnt vmcnt(1)
	v_add_co_u32_e32 v3, vcc, v3, v2
	s_waitcnt vmcnt(0)
	v_addc_co_u32_e32 v4, vcc, 0, v4, vcc
	buffer_store_dword v3, off, s[0:3], s33 offset:76 ; 4-byte Folded Spill
	s_nop 0
	buffer_store_dword v4, off, s[0:3], s33 offset:80 ; 4-byte Folded Spill
	v_cmp_lt_u64_e32 vcc, v[0:1], v[3:4]
	s_and_saveexec_b64 s[78:79], vcc
	s_cbranch_execz .LBB2_4626
; %bb.4618:                             ;   in Loop: Header=BB2_2373 Depth=1
	s_mov_b32 s34, 0
	s_mov_b64 s[88:89], 0
                                        ; implicit-def: $sgpr90_sgpr91
                                        ; implicit-def: $sgpr92_sgpr93
	s_branch .LBB2_4620
.LBB2_4619:                             ;   in Loop: Header=BB2_4620 Depth=2
	s_or_b64 exec, exec, s[30:31]
	s_and_b64 s[94:95], exec, vcc
	s_or_b64 s[88:89], s[94:95], s[88:89]
	s_andn2_b64 s[90:91], s[90:91], exec
	s_and_b64 s[94:95], s[92:93], exec
	s_or_b64 s[90:91], s[90:91], s[94:95]
	s_andn2_b64 exec, exec, s[88:89]
	s_cbranch_execz .LBB2_4624
.LBB2_4620:                             ;   Parent Loop BB2_2373 Depth=1
                                        ; =>  This Inner Loop Header: Depth=2
	s_add_i32 s34, s34, 1
	s_cmpk_lg_i32 s34, 0x2710
	s_cselect_b64 s[94:95], -1, 0
	s_and_b64 vcc, exec, s[94:95]
	s_cbranch_vccz .LBB2_4622
; %bb.4621:                             ;   in Loop: Header=BB2_4620 Depth=2
	s_mov_b64 vcc, -1
	s_or_b64 s[92:93], s[92:93], exec
	s_and_saveexec_b64 s[30:31], s[94:95]
	s_cbranch_execz .LBB2_4619
	s_branch .LBB2_4623
.LBB2_4622:                             ;   in Loop: Header=BB2_4620 Depth=2
	s_trap 2
	ds_read_b64 v[0:1], v0
	s_andn2_b64 s[94:95], s[94:95], exec
	s_mov_b32 s34, 0
	s_waitcnt vmcnt(0) lgkmcnt(0)
	flat_load_dword v0, v[0:1] glc
	s_waitcnt vmcnt(0) lgkmcnt(0)
	buffer_wbinvl1_vol
	v_cmp_eq_u32_e32 vcc, 0, v0
	s_and_b64 vcc, vcc, exec
	s_or_b64 s[94:95], s[94:95], vcc
	s_mov_b64 vcc, -1
	s_or_b64 s[92:93], s[92:93], exec
	s_and_saveexec_b64 s[30:31], s[94:95]
	s_cbranch_execz .LBB2_4619
.LBB2_4623:                             ;   in Loop: Header=BB2_4620 Depth=2
	s_sleep 1
	s_trap 2
	ds_read_b64 v[0:1], v0
	s_waitcnt lgkmcnt(0)
	buffer_load_dword v3, off, s[0:3], s33 offset:76 ; 4-byte Folded Reload
	buffer_load_dword v4, off, s[0:3], s33 offset:80 ; 4-byte Folded Reload
	s_andn2_b64 s[92:93], s[92:93], exec
	s_waitcnt vmcnt(0)
	v_cmp_ge_u64_e32 vcc, v[0:1], v[3:4]
	s_orn2_b64 vcc, vcc, exec
	s_branch .LBB2_4619
.LBB2_4624:                             ;   in Loop: Header=BB2_2373 Depth=1
	s_or_b64 exec, exec, s[88:89]
	s_and_saveexec_b64 s[88:89], s[90:91]
	s_xor_b64 s[88:89], exec, s[88:89]
	s_cbranch_execz .LBB2_4626
; %bb.4625:                             ;   in Loop: Header=BB2_2373 Depth=1
	v_mov_b32_e32 v0, 1
	ds_write_b32 v0, v0
	s_trap 2
.LBB2_4626:                             ;   in Loop: Header=BB2_2373 Depth=1
	s_or_b64 exec, exec, s[78:79]
	;;#ASMSTART
	s_wakeup
	;;#ASMEND
.LBB2_4627:                             ;   in Loop: Header=BB2_2373 Depth=1
	s_or_b64 exec, exec, s[76:77]
.LBB2_4628:                             ;   in Loop: Header=BB2_2373 Depth=1
	s_andn2_saveexec_b64 s[74:75], s[74:75]
	s_cbranch_execz .LBB2_4630
; %bb.4629:                             ;   in Loop: Header=BB2_2373 Depth=1
	s_waitcnt vmcnt(0) lgkmcnt(0)
	buffer_wbinvl1_vol
	s_barrier
.LBB2_4630:                             ;   in Loop: Header=BB2_2373 Depth=1
	s_or_b64 exec, exec, s[74:75]
.LBB2_4631:                             ;   in Loop: Header=BB2_2373 Depth=1
	s_or_b64 exec, exec, s[20:21]
	v_and_b32_e32 v0, 16, v45
	v_cmp_ne_u32_e32 vcc, 0, v0
	s_and_b64 s[20:21], vcc, s[18:19]
	s_and_saveexec_b64 s[18:19], s[20:21]
	s_cbranch_execz .LBB2_4633
; %bb.4632:                             ;   in Loop: Header=BB2_2373 Depth=1
	s_waitcnt vmcnt(0) lgkmcnt(0)
	buffer_wbinvl1_vol
.LBB2_4633:                             ;   in Loop: Header=BB2_2373 Depth=1
	s_or_b64 exec, exec, s[18:19]
	v_and_b32_e32 v0, 32, v45
	v_cmp_ne_u32_e32 vcc, 0, v0
	s_and_saveexec_b64 s[18:19], vcc
	s_cbranch_execz .LBB2_4635
; %bb.4634:                             ;   in Loop: Header=BB2_2373 Depth=1
	buffer_load_dword v3, off, s[0:3], s33 offset:60 ; 4-byte Folded Reload
	buffer_load_dword v4, off, s[0:3], s33 offset:64 ; 4-byte Folded Reload
	;; [unrolled: 1-line block ×4, first 2 shown]
	s_waitcnt vmcnt(0)
	v_add_co_u32_e32 v5, vcc, 1, v5
	v_addc_co_u32_e32 v6, vcc, 0, v6, vcc
	buffer_store_dword v3, off, s[0:3], s33 offset:60 ; 4-byte Folded Spill
	s_nop 0
	buffer_store_dword v4, off, s[0:3], s33 offset:64 ; 4-byte Folded Spill
	buffer_store_dword v5, off, s[0:3], s33 offset:68 ; 4-byte Folded Spill
	buffer_store_dword v6, off, s[0:3], s33 offset:72 ; 4-byte Folded Spill
	flat_store_dwordx2 v[18:19], v[5:6]
.LBB2_4635:                             ;   in Loop: Header=BB2_2373 Depth=1
	s_or_b64 exec, exec, s[18:19]
	v_mov_b32_e32 v0, v62
.LBB2_4636:                             ;   in Loop: Header=BB2_2373 Depth=1
	s_or_b64 exec, exec, s[72:73]
	s_mov_b64 s[20:21], exec
	buffer_load_dword v20, off, s[0:3], s33 offset:104 ; 4-byte Folded Reload
	buffer_load_dword v21, off, s[0:3], s33 offset:108 ; 4-byte Folded Reload
	s_and_b64 s[18:19], s[20:21], s[62:63]
	s_mov_b64 exec, s[18:19]
	s_cbranch_execz .LBB2_2372
; %bb.4637:                             ;   in Loop: Header=BB2_2373 Depth=1
	v_and_b32_e32 v1, 4, v45
	v_cmp_ne_u32_e32 vcc, 0, v1
	s_and_saveexec_b64 s[62:63], vcc
	s_cbranch_execz .LBB2_4659
; %bb.4638:                             ;   in Loop: Header=BB2_2373 Depth=1
	buffer_load_dword v3, off, s[0:3], s33 offset:60 ; 4-byte Folded Reload
	buffer_load_dword v4, off, s[0:3], s33 offset:64 ; 4-byte Folded Reload
	;; [unrolled: 1-line block ×4, first 2 shown]
	s_waitcnt vmcnt(0)
	v_add_co_u32_e32 v10, vcc, 1, v5
	v_addc_co_u32_e32 v11, vcc, 0, v6, vcc
	v_cmp_lt_u64_e32 vcc, v[24:25], v[10:11]
	s_and_saveexec_b64 s[72:73], vcc
	s_cbranch_execz .LBB2_4650
; %bb.4639:                             ;   in Loop: Header=BB2_2373 Depth=1
	v_and_b32_e32 v1, 64, v45
	s_mov_b32 s36, 0
	v_cmp_eq_u32_e32 vcc, 0, v1
	s_mov_b64 s[74:75], 0
                                        ; implicit-def: $sgpr76_sgpr77
                                        ; implicit-def: $sgpr78_sgpr79
                                        ; implicit-def: $sgpr88_sgpr89
	s_branch .LBB2_4642
.LBB2_4640:                             ;   in Loop: Header=BB2_4642 Depth=2
	s_or_b64 exec, exec, s[34:35]
	s_andn2_b64 s[18:19], s[88:89], exec
	s_and_b64 s[88:89], s[94:95], exec
	s_or_b64 s[88:89], s[18:19], s[88:89]
	s_andn2_b64 s[18:19], s[78:79], exec
	s_and_b64 s[78:79], s[92:93], exec
	s_or_b64 s[78:79], s[18:19], s[78:79]
.LBB2_4641:                             ;   in Loop: Header=BB2_4642 Depth=2
	s_or_b64 exec, exec, s[90:91]
	s_and_b64 s[18:19], exec, s[78:79]
	s_or_b64 s[74:75], s[18:19], s[74:75]
	s_andn2_b64 s[18:19], s[76:77], exec
	s_and_b64 s[76:77], s[88:89], exec
	s_or_b64 s[76:77], s[18:19], s[76:77]
	s_andn2_b64 exec, exec, s[74:75]
	s_cbranch_execz .LBB2_4647
.LBB2_4642:                             ;   Parent Loop BB2_2373 Depth=1
                                        ; =>  This Inner Loop Header: Depth=2
	s_sleep 1
	s_waitcnt vmcnt(0) lgkmcnt(0)
	flat_load_dwordx2 v[24:25], v[18:19] glc
	s_or_b64 s[88:89], s[88:89], exec
	s_or_b64 s[78:79], s[78:79], exec
                                        ; implicit-def: $vgpr1
	s_and_saveexec_b64 s[90:91], vcc
	s_cbranch_execz .LBB2_4641
; %bb.4643:                             ;   in Loop: Header=BB2_4642 Depth=2
	s_cmpk_lt_i32 s36, 0x270f
	s_cselect_b64 s[30:31], -1, 0
	s_cmpk_gt_i32 s36, 0x270e
	s_mov_b64 s[92:93], -1
	s_cbranch_scc0 .LBB2_4645
; %bb.4644:                             ;   in Loop: Header=BB2_4642 Depth=2
	s_trap 2
	ds_read_b64 v[3:4], v0
	s_andn2_b64 s[30:31], s[30:31], exec
	s_mov_b32 s36, 0
	s_mov_b64 s[94:95], 0
	s_waitcnt vmcnt(0) lgkmcnt(0)
	flat_load_dword v1, v[3:4] glc
	s_waitcnt vmcnt(0) lgkmcnt(0)
	buffer_wbinvl1_vol
	v_cmp_eq_u32_e64 s[18:19], 0, v1
	s_and_b64 s[18:19], s[18:19], exec
	s_or_b64 s[30:31], s[30:31], s[18:19]
	s_and_saveexec_b64 s[34:35], s[30:31]
	s_cbranch_execz .LBB2_4640
	s_branch .LBB2_4646
.LBB2_4645:                             ;   in Loop: Header=BB2_4642 Depth=2
	s_add_i32 s36, s36, 1
	s_mov_b64 s[94:95], -1
                                        ; implicit-def: $vgpr1
	s_and_saveexec_b64 s[34:35], s[30:31]
	s_cbranch_execz .LBB2_4640
.LBB2_4646:                             ;   in Loop: Header=BB2_4642 Depth=2
	s_waitcnt vmcnt(0) lgkmcnt(0)
	v_cmp_ge_u64_e64 s[18:19], v[24:25], v[10:11]
	s_or_b64 s[94:95], s[94:95], exec
	s_orn2_b64 s[92:93], s[18:19], exec
	s_branch .LBB2_4640
.LBB2_4647:                             ;   in Loop: Header=BB2_2373 Depth=1
	s_or_b64 exec, exec, s[74:75]
	s_xor_b64 s[18:19], s[76:77], -1
	s_and_saveexec_b64 s[74:75], s[18:19]
	s_xor_b64 s[18:19], exec, s[74:75]
	s_cbranch_execz .LBB2_4649
; %bb.4648:                             ;   in Loop: Header=BB2_2373 Depth=1
	v_or_b32_e32 v45, 64, v45
	s_waitcnt lgkmcnt(0)
	ds_write_b32 v0, v1
	s_trap 2
.LBB2_4649:                             ;   in Loop: Header=BB2_2373 Depth=1
	s_or_b64 exec, exec, s[18:19]
.LBB2_4650:                             ;   in Loop: Header=BB2_2373 Depth=1
	s_or_b64 exec, exec, s[72:73]
	;;#ASMSTART
	s_wakeup
	;;#ASMEND
	buffer_load_dword v3, off, s[0:3], s33 offset:60 ; 4-byte Folded Reload
	buffer_load_dword v4, off, s[0:3], s33 offset:64 ; 4-byte Folded Reload
	;; [unrolled: 1-line block ×4, first 2 shown]
	v_and_b32_e32 v1, 0x100, v45
	v_cmp_ne_u32_e32 vcc, 0, v1
	s_mov_b64 s[18:19], -1
                                        ; implicit-def: $vgpr8_vgpr9
	s_waitcnt vmcnt(0)
	v_and_b32_e32 v1, 7, v5
	s_and_saveexec_b64 s[72:73], vcc
	s_cbranch_execz .LBB2_4654
; %bb.4651:                             ;   in Loop: Header=BB2_2373 Depth=1
	buffer_load_dword v3, off, s[0:3], s33 offset:60 ; 4-byte Folded Reload
	buffer_load_dword v4, off, s[0:3], s33 offset:64 ; 4-byte Folded Reload
	;; [unrolled: 1-line block ×4, first 2 shown]
                                        ; implicit-def: $vgpr8_vgpr9
	s_waitcnt vmcnt(0)
	v_mad_u64_u32 v[12:13], s[18:19], v1, 24, v[3:4]
	flat_load_dword v3, v[12:13]
	s_waitcnt vmcnt(0) lgkmcnt(0)
	v_cmp_ne_u32_e32 vcc, 1, v3
	v_cmp_eq_u32_e64 s[18:19], 1, v3
	s_and_saveexec_b64 s[74:75], s[18:19]
	s_cbranch_execz .LBB2_4653
; %bb.4652:                             ;   in Loop: Header=BB2_2373 Depth=1
	flat_load_dword v8, v[12:13] offset:4 glc
	s_waitcnt vmcnt(0) lgkmcnt(0)
	v_ashrrev_i32_e32 v9, 31, v8
.LBB2_4653:                             ;   in Loop: Header=BB2_2373 Depth=1
	s_or_b64 exec, exec, s[74:75]
	s_orn2_b64 s[18:19], vcc, exec
.LBB2_4654:                             ;   in Loop: Header=BB2_2373 Depth=1
	s_or_b64 exec, exec, s[72:73]
	s_and_saveexec_b64 s[72:73], s[18:19]
	s_cbranch_execz .LBB2_4656
; %bb.4655:                             ;   in Loop: Header=BB2_2373 Depth=1
	buffer_load_dword v3, off, s[0:3], s33 offset:152 ; 4-byte Folded Reload
	s_waitcnt vmcnt(0)
	v_mad_i64_i32 v[8:9], s[18:19], v1, v3, 0
.LBB2_4656:                             ;   in Loop: Header=BB2_2373 Depth=1
	s_or_b64 exec, exec, s[72:73]
	buffer_load_dword v3, off, s[0:3], s33 offset:120 ; 4-byte Folded Reload
	buffer_load_dword v4, off, s[0:3], s33 offset:124 ; 4-byte Folded Reload
	v_and_b32_e32 v1, 0x2000, v45
	s_waitcnt vmcnt(0)
	v_add_co_u32_e32 v3, vcc, v3, v8
	v_addc_co_u32_e32 v4, vcc, v4, v9, vcc
	v_cmp_ne_u32_e32 vcc, 0, v1
	ds_write_b64 v0, v[3:4] offset:728
	s_and_saveexec_b64 s[18:19], vcc
	s_cbranch_execz .LBB2_4658
; %bb.4657:                             ;   in Loop: Header=BB2_2373 Depth=1
	ds_read_b64 v[3:4], v0 offset:872
	s_waitcnt lgkmcnt(0)
	v_add_co_u32_e32 v3, vcc, 1, v3
	v_addc_co_u32_e32 v4, vcc, 0, v4, vcc
	ds_write_b64 v0, v[3:4] offset:872
.LBB2_4658:                             ;   in Loop: Header=BB2_2373 Depth=1
	s_or_b64 exec, exec, s[18:19]
	buffer_load_dword v3, off, s[0:3], s33 offset:60 ; 4-byte Folded Reload
	buffer_load_dword v4, off, s[0:3], s33 offset:64 ; 4-byte Folded Reload
	buffer_load_dword v5, off, s[0:3], s33 offset:68 ; 4-byte Folded Reload
	buffer_load_dword v6, off, s[0:3], s33 offset:72 ; 4-byte Folded Reload
	s_waitcnt vmcnt(0)
	v_mov_b32_e32 v5, v10
	v_mov_b32_e32 v6, v11
	buffer_store_dword v3, off, s[0:3], s33 offset:60 ; 4-byte Folded Spill
	s_nop 0
	buffer_store_dword v4, off, s[0:3], s33 offset:64 ; 4-byte Folded Spill
	buffer_store_dword v5, off, s[0:3], s33 offset:68 ; 4-byte Folded Spill
	;; [unrolled: 1-line block ×3, first 2 shown]
.LBB2_4659:                             ;   in Loop: Header=BB2_2373 Depth=1
	s_or_b64 exec, exec, s[62:63]
	s_and_saveexec_b64 s[18:19], s[10:11]
	s_cbranch_execz .LBB2_4678
; %bb.4660:                             ;   in Loop: Header=BB2_2373 Depth=1
	s_and_saveexec_b64 s[62:63], s[40:41]
	s_xor_b64 s[62:63], exec, s[62:63]
	s_cbranch_execz .LBB2_4675
; %bb.4661:                             ;   in Loop: Header=BB2_2373 Depth=1
	s_and_saveexec_b64 s[72:73], s[12:13]
	s_cbranch_execz .LBB2_4674
; %bb.4662:                             ;   in Loop: Header=BB2_2373 Depth=1
	s_mov_b64 s[76:77], exec
	v_mbcnt_lo_u32_b32 v1, s76, 0
	v_mbcnt_hi_u32_b32 v1, s77, v1
	v_cmp_eq_u32_e32 vcc, 0, v1
	s_waitcnt vmcnt(0) lgkmcnt(0)
	buffer_wbinvl1_vol
	s_and_saveexec_b64 s[74:75], vcc
	s_cbranch_execz .LBB2_4664
; %bb.4663:                             ;   in Loop: Header=BB2_2373 Depth=1
	s_bcnt1_i32_b64 s76, s[76:77]
	v_mov_b32_e32 v28, s76
	ds_add_u64 v0, v[28:29]
	s_trap 2
.LBB2_4664:                             ;   in Loop: Header=BB2_2373 Depth=1
	s_or_b64 exec, exec, s[74:75]
	s_trap 2
	ds_read_b64 v[3:4], v0
	s_waitcnt lgkmcnt(0)
	buffer_load_dword v5, off, s[0:3], s33 offset:76 ; 4-byte Folded Reload
	buffer_load_dword v6, off, s[0:3], s33 offset:80 ; 4-byte Folded Reload
	s_waitcnt vmcnt(1)
	v_add_co_u32_e32 v5, vcc, v5, v2
	s_waitcnt vmcnt(0)
	v_addc_co_u32_e32 v6, vcc, 0, v6, vcc
	buffer_store_dword v5, off, s[0:3], s33 offset:76 ; 4-byte Folded Spill
	s_nop 0
	buffer_store_dword v6, off, s[0:3], s33 offset:80 ; 4-byte Folded Spill
	v_cmp_lt_u64_e32 vcc, v[3:4], v[5:6]
	s_and_saveexec_b64 s[74:75], vcc
	s_cbranch_execz .LBB2_4673
; %bb.4665:                             ;   in Loop: Header=BB2_2373 Depth=1
	s_mov_b32 s30, 0
	s_mov_b64 s[76:77], 0
                                        ; implicit-def: $sgpr78_sgpr79
                                        ; implicit-def: $sgpr88_sgpr89
	s_branch .LBB2_4667
.LBB2_4666:                             ;   in Loop: Header=BB2_4667 Depth=2
	s_or_b64 exec, exec, s[92:93]
	s_and_b64 s[90:91], exec, s[94:95]
	s_or_b64 s[76:77], s[90:91], s[76:77]
	s_andn2_b64 s[78:79], s[78:79], exec
	s_and_b64 s[90:91], s[88:89], exec
	s_or_b64 s[78:79], s[78:79], s[90:91]
	s_andn2_b64 exec, exec, s[76:77]
	s_cbranch_execz .LBB2_4671
.LBB2_4667:                             ;   Parent Loop BB2_2373 Depth=1
                                        ; =>  This Inner Loop Header: Depth=2
	s_add_i32 s30, s30, 1
	s_cmpk_lg_i32 s30, 0x2710
	s_cselect_b64 s[90:91], -1, 0
	s_and_b64 vcc, exec, s[90:91]
	s_cbranch_vccz .LBB2_4669
; %bb.4668:                             ;   in Loop: Header=BB2_4667 Depth=2
	s_mov_b64 s[94:95], -1
	s_or_b64 s[88:89], s[88:89], exec
	s_and_saveexec_b64 s[92:93], s[90:91]
	s_cbranch_execz .LBB2_4666
	s_branch .LBB2_4670
.LBB2_4669:                             ;   in Loop: Header=BB2_4667 Depth=2
	s_trap 2
	ds_read_b64 v[3:4], v0
	s_andn2_b64 s[90:91], s[90:91], exec
	s_mov_b32 s30, 0
	s_waitcnt vmcnt(0) lgkmcnt(0)
	flat_load_dword v1, v[3:4] glc
	s_waitcnt vmcnt(0) lgkmcnt(0)
	buffer_wbinvl1_vol
	v_cmp_eq_u32_e32 vcc, 0, v1
	s_and_b64 s[92:93], vcc, exec
	s_or_b64 s[90:91], s[90:91], s[92:93]
	s_mov_b64 s[94:95], -1
	s_or_b64 s[88:89], s[88:89], exec
	s_and_saveexec_b64 s[92:93], s[90:91]
	s_cbranch_execz .LBB2_4666
.LBB2_4670:                             ;   in Loop: Header=BB2_4667 Depth=2
	s_sleep 1
	s_trap 2
	ds_read_b64 v[3:4], v0
	s_waitcnt lgkmcnt(0)
	buffer_load_dword v5, off, s[0:3], s33 offset:76 ; 4-byte Folded Reload
	buffer_load_dword v6, off, s[0:3], s33 offset:80 ; 4-byte Folded Reload
	s_andn2_b64 s[88:89], s[88:89], exec
	s_waitcnt vmcnt(0)
	v_cmp_ge_u64_e32 vcc, v[3:4], v[5:6]
	s_orn2_b64 s[94:95], vcc, exec
	s_branch .LBB2_4666
.LBB2_4671:                             ;   in Loop: Header=BB2_2373 Depth=1
	s_or_b64 exec, exec, s[76:77]
	s_and_saveexec_b64 s[76:77], s[78:79]
	s_xor_b64 s[76:77], exec, s[76:77]
	s_cbranch_execz .LBB2_4673
; %bb.4672:                             ;   in Loop: Header=BB2_2373 Depth=1
	v_mov_b32_e32 v1, 1
	ds_write_b32 v0, v1
	s_trap 2
.LBB2_4673:                             ;   in Loop: Header=BB2_2373 Depth=1
	s_or_b64 exec, exec, s[74:75]
	;;#ASMSTART
	s_wakeup
	;;#ASMEND
.LBB2_4674:                             ;   in Loop: Header=BB2_2373 Depth=1
	s_or_b64 exec, exec, s[72:73]
.LBB2_4675:                             ;   in Loop: Header=BB2_2373 Depth=1
	s_andn2_saveexec_b64 s[62:63], s[62:63]
	s_cbranch_execz .LBB2_4677
; %bb.4676:                             ;   in Loop: Header=BB2_2373 Depth=1
	s_waitcnt vmcnt(0) lgkmcnt(0)
	buffer_wbinvl1_vol
	s_barrier
.LBB2_4677:                             ;   in Loop: Header=BB2_2373 Depth=1
	s_or_b64 exec, exec, s[62:63]
.LBB2_4678:                             ;   in Loop: Header=BB2_2373 Depth=1
	s_or_b64 exec, exec, s[18:19]
	s_trap 2
	ds_read_b32 v1, v0
	v_sub_u32_e32 v0, v34, v0
	v_min_i32_e32 v0, v62, v0
	v_cmp_lt_i32_e32 vcc, 0, v0
	v_and_b32_e32 v0, 16, v45
	s_waitcnt lgkmcnt(0)
	v_readfirstlane_b32 s18, v1
	s_cmp_eq_u32 s18, 0
	s_cselect_b64 s[18:19], -1, 0
	s_and_b64 s[18:19], vcc, s[18:19]
	v_cmp_ne_u32_e32 vcc, 0, v0
	s_and_b64 s[62:63], vcc, s[18:19]
	s_and_saveexec_b64 s[18:19], s[62:63]
	s_cbranch_execz .LBB2_4680
; %bb.4679:                             ;   in Loop: Header=BB2_2373 Depth=1
	s_waitcnt vmcnt(0)
	buffer_wbinvl1_vol
.LBB2_4680:                             ;   in Loop: Header=BB2_2373 Depth=1
	s_or_b64 exec, exec, s[18:19]
	v_and_b32_e32 v0, 32, v45
	v_cmp_ne_u32_e32 vcc, 0, v0
	s_and_saveexec_b64 s[18:19], vcc
	s_cbranch_execz .LBB2_2371
; %bb.4681:                             ;   in Loop: Header=BB2_2373 Depth=1
	buffer_load_dword v3, off, s[0:3], s33 offset:60 ; 4-byte Folded Reload
	buffer_load_dword v4, off, s[0:3], s33 offset:64 ; 4-byte Folded Reload
	;; [unrolled: 1-line block ×4, first 2 shown]
	s_waitcnt vmcnt(0)
	v_add_co_u32_e32 v5, vcc, 1, v5
	v_addc_co_u32_e32 v6, vcc, 0, v6, vcc
	buffer_store_dword v3, off, s[0:3], s33 offset:60 ; 4-byte Folded Spill
	s_nop 0
	buffer_store_dword v4, off, s[0:3], s33 offset:64 ; 4-byte Folded Spill
	buffer_store_dword v5, off, s[0:3], s33 offset:68 ; 4-byte Folded Spill
	;; [unrolled: 1-line block ×3, first 2 shown]
	flat_store_dwordx2 v[18:19], v[5:6]
	s_branch .LBB2_2371
.LBB2_4682:
	s_or_b64 exec, exec, s[42:43]
	buffer_load_dword v14, off, s[0:3], s33 offset:180 ; 4-byte Folded Reload
	buffer_load_dword v31, off, s[0:3], s33 offset:184 ; 4-byte Folded Reload
	;; [unrolled: 1-line block ×9, first 2 shown]
.LBB2_4683:
	s_or_b64 exec, exec, s[28:29]
.LBB2_4684:
	s_or_b64 exec, exec, s[22:23]
                                        ; implicit-def: $vgpr0_vgpr1
                                        ; kill: killed $vgpr0_vgpr1
                                        ; implicit-def: $vgpr16_vgpr17
                                        ; implicit-def: $vgpr3_vgpr4
                                        ; implicit-def: $vgpr24_vgpr25
                                        ; implicit-def: $vgpr18_vgpr19
                                        ; implicit-def: $vgpr15
                                        ; implicit-def: $vgpr20
                                        ; implicit-def: $vgpr0
                                        ; kill: killed $vgpr0
                                        ; implicit-def: $vgpr0_vgpr1
                                        ; kill: killed $vgpr0_vgpr1
                                        ; implicit-def: $vgpr0
.LBB2_4685:
	s_andn2_saveexec_b64 s[26:27], s[26:27]
	s_cbranch_execz .LBB2_6173
; %bb.4686:
	v_mov_b32_e32 v1, 0
	s_waitcnt vmcnt(0)
	v_cmp_ne_u64_e32 vcc, 0, v[3:4]
	v_mov_b32_e32 v2, 0
	buffer_store_dword v1, off, s[0:3], s33 offset:76 ; 4-byte Folded Spill
	s_nop 0
	buffer_store_dword v2, off, s[0:3], s33 offset:80 ; 4-byte Folded Spill
	s_and_saveexec_b64 s[28:29], vcc
	s_cbranch_execz .LBB2_6172
; %bb.4687:
	v_and_b32_e32 v1, 63, v31
	v_cmp_eq_u32_e64 s[12:13], 0, v1
	v_lshrrev_b32_e32 v1, 6, v14
	v_and_b32_e32 v2, 63, v15
	buffer_store_dword v8, off, s[0:3], s33 offset:192 ; 4-byte Folded Spill
	s_nop 0
	buffer_store_dword v9, off, s[0:3], s33 offset:196 ; 4-byte Folded Spill
	buffer_store_dword v48, off, s[0:3], s33 offset:60 ; 4-byte Folded Spill
	s_nop 0
	buffer_store_dword v49, off, s[0:3], s33 offset:64 ; 4-byte Folded Spill
	s_waitcnt lgkmcnt(0)
	buffer_store_dword v50, off, s[0:3], s33 offset:68 ; 4-byte Folded Spill
	buffer_store_dword v51, off, s[0:3], s33 offset:72 ; 4-byte Folded Spill
	s_trap 2
	v_cmp_eq_u32_e64 s[14:15], 0, v2
	v_cmp_lt_u32_e64 s[16:17], v2, v0
	buffer_store_dword v2, off, s[0:3], s33 offset:204 ; 4-byte Folded Spill
	v_lshlrev_b32_e32 v0, 4, v2
	v_lshlrev_b32_e32 v2, 10, v1
	buffer_store_dword v7, off, s[0:3], s33 offset:188 ; 4-byte Folded Spill
	buffer_store_dword v31, off, s[0:3], s33 offset:184 ; 4-byte Folded Spill
	;; [unrolled: 1-line block ×5, first 2 shown]
	v_lshlrev_b32_e32 v1, 9, v1
	buffer_store_dword v1, off, s[0:3], s33 offset:112 ; 4-byte Folded Spill
	buffer_store_dword v14, off, s[0:3], s33 offset:180 ; 4-byte Folded Spill
	v_and_b32_e32 v1, 0x3fc0, v14
	buffer_store_dword v1, off, s[0:3], s33 offset:128 ; 4-byte Folded Spill
	buffer_load_dword v1, off, s[0:3], s33 offset:156 ; 4-byte Folded Reload
	s_nop 0
	buffer_load_dword v2, off, s[0:3], s33 offset:160 ; 4-byte Folded Reload
	s_ashr_i32 s6, s48, 31
	s_lshr_b32 s6, s6, 24
	v_lshrrev_b32_e32 v5, 6, v15
	s_add_i32 s48, s48, s6
	v_cmp_eq_u32_e32 vcc, 64, v14
	v_lshl_or_b32 v32, v5, 11, v0
	v_mov_b32_e32 v36, 0
	s_mov_b32 s60, -1
	s_ashr_i32 s38, s48, 8
	v_cmp_ge_u32_e64 s[6:7], v15, v14
	v_cmp_ne_u32_e64 s[10:11], 64, v14
	v_cmp_ne_u32_sdwa s[40:41], v14, v7 src0_sel:DWORD src1_sel:WORD_0
	v_mov_b32_e32 v33, 0
	s_mov_b64 s[42:43], 0
	v_mov_b32_e32 v37, 0
	s_xor_b64 s[44:45], vcc, -1
	s_movk_i32 s39, 0x7f
	s_movk_i32 s48, 0x80
	s_mov_b64 s[46:47], 0x7f800000
	s_mov_b64 s[56:57], 0x43e00001
	s_movk_i32 s49, 0x7a
	s_mov_b64 s[58:59], 0xffffff
	s_mov_b32 s61, 0xffffff
	s_mov_b32 s50, 0x3ffffc00
	v_bfrev_b32_e32 v59, 60
	v_mov_b32_e32 v60, 0x78
	v_mov_b32_e32 v61, 0xffffff82
	buffer_store_dword v5, off, s[0:3], s33 offset:200 ; 4-byte Folded Spill
	buffer_store_dword v32, off, s[0:3], s33 offset:208 ; 4-byte Folded Spill
	s_nop 0
	buffer_store_dword v33, off, s[0:3], s33 offset:212 ; 4-byte Folded Spill
	s_waitcnt vmcnt(3)
	v_cmp_ne_u64_e64 s[18:19], 0, v[1:2]
	v_mov_b32_e32 v0, 0
	v_mov_b32_e32 v1, 0
	buffer_store_dword v0, off, s[0:3], s33 offset:76 ; 4-byte Folded Spill
	s_nop 0
	buffer_store_dword v1, off, s[0:3], s33 offset:80 ; 4-byte Folded Spill
	buffer_store_dword v16, off, s[0:3], s33 offset:168 ; 4-byte Folded Spill
	s_nop 0
	buffer_store_dword v17, off, s[0:3], s33 offset:172 ; 4-byte Folded Spill
	;; [unrolled: 3-line block ×3, first 2 shown]
	buffer_store_dword v5, off, s[0:3], s33 offset:96 ; 4-byte Folded Spill
	buffer_store_dword v6, off, s[0:3], s33 offset:100 ; 4-byte Folded Spill
	;; [unrolled: 1-line block ×3, first 2 shown]
	s_nop 0
	buffer_store_dword v21, off, s[0:3], s33 offset:108 ; 4-byte Folded Spill
	s_branch .LBB2_4691
.LBB2_4688:                             ;   in Loop: Header=BB2_4691 Depth=1
	s_or_b64 exec, exec, s[62:63]
	buffer_load_dword v0, off, s[0:3], s33 offset:60 ; 4-byte Folded Reload
	buffer_load_dword v1, off, s[0:3], s33 offset:64 ; 4-byte Folded Reload
	buffer_load_dword v2, off, s[0:3], s33 offset:68 ; 4-byte Folded Reload
	buffer_load_dword v3, off, s[0:3], s33 offset:72 ; 4-byte Folded Reload
	s_waitcnt vmcnt(0)
	v_add_co_u32_e32 v2, vcc, 1, v2
	v_addc_co_u32_e32 v3, vcc, 0, v3, vcc
	buffer_store_dword v0, off, s[0:3], s33 offset:60 ; 4-byte Folded Spill
	s_nop 0
	buffer_store_dword v1, off, s[0:3], s33 offset:64 ; 4-byte Folded Spill
	buffer_store_dword v2, off, s[0:3], s33 offset:68 ; 4-byte Folded Spill
	;; [unrolled: 1-line block ×3, first 2 shown]
	flat_store_dwordx2 v[18:19], v[2:3]
.LBB2_4689:                             ;   in Loop: Header=BB2_4691 Depth=1
	s_or_b64 exec, exec, s[20:21]
.LBB2_4690:                             ;   in Loop: Header=BB2_4691 Depth=1
	s_or_b64 exec, exec, s[22:23]
	buffer_load_dword v20, off, s[0:3], s33 offset:104 ; 4-byte Folded Reload
	buffer_load_dword v21, off, s[0:3], s33 offset:108 ; 4-byte Folded Reload
	;; [unrolled: 1-line block ×6, first 2 shown]
	s_waitcnt vmcnt(0)
	v_add_co_u32_e32 v36, vcc, v36, v20
	v_addc_co_u32_e32 v37, vcc, 0, v37, vcc
	v_cmp_ge_u64_e32 vcc, v[36:37], v[3:4]
	s_or_b64 s[42:43], vcc, s[42:43]
	s_andn2_b64 exec, exec, s[42:43]
	s_cbranch_execz .LBB2_6171
.LBB2_4691:                             ; =>This Loop Header: Depth=1
                                        ;     Child Loop BB2_4699 Depth 2
                                        ;     Child Loop BB2_4724 Depth 2
                                        ;     Child Loop BB2_4743 Depth 2
                                        ;     Child Loop BB2_4766 Depth 2
                                        ;     Child Loop BB2_5483 Depth 2
                                        ;     Child Loop BB2_5849 Depth 2
                                        ;     Child Loop BB2_6067 Depth 2
                                        ;     Child Loop BB2_6106 Depth 2
                                        ;     Child Loop BB2_6130 Depth 2
                                        ;     Child Loop BB2_6155 Depth 2
	v_sub_co_u32_e32 v0, vcc, v3, v36
	v_subb_co_u32_e32 v1, vcc, v4, v37, vcc
	v_cmp_lt_u64_e32 vcc, v[20:21], v[0:1]
	v_cndmask_b32_e64 v39, v1, 0, vcc
	v_cndmask_b32_e32 v38, v0, v20, vcc
	v_cmp_eq_u64_e32 vcc, 0, v[38:39]
	v_add_u32_e32 v0, 15, v38
	v_and_b32_e32 v0, 0x7ffffff0, v0
	s_or_b64 s[62:63], s[6:7], vcc
	v_max_i32_e32 v48, s38, v0
	s_xor_b64 s[20:21], s[62:63], -1
	v_mov_b32_e32 v0, v33
	s_and_saveexec_b64 s[72:73], s[20:21]
	s_cbranch_execz .LBB2_6124
; %bb.4692:                             ;   in Loop: Header=BB2_4691 Depth=1
	s_and_saveexec_b64 s[20:21], s[4:5]
	s_cbranch_execz .LBB2_4694
; %bb.4693:                             ;   in Loop: Header=BB2_4691 Depth=1
	s_trap 2
	ds_read_b64 v[0:1], v0
	v_mov_b32_e32 v32, v33
	s_waitcnt lgkmcnt(0)
	v_add_co_u32_e32 v0, vcc, v0, v16
	v_addc_co_u32_e32 v1, vcc, v1, v17, vcc
	v_add_co_u32_e32 v0, vcc, v0, v36
	v_addc_co_u32_e32 v1, vcc, v1, v37, vcc
	ds_write_b64 v0, v[0:1]
	ds_write_b64 v0, v[32:33]
.LBB2_4694:                             ;   in Loop: Header=BB2_4691 Depth=1
	s_or_b64 exec, exec, s[20:21]
	v_and_b32_e32 v0, 8, v45
	v_min_u32_e32 v48, v48, v38
	v_cmp_ne_u32_e32 vcc, 0, v0
	s_and_saveexec_b64 s[22:23], vcc
	s_cbranch_execz .LBB2_4716
; %bb.4695:                             ;   in Loop: Header=BB2_4691 Depth=1
	buffer_load_dword v2, off, s[0:3], s33 offset:60 ; 4-byte Folded Reload
	buffer_load_dword v3, off, s[0:3], s33 offset:64 ; 4-byte Folded Reload
	;; [unrolled: 1-line block ×4, first 2 shown]
	v_add_co_u32_e32 v0, vcc, 8, v24
	v_addc_co_u32_e32 v1, vcc, 0, v25, vcc
	s_waitcnt vmcnt(0)
	v_add_co_u32_e32 v10, vcc, 1, v4
	s_waitcnt vmcnt(0)
	v_addc_co_u32_e32 v11, vcc, 0, v5, vcc
	v_cmp_lt_u64_e32 vcc, v[0:1], v[10:11]
	s_and_saveexec_b64 s[74:75], vcc
	s_cbranch_execz .LBB2_4707
; %bb.4696:                             ;   in Loop: Header=BB2_4691 Depth=1
	v_and_b32_e32 v0, 64, v45
	s_mov_b32 s51, 0
	v_cmp_eq_u32_e32 vcc, 0, v0
	s_mov_b64 s[76:77], 0
                                        ; implicit-def: $sgpr78_sgpr79
                                        ; implicit-def: $sgpr88_sgpr89
                                        ; implicit-def: $sgpr90_sgpr91
	s_branch .LBB2_4699
.LBB2_4697:                             ;   in Loop: Header=BB2_4699 Depth=2
	s_or_b64 exec, exec, s[36:37]
	s_andn2_b64 s[20:21], s[90:91], exec
	s_and_b64 s[90:91], s[30:31], exec
	s_or_b64 s[90:91], s[20:21], s[90:91]
	s_andn2_b64 s[20:21], s[88:89], exec
	s_and_b64 s[88:89], s[94:95], exec
	s_or_b64 s[88:89], s[20:21], s[88:89]
.LBB2_4698:                             ;   in Loop: Header=BB2_4699 Depth=2
	s_or_b64 exec, exec, s[92:93]
	s_and_b64 s[20:21], exec, s[88:89]
	s_or_b64 s[76:77], s[20:21], s[76:77]
	s_andn2_b64 s[20:21], s[78:79], exec
	s_and_b64 s[78:79], s[90:91], exec
	s_or_b64 s[78:79], s[20:21], s[78:79]
	s_andn2_b64 exec, exec, s[76:77]
	s_cbranch_execz .LBB2_4704
.LBB2_4699:                             ;   Parent Loop BB2_4691 Depth=1
                                        ; =>  This Inner Loop Header: Depth=2
	s_sleep 1
	s_waitcnt vmcnt(0) lgkmcnt(0)
	flat_load_dwordx2 v[24:25], v[18:19] glc
	s_or_b64 s[90:91], s[90:91], exec
	s_or_b64 s[88:89], s[88:89], exec
                                        ; implicit-def: $vgpr0
	s_and_saveexec_b64 s[92:93], vcc
	s_cbranch_execz .LBB2_4698
; %bb.4700:                             ;   in Loop: Header=BB2_4699 Depth=2
	s_cmpk_lt_i32 s51, 0x270f
	s_cselect_b64 s[34:35], -1, 0
	s_cmpk_gt_i32 s51, 0x270e
	s_mov_b64 s[94:95], -1
	s_cbranch_scc0 .LBB2_4702
; %bb.4701:                             ;   in Loop: Header=BB2_4699 Depth=2
	s_trap 2
	ds_read_b64 v[0:1], v0
	s_andn2_b64 s[34:35], s[34:35], exec
	s_mov_b32 s51, 0
	s_mov_b64 s[30:31], 0
	s_waitcnt vmcnt(0) lgkmcnt(0)
	flat_load_dword v0, v[0:1] glc
	s_waitcnt vmcnt(0) lgkmcnt(0)
	buffer_wbinvl1_vol
	v_cmp_eq_u32_e64 s[20:21], 0, v0
	s_and_b64 s[20:21], s[20:21], exec
	s_or_b64 s[34:35], s[34:35], s[20:21]
	s_and_saveexec_b64 s[36:37], s[34:35]
	s_cbranch_execz .LBB2_4697
	s_branch .LBB2_4703
.LBB2_4702:                             ;   in Loop: Header=BB2_4699 Depth=2
	s_add_i32 s51, s51, 1
	s_mov_b64 s[30:31], -1
                                        ; implicit-def: $vgpr0
	s_and_saveexec_b64 s[36:37], s[34:35]
	s_cbranch_execz .LBB2_4697
.LBB2_4703:                             ;   in Loop: Header=BB2_4699 Depth=2
	s_waitcnt vmcnt(0) lgkmcnt(0)
	v_add_co_u32_e64 v1, s[20:21], 8, v24
	v_addc_co_u32_e64 v2, s[20:21], 0, v25, s[20:21]
	v_cmp_ge_u64_e64 s[20:21], v[1:2], v[10:11]
	s_or_b64 s[30:31], s[30:31], exec
	s_orn2_b64 s[94:95], s[20:21], exec
	s_branch .LBB2_4697
.LBB2_4704:                             ;   in Loop: Header=BB2_4691 Depth=1
	s_or_b64 exec, exec, s[76:77]
	s_xor_b64 s[20:21], s[78:79], -1
	s_and_saveexec_b64 s[76:77], s[20:21]
	s_xor_b64 s[20:21], exec, s[76:77]
	s_cbranch_execz .LBB2_4706
; %bb.4705:                             ;   in Loop: Header=BB2_4691 Depth=1
	v_or_b32_e32 v45, 64, v45
	s_waitcnt lgkmcnt(0)
	ds_write_b32 v0, v0
	s_trap 2
.LBB2_4706:                             ;   in Loop: Header=BB2_4691 Depth=1
	s_or_b64 exec, exec, s[20:21]
.LBB2_4707:                             ;   in Loop: Header=BB2_4691 Depth=1
	s_or_b64 exec, exec, s[74:75]
	v_and_b32_e32 v0, 0x100, v45
	;;#ASMSTART
	s_wakeup
	;;#ASMEND
	v_cmp_ne_u32_e32 vcc, 0, v0
	buffer_load_dword v0, off, s[0:3], s33 offset:60 ; 4-byte Folded Reload
	buffer_load_dword v1, off, s[0:3], s33 offset:64 ; 4-byte Folded Reload
	;; [unrolled: 1-line block ×4, first 2 shown]
	s_mov_b64 s[20:21], -1
                                        ; implicit-def: $vgpr8_vgpr9
	s_waitcnt vmcnt(0)
	v_and_b32_e32 v0, 7, v2
	s_and_saveexec_b64 s[74:75], vcc
	s_cbranch_execz .LBB2_4711
; %bb.4708:                             ;   in Loop: Header=BB2_4691 Depth=1
	buffer_load_dword v1, off, s[0:3], s33 offset:60 ; 4-byte Folded Reload
	buffer_load_dword v2, off, s[0:3], s33 offset:64 ; 4-byte Folded Reload
	;; [unrolled: 1-line block ×4, first 2 shown]
	v_mov_b32_e32 v49, v33
                                        ; implicit-def: $vgpr8_vgpr9
	s_waitcnt vmcnt(0)
	v_mad_u64_u32 v[12:13], s[20:21], v0, 24, v[1:2]
	flat_load_dword v1, v[12:13]
	s_nop 0
	flat_store_dwordx2 v[12:13], v[48:49] offset:8
	s_waitcnt vmcnt(0) lgkmcnt(0)
	v_cmp_ne_u32_e32 vcc, 1, v1
	v_cmp_eq_u32_e64 s[20:21], 1, v1
	s_and_saveexec_b64 s[76:77], s[20:21]
	s_cbranch_execz .LBB2_4710
; %bb.4709:                             ;   in Loop: Header=BB2_4691 Depth=1
	flat_load_dword v8, v[12:13] offset:4 glc
	s_waitcnt vmcnt(0) lgkmcnt(0)
	v_ashrrev_i32_e32 v9, 31, v8
.LBB2_4710:                             ;   in Loop: Header=BB2_4691 Depth=1
	s_or_b64 exec, exec, s[76:77]
	s_orn2_b64 s[20:21], vcc, exec
.LBB2_4711:                             ;   in Loop: Header=BB2_4691 Depth=1
	s_or_b64 exec, exec, s[74:75]
	s_and_saveexec_b64 s[74:75], s[20:21]
	s_cbranch_execz .LBB2_4713
; %bb.4712:                             ;   in Loop: Header=BB2_4691 Depth=1
	buffer_load_dword v1, off, s[0:3], s33 offset:152 ; 4-byte Folded Reload
	s_waitcnt vmcnt(0)
	v_mad_i64_i32 v[8:9], s[20:21], v0, v1, 0
.LBB2_4713:                             ;   in Loop: Header=BB2_4691 Depth=1
	s_or_b64 exec, exec, s[74:75]
	buffer_load_dword v0, off, s[0:3], s33 offset:120 ; 4-byte Folded Reload
	buffer_load_dword v1, off, s[0:3], s33 offset:124 ; 4-byte Folded Reload
	s_waitcnt vmcnt(0)
	v_add_co_u32_e32 v0, vcc, v0, v8
	v_addc_co_u32_e32 v1, vcc, v1, v9, vcc
	ds_write_b64 v0, v[0:1] offset:784
	v_and_b32_e32 v0, 0x2000, v45
	v_cmp_ne_u32_e32 vcc, 0, v0
	s_and_saveexec_b64 s[20:21], vcc
	s_cbranch_execz .LBB2_4715
; %bb.4714:                             ;   in Loop: Header=BB2_4691 Depth=1
	ds_read_b64 v[0:1], v0 offset:872
	s_waitcnt lgkmcnt(0)
	v_add_co_u32_e32 v0, vcc, 1, v0
	v_addc_co_u32_e32 v1, vcc, 0, v1, vcc
	ds_write_b64 v0, v[0:1] offset:872
.LBB2_4715:                             ;   in Loop: Header=BB2_4691 Depth=1
	s_or_b64 exec, exec, s[20:21]
	buffer_load_dword v0, off, s[0:3], s33 offset:60 ; 4-byte Folded Reload
	buffer_load_dword v1, off, s[0:3], s33 offset:64 ; 4-byte Folded Reload
	;; [unrolled: 1-line block ×4, first 2 shown]
	s_waitcnt vmcnt(0)
	v_mov_b32_e32 v2, v10
	v_mov_b32_e32 v3, v11
	buffer_store_dword v0, off, s[0:3], s33 offset:60 ; 4-byte Folded Spill
	s_nop 0
	buffer_store_dword v1, off, s[0:3], s33 offset:64 ; 4-byte Folded Spill
	buffer_store_dword v2, off, s[0:3], s33 offset:68 ; 4-byte Folded Spill
	;; [unrolled: 1-line block ×3, first 2 shown]
.LBB2_4716:                             ;   in Loop: Header=BB2_4691 Depth=1
	s_or_b64 exec, exec, s[22:23]
	s_and_saveexec_b64 s[20:21], s[10:11]
	s_cbranch_execz .LBB2_4735
; %bb.4717:                             ;   in Loop: Header=BB2_4691 Depth=1
	s_and_saveexec_b64 s[22:23], s[40:41]
	s_xor_b64 s[22:23], exec, s[22:23]
	s_cbranch_execz .LBB2_4732
; %bb.4718:                             ;   in Loop: Header=BB2_4691 Depth=1
	s_and_saveexec_b64 s[74:75], s[12:13]
	s_cbranch_execz .LBB2_4731
; %bb.4719:                             ;   in Loop: Header=BB2_4691 Depth=1
	s_mov_b64 s[78:79], exec
	v_mbcnt_lo_u32_b32 v0, s78, 0
	v_mbcnt_hi_u32_b32 v0, s79, v0
	v_cmp_eq_u32_e32 vcc, 0, v0
	s_waitcnt vmcnt(0) lgkmcnt(0)
	buffer_wbinvl1_vol
	s_and_saveexec_b64 s[76:77], vcc
	s_cbranch_execz .LBB2_4721
; %bb.4720:                             ;   in Loop: Header=BB2_4691 Depth=1
	s_bcnt1_i32_b64 s78, s[78:79]
	v_mov_b32_e32 v32, s78
	ds_add_u64 v0, v[32:33]
	s_trap 2
.LBB2_4721:                             ;   in Loop: Header=BB2_4691 Depth=1
	s_or_b64 exec, exec, s[76:77]
	s_trap 2
	ds_read_b64 v[0:1], v0
	s_waitcnt lgkmcnt(0)
	buffer_load_dword v2, off, s[0:3], s33 offset:76 ; 4-byte Folded Reload
	buffer_load_dword v3, off, s[0:3], s33 offset:80 ; 4-byte Folded Reload
	;; [unrolled: 1-line block ×3, first 2 shown]
	s_waitcnt vmcnt(0)
	v_add_co_u32_e32 v2, vcc, v2, v4
	v_addc_co_u32_e32 v3, vcc, 0, v3, vcc
	buffer_store_dword v2, off, s[0:3], s33 offset:76 ; 4-byte Folded Spill
	s_nop 0
	buffer_store_dword v3, off, s[0:3], s33 offset:80 ; 4-byte Folded Spill
	v_cmp_lt_u64_e32 vcc, v[0:1], v[2:3]
	s_and_saveexec_b64 s[76:77], vcc
	s_cbranch_execz .LBB2_4730
; %bb.4722:                             ;   in Loop: Header=BB2_4691 Depth=1
	s_mov_b32 s30, 0
	s_mov_b64 s[78:79], 0
                                        ; implicit-def: $sgpr88_sgpr89
                                        ; implicit-def: $sgpr90_sgpr91
	s_branch .LBB2_4724
.LBB2_4723:                             ;   in Loop: Header=BB2_4724 Depth=2
	s_or_b64 exec, exec, s[94:95]
	s_and_b64 s[92:93], exec, vcc
	s_or_b64 s[78:79], s[92:93], s[78:79]
	s_andn2_b64 s[88:89], s[88:89], exec
	s_and_b64 s[92:93], s[90:91], exec
	s_or_b64 s[88:89], s[88:89], s[92:93]
	s_andn2_b64 exec, exec, s[78:79]
	s_cbranch_execz .LBB2_4728
.LBB2_4724:                             ;   Parent Loop BB2_4691 Depth=1
                                        ; =>  This Inner Loop Header: Depth=2
	s_add_i32 s30, s30, 1
	s_cmpk_lg_i32 s30, 0x2710
	s_cselect_b64 s[92:93], -1, 0
	s_and_b64 vcc, exec, s[92:93]
	s_cbranch_vccz .LBB2_4726
; %bb.4725:                             ;   in Loop: Header=BB2_4724 Depth=2
	s_mov_b64 vcc, -1
	s_or_b64 s[90:91], s[90:91], exec
	s_and_saveexec_b64 s[94:95], s[92:93]
	s_cbranch_execz .LBB2_4723
	s_branch .LBB2_4727
.LBB2_4726:                             ;   in Loop: Header=BB2_4724 Depth=2
	s_trap 2
	ds_read_b64 v[0:1], v0
	s_andn2_b64 s[92:93], s[92:93], exec
	s_mov_b32 s30, 0
	s_waitcnt vmcnt(0) lgkmcnt(0)
	flat_load_dword v0, v[0:1] glc
	s_waitcnt vmcnt(0) lgkmcnt(0)
	buffer_wbinvl1_vol
	v_cmp_eq_u32_e32 vcc, 0, v0
	s_and_b64 s[94:95], vcc, exec
	s_or_b64 s[92:93], s[92:93], s[94:95]
	s_mov_b64 vcc, -1
	s_or_b64 s[90:91], s[90:91], exec
	s_and_saveexec_b64 s[94:95], s[92:93]
	s_cbranch_execz .LBB2_4723
.LBB2_4727:                             ;   in Loop: Header=BB2_4724 Depth=2
	s_sleep 1
	s_trap 2
	ds_read_b64 v[0:1], v0
	s_waitcnt lgkmcnt(0)
	buffer_load_dword v2, off, s[0:3], s33 offset:76 ; 4-byte Folded Reload
	buffer_load_dword v3, off, s[0:3], s33 offset:80 ; 4-byte Folded Reload
	s_andn2_b64 s[90:91], s[90:91], exec
	s_waitcnt vmcnt(0)
	v_cmp_ge_u64_e32 vcc, v[0:1], v[2:3]
	s_orn2_b64 vcc, vcc, exec
	s_branch .LBB2_4723
.LBB2_4728:                             ;   in Loop: Header=BB2_4691 Depth=1
	s_or_b64 exec, exec, s[78:79]
	s_and_saveexec_b64 s[78:79], s[88:89]
	s_xor_b64 s[78:79], exec, s[78:79]
	s_cbranch_execz .LBB2_4730
; %bb.4729:                             ;   in Loop: Header=BB2_4691 Depth=1
	v_mov_b32_e32 v0, 1
	ds_write_b32 v0, v0
	s_trap 2
.LBB2_4730:                             ;   in Loop: Header=BB2_4691 Depth=1
	s_or_b64 exec, exec, s[76:77]
	;;#ASMSTART
	s_wakeup
	;;#ASMEND
.LBB2_4731:                             ;   in Loop: Header=BB2_4691 Depth=1
	s_or_b64 exec, exec, s[74:75]
.LBB2_4732:                             ;   in Loop: Header=BB2_4691 Depth=1
	s_andn2_saveexec_b64 s[22:23], s[22:23]
	s_cbranch_execz .LBB2_4734
; %bb.4733:                             ;   in Loop: Header=BB2_4691 Depth=1
	s_waitcnt vmcnt(0) lgkmcnt(0)
	buffer_wbinvl1_vol
	s_barrier
.LBB2_4734:                             ;   in Loop: Header=BB2_4691 Depth=1
	s_or_b64 exec, exec, s[22:23]
.LBB2_4735:                             ;   in Loop: Header=BB2_4691 Depth=1
	s_or_b64 exec, exec, s[20:21]
	s_trap 2
	ds_read_b32 v0, v0
	v_and_b32_e32 v1, 0x4000, v45
	v_cmp_ne_u32_e32 vcc, 0, v1
	s_and_b64 s[22:23], s[44:45], vcc
	s_and_saveexec_b64 s[20:21], s[22:23]
	s_cbranch_execz .LBB2_4754
; %bb.4736:                             ;   in Loop: Header=BB2_4691 Depth=1
	s_and_saveexec_b64 s[22:23], s[40:41]
	s_xor_b64 s[22:23], exec, s[22:23]
	s_cbranch_execz .LBB2_4751
; %bb.4737:                             ;   in Loop: Header=BB2_4691 Depth=1
	s_and_saveexec_b64 s[74:75], s[12:13]
	s_cbranch_execz .LBB2_4750
; %bb.4738:                             ;   in Loop: Header=BB2_4691 Depth=1
	s_mov_b64 s[78:79], exec
	v_mbcnt_lo_u32_b32 v1, s78, 0
	v_mbcnt_hi_u32_b32 v1, s79, v1
	v_cmp_eq_u32_e32 vcc, 0, v1
	s_waitcnt vmcnt(0) lgkmcnt(0)
	buffer_wbinvl1_vol
	s_and_saveexec_b64 s[76:77], vcc
	s_cbranch_execz .LBB2_4740
; %bb.4739:                             ;   in Loop: Header=BB2_4691 Depth=1
	s_bcnt1_i32_b64 s78, s[78:79]
	v_mov_b32_e32 v32, s78
	ds_add_u64 v0, v[32:33]
	s_trap 2
.LBB2_4740:                             ;   in Loop: Header=BB2_4691 Depth=1
	s_or_b64 exec, exec, s[76:77]
	s_trap 2
	ds_read_b64 v[1:2], v0
	s_waitcnt lgkmcnt(0)
	buffer_load_dword v3, off, s[0:3], s33 offset:76 ; 4-byte Folded Reload
	buffer_load_dword v4, off, s[0:3], s33 offset:80 ; 4-byte Folded Reload
	;; [unrolled: 1-line block ×3, first 2 shown]
	s_waitcnt vmcnt(0)
	v_add_co_u32_e32 v3, vcc, v3, v5
	v_addc_co_u32_e32 v4, vcc, 0, v4, vcc
	buffer_store_dword v3, off, s[0:3], s33 offset:76 ; 4-byte Folded Spill
	s_nop 0
	buffer_store_dword v4, off, s[0:3], s33 offset:80 ; 4-byte Folded Spill
	v_cmp_lt_u64_e32 vcc, v[1:2], v[3:4]
	s_and_saveexec_b64 s[76:77], vcc
	s_cbranch_execz .LBB2_4749
; %bb.4741:                             ;   in Loop: Header=BB2_4691 Depth=1
	s_mov_b32 s30, 0
	s_mov_b64 s[78:79], 0
                                        ; implicit-def: $sgpr88_sgpr89
                                        ; implicit-def: $sgpr90_sgpr91
	s_branch .LBB2_4743
.LBB2_4742:                             ;   in Loop: Header=BB2_4743 Depth=2
	s_or_b64 exec, exec, s[94:95]
	s_and_b64 s[92:93], exec, vcc
	s_or_b64 s[78:79], s[92:93], s[78:79]
	s_andn2_b64 s[88:89], s[88:89], exec
	s_and_b64 s[92:93], s[90:91], exec
	s_or_b64 s[88:89], s[88:89], s[92:93]
	s_andn2_b64 exec, exec, s[78:79]
	s_cbranch_execz .LBB2_4747
.LBB2_4743:                             ;   Parent Loop BB2_4691 Depth=1
                                        ; =>  This Inner Loop Header: Depth=2
	s_add_i32 s30, s30, 1
	s_cmpk_lg_i32 s30, 0x2710
	s_cselect_b64 s[92:93], -1, 0
	s_and_b64 vcc, exec, s[92:93]
	s_cbranch_vccz .LBB2_4745
; %bb.4744:                             ;   in Loop: Header=BB2_4743 Depth=2
	s_mov_b64 vcc, -1
	s_or_b64 s[90:91], s[90:91], exec
	s_and_saveexec_b64 s[94:95], s[92:93]
	s_cbranch_execz .LBB2_4742
	s_branch .LBB2_4746
.LBB2_4745:                             ;   in Loop: Header=BB2_4743 Depth=2
	s_trap 2
	ds_read_b64 v[1:2], v0
	s_andn2_b64 s[92:93], s[92:93], exec
	s_mov_b32 s30, 0
	s_waitcnt vmcnt(0) lgkmcnt(0)
	flat_load_dword v1, v[1:2] glc
	s_waitcnt vmcnt(0) lgkmcnt(0)
	buffer_wbinvl1_vol
	v_cmp_eq_u32_e32 vcc, 0, v1
	s_and_b64 s[94:95], vcc, exec
	s_or_b64 s[92:93], s[92:93], s[94:95]
	s_mov_b64 vcc, -1
	s_or_b64 s[90:91], s[90:91], exec
	s_and_saveexec_b64 s[94:95], s[92:93]
	s_cbranch_execz .LBB2_4742
.LBB2_4746:                             ;   in Loop: Header=BB2_4743 Depth=2
	s_sleep 1
	s_trap 2
	ds_read_b64 v[1:2], v0
	s_waitcnt lgkmcnt(0)
	buffer_load_dword v3, off, s[0:3], s33 offset:76 ; 4-byte Folded Reload
	buffer_load_dword v4, off, s[0:3], s33 offset:80 ; 4-byte Folded Reload
	s_andn2_b64 s[90:91], s[90:91], exec
	s_waitcnt vmcnt(0)
	v_cmp_ge_u64_e32 vcc, v[1:2], v[3:4]
	s_orn2_b64 vcc, vcc, exec
	s_branch .LBB2_4742
.LBB2_4747:                             ;   in Loop: Header=BB2_4691 Depth=1
	s_or_b64 exec, exec, s[78:79]
	s_and_saveexec_b64 s[78:79], s[88:89]
	s_xor_b64 s[78:79], exec, s[78:79]
	s_cbranch_execz .LBB2_4749
; %bb.4748:                             ;   in Loop: Header=BB2_4691 Depth=1
	v_mov_b32_e32 v1, 1
	ds_write_b32 v0, v1
	s_trap 2
.LBB2_4749:                             ;   in Loop: Header=BB2_4691 Depth=1
	s_or_b64 exec, exec, s[76:77]
	;;#ASMSTART
	s_wakeup
	;;#ASMEND
.LBB2_4750:                             ;   in Loop: Header=BB2_4691 Depth=1
	s_or_b64 exec, exec, s[74:75]
.LBB2_4751:                             ;   in Loop: Header=BB2_4691 Depth=1
	s_andn2_saveexec_b64 s[22:23], s[22:23]
	s_cbranch_execz .LBB2_4753
; %bb.4752:                             ;   in Loop: Header=BB2_4691 Depth=1
	s_waitcnt vmcnt(0) lgkmcnt(0)
	buffer_wbinvl1_vol
	s_barrier
.LBB2_4753:                             ;   in Loop: Header=BB2_4691 Depth=1
	s_or_b64 exec, exec, s[22:23]
.LBB2_4754:                             ;   in Loop: Header=BB2_4691 Depth=1
	s_or_b64 exec, exec, s[20:21]
	s_trap 2
	s_waitcnt lgkmcnt(0)
	ds_read_b64 v[49:50], v0
	s_waitcnt lgkmcnt(0)
	v_cmp_eq_u64_e32 vcc, 0, v[49:50]
	s_cbranch_vccnz .LBB2_4762
; %bb.4755:                             ;   in Loop: Header=BB2_4691 Depth=1
	s_trap 2
	ds_read_b64 v[51:52], v0
	s_waitcnt lgkmcnt(0)
	v_cmp_eq_u64_e32 vcc, 0, v[51:52]
	s_cbranch_vccnz .LBB2_4762
; %bb.4756:                             ;   in Loop: Header=BB2_4691 Depth=1
	s_mov_b64 s[22:23], -1
	s_and_saveexec_b64 s[20:21], s[14:15]
	s_cbranch_execz .LBB2_4758
; %bb.4757:                             ;   in Loop: Header=BB2_4691 Depth=1
	ds_read_b32 v1, v0 offset:720
	s_waitcnt lgkmcnt(0)
	v_and_b32_e32 v1, 15, v1
	v_cmp_eq_u32_e32 vcc, 0, v1
	s_orn2_b64 s[22:23], vcc, exec
.LBB2_4758:                             ;   in Loop: Header=BB2_4691 Depth=1
	s_or_b64 exec, exec, s[20:21]
	s_and_saveexec_b64 s[20:21], s[16:17]
	s_cbranch_execz .LBB2_4760
; %bb.4759:                             ;   in Loop: Header=BB2_4691 Depth=1
	ds_read_b32 v1, v0 offset:784
	s_waitcnt lgkmcnt(0)
	v_and_b32_e32 v1, 15, v1
	v_cmp_eq_u32_e32 vcc, 0, v1
	s_and_b64 s[74:75], s[22:23], vcc
	s_andn2_b64 s[22:23], s[22:23], exec
	s_and_b64 s[74:75], s[74:75], exec
	s_or_b64 s[22:23], s[22:23], s[74:75]
.LBB2_4760:                             ;   in Loop: Header=BB2_4691 Depth=1
	s_or_b64 exec, exec, s[20:21]
	s_xor_b64 s[22:23], s[22:23], -1
	v_cmp_eq_u32_e32 vcc, 0, v0
	v_cndmask_b32_e64 v0, 0, 1, s[22:23]
	v_cndmask_b32_e32 v1, 0, v48, vcc
	v_cmp_ne_u32_e32 vcc, 0, v0
	buffer_load_dword v0, off, s[0:3], s33 offset:164 ; 4-byte Folded Reload
	s_mov_b64 s[20:21], -1
	v_mov_b32_e32 v14, 0
	buffer_store_dword v1, off, s[0:3], s33 offset:148 ; 4-byte Folded Spill
	s_cbranch_vccz .LBB2_4763
; %bb.4761:                             ;   in Loop: Header=BB2_4691 Depth=1
	s_and_saveexec_b64 s[22:23], s[20:21]
	s_cbranch_execnz .LBB2_5846
	s_branch .LBB2_6098
.LBB2_4762:                             ;   in Loop: Header=BB2_4691 Depth=1
	s_mov_b64 s[20:21], 0
	s_and_saveexec_b64 s[22:23], s[10:11]
	s_cbranch_execnz .LBB2_6099
	s_branch .LBB2_6117
.LBB2_4763:                             ;   in Loop: Header=BB2_4691 Depth=1
	buffer_load_dword v0, off, s[0:3], s33 offset:148 ; 4-byte Folded Reload
	buffer_load_dword v1, off, s[0:3], s33 offset:200 ; 4-byte Folded Reload
	s_waitcnt vmcnt(1)
	v_lshrrev_b32_e32 v0, 11, v0
	s_waitcnt vmcnt(0)
	v_sub_u32_e32 v16, v0, v1
	v_cmp_lt_i32_e32 vcc, 0, v16
	buffer_store_dword v45, off, s[0:3], s33 offset:176 ; 4-byte Folded Spill
	s_and_saveexec_b64 s[22:23], vcc
	s_cbranch_execz .LBB2_5479
; %bb.4764:                             ;   in Loop: Header=BB2_4691 Depth=1
	s_trap 2
	ds_read_b64 v[0:1], v0
	s_waitcnt lgkmcnt(0)
	v_readfirstlane_b32 s20, v0
	s_and_b32 s21, s20, 7
	s_flbit_i32_b32 s21, s21
	s_min_u32 s21, s21, 32
	s_and_b32 s74, s20, 0x7f
	s_bfe_u32 s75, s20, 0x40003
	s_sub_i32 s76, s21, 28
	s_sub_i32 s21, 29, s21
	s_cmp_lt_u32 s74, 8
	s_cselect_b32 s76, s76, 0
	s_cselect_b32 s21, s21, s75
	v_lshlrev_b64 v[0:1], s76, v[0:1]
	s_lshl_b32 s75, s20, 24
	s_lshl_b32 s21, s21, 23
	s_and_b32 s75, s75, 0x80000000
	s_add_i32 s21, s21, 0x3c000000
	v_lshlrev_b32_e32 v0, 20, v0
	s_or_b32 s21, s75, s21
	v_and_b32_e32 v0, 0x700000, v0
	s_cmpk_lg_i32 s74, 0x7f
	v_or_b32_e32 v0, s21, v0
	s_cselect_b64 vcc, -1, 0
	v_mov_b32_e32 v1, 0x7f800001
	v_cndmask_b32_e32 v0, v1, v0, vcc
	buffer_store_dword v0, off, s[0:3], s33 offset:136 ; 4-byte Folded Spill
	buffer_load_dword v53, off, s[0:3], s33 offset:208 ; 4-byte Folded Reload
	buffer_load_dword v54, off, s[0:3], s33 offset:212 ; 4-byte Folded Reload
	s_mov_b64 s[74:75], 0
	s_and_b32 s92, s20, 0xff
	s_branch .LBB2_4766
.LBB2_4765:                             ;   in Loop: Header=BB2_4766 Depth=2
	s_or_b64 exec, exec, s[20:21]
	v_lshl_or_b32 v2, v3, 8, v35
	v_lshlrev_b32_e32 v3, 16, v43
	v_lshlrev_b32_e32 v6, 24, v57
	v_or3_b32 v7, v2, v3, v6
	v_lshl_or_b32 v2, v58, 8, v46
	v_lshlrev_b32_e32 v3, 16, v31
	v_lshlrev_b32_e32 v6, 24, v34
	v_or3_b32 v6, v2, v3, v6
	;; [unrolled: 4-line block ×3, first 2 shown]
	v_lshlrev_b32_e32 v2, 24, v20
	v_lshlrev_b32_e32 v3, 16, v42
	v_lshl_or_b32 v0, v1, 8, v0
	v_or3_b32 v9, v0, v3, v2
	v_lshl_or_b32 v0, v26, 8, v17
	v_lshlrev_b32_e32 v1, 16, v27
	v_lshlrev_b32_e32 v2, 24, v30
	v_or3_b32 v1, v0, v1, v2
	v_lshl_or_b32 v0, v44, 8, v21
	v_lshlrev_b32_e32 v2, 16, v56
	v_lshlrev_b32_e32 v3, 24, v62
	v_add_co_u32_e32 v11, vcc, v51, v53
	v_or3_b32 v0, v0, v2, v3
	v_lshl_or_b32 v2, v4, 8, v41
	v_lshlrev_b32_e32 v3, 16, v5
	v_lshlrev_b32_e32 v4, 24, v47
	v_addc_co_u32_e32 v12, vcc, v52, v54, vcc
	v_or3_b32 v2, v2, v3, v4
	v_lshlrev_b32_e32 v3, 24, v10
	v_lshlrev_b32_e32 v4, 16, v39
	v_lshl_or_b32 v5, v23, 8, v22
	v_or3_b32 v3, v5, v4, v3
	global_store_dwordx4 v[11:12], v[6:9], off glc slc
	global_store_dwordx4 v[11:12], v[0:3], off offset:1024 glc slc
	buffer_load_dword v0, off, s[0:3], s33 offset:84 ; 4-byte Folded Reload
	s_waitcnt vmcnt(0)
	v_sub_u32_e32 v16, v16, v0
	v_cmp_gt_i32_e32 vcc, 1, v16
	v_lshlrev_b32_e32 v0, 11, v0
	s_or_b64 s[74:75], vcc, s[74:75]
	v_add_co_u32_e32 v53, vcc, v53, v0
	v_addc_co_u32_e32 v54, vcc, 0, v54, vcc
	s_andn2_b64 exec, exec, s[74:75]
	s_cbranch_execz .LBB2_5478
.LBB2_4766:                             ;   Parent Loop BB2_4691 Depth=1
                                        ; =>  This Inner Loop Header: Depth=2
	s_cmpk_lt_i32 s92, 0x80
	s_cbranch_scc1 .LBB2_4770
; %bb.4767:                             ;   in Loop: Header=BB2_4766 Depth=2
	s_and_b32 s20, 0xffff, s92
	s_cmpk_eq_i32 s20, 0x80
	s_mov_b64 s[20:21], -1
	s_cbranch_scc0 .LBB2_4769
; %bb.4768:                             ;   in Loop: Header=BB2_4766 Depth=2
	s_mov_b64 s[20:21], 0
.LBB2_4769:                             ;   in Loop: Header=BB2_4766 Depth=2
	s_brev_b32 s78, 1
	s_branch .LBB2_4772
.LBB2_4770:                             ;   in Loop: Header=BB2_4766 Depth=2
	s_mov_b64 s[20:21], 0
	s_brev_b32 s78, 1
	s_cbranch_execz .LBB2_4772
; %bb.4771:                             ;   in Loop: Header=BB2_4766 Depth=2
	s_and_b32 s20, 0xffff, s92
	s_cmp_lg_u32 s20, 0
	s_mov_b32 s78, 0
	s_cselect_b64 s[20:21], -1, 0
.LBB2_4772:                             ;   in Loop: Header=BB2_4766 Depth=2
	s_andn2_b64 vcc, exec, s[20:21]
	v_mov_b32_e32 v55, s78
	s_cbranch_vccnz .LBB2_4774
; %bb.4773:                             ;   in Loop: Header=BB2_4766 Depth=2
	buffer_load_dword v55, off, s[0:3], s33 offset:136 ; 4-byte Folded Reload
.LBB2_4774:                             ;   in Loop: Header=BB2_4766 Depth=2
	s_waitcnt vmcnt(1)
	v_add_co_u32_e32 v39, vcc, v49, v53
	s_waitcnt vmcnt(0)
	v_addc_co_u32_e32 v40, vcc, v50, v54, vcc
	global_load_dwordx4 v[10:13], v[39:40], off glc slc
	v_mov_b32_e32 v0, 0
	s_waitcnt vmcnt(0)
	v_cmp_ne_u16_sdwa s[76:77], v10, v33 src0_sel:BYTE_0 src1_sel:DWORD
	s_and_saveexec_b64 s[20:21], s[76:77]
	s_cbranch_execz .LBB2_4780
; %bb.4775:                             ;   in Loop: Header=BB2_4766 Depth=2
	v_cmp_ne_u16_sdwa s[78:79], v10, s48 src0_sel:BYTE_0 src1_sel:DWORD
	v_bfrev_b32_e32 v0, 1
	s_and_saveexec_b64 s[76:77], s[78:79]
	s_cbranch_execz .LBB2_4779
; %bb.4776:                             ;   in Loop: Header=BB2_4766 Depth=2
	v_and_b32_e32 v1, 0x7f, v10
	v_cmp_ne_u32_e32 vcc, s39, v1
	v_mov_b32_e32 v0, 0x7f800001
	s_and_saveexec_b64 s[78:79], vcc
	s_cbranch_execz .LBB2_4778
; %bb.4777:                             ;   in Loop: Header=BB2_4766 Depth=2
	v_and_b32_e32 v0, 7, v10
	v_ffbh_u32_e32 v0, v0
	v_min_u32_e32 v0, 32, v0
	v_lshrrev_b32_e32 v2, 3, v1
	v_cmp_gt_u32_e32 vcc, 8, v1
	v_subrev_u32_e32 v1, 28, v0
	v_sub_u32_e32 v0, 29, v0
	v_cndmask_b32_e32 v2, v2, v0, vcc
	v_cndmask_b32_e32 v0, 0, v1, vcc
	v_lshlrev_b64 v[0:1], v0, v[10:11]
	v_lshlrev_b32_e32 v1, 24, v10
	v_lshlrev_b32_e32 v0, 20, v0
	v_and_b32_e32 v0, 0x700000, v0
	v_and_b32_e32 v1, 0x80000000, v1
	v_lshl_add_u32 v2, v2, 23, v59
	v_or3_b32 v0, v1, v2, v0
.LBB2_4778:                             ;   in Loop: Header=BB2_4766 Depth=2
	s_or_b64 exec, exec, s[78:79]
.LBB2_4779:                             ;   in Loop: Header=BB2_4766 Depth=2
	s_or_b64 exec, exec, s[76:77]
.LBB2_4780:                             ;   in Loop: Header=BB2_4766 Depth=2
	s_or_b64 exec, exec, s[20:21]
	v_mul_f32_e32 v1, v55, v0
	v_and_b32_e32 v32, 0x7f800000, v1
	v_cmp_ne_u64_e32 vcc, s[46:47], v[32:33]
                                        ; implicit-def: $vgpr46
	s_and_saveexec_b64 s[20:21], vcc
	s_xor_b64 s[76:77], exec, s[20:21]
	s_cbranch_execz .LBB2_4794
; %bb.4781:                             ;   in Loop: Header=BB2_4766 Depth=2
	v_and_b32_e32 v32, 0x7fffffff, v1
	v_cmp_gt_u64_e32 vcc, s[56:57], v[32:33]
	v_and_b32_sdwa v0, v1, s48 dst_sel:DWORD dst_unused:UNUSED_PAD src0_sel:BYTE_3 src1_sel:DWORD
                                        ; implicit-def: $vgpr46
	s_and_saveexec_b64 s[20:21], vcc
	s_xor_b64 s[78:79], exec, s[20:21]
	s_cbranch_execz .LBB2_4791
; %bb.4782:                             ;   in Loop: Header=BB2_4766 Depth=2
	v_mov_b32_e32 v46, 0
	v_cmp_ne_u32_e32 vcc, 0, v1
	s_and_saveexec_b64 s[88:89], vcc
	s_cbranch_execz .LBB2_4790
; %bb.4783:                             ;   in Loop: Header=BB2_4766 Depth=2
	v_and_b32_e32 v3, 0x7fffff, v1
	v_bfe_u32 v1, v1, 23, 8
	v_cmp_gt_u32_e64 s[20:21], s49, v1
	v_sub_u32_e32 v2, 0x79, v1
	v_cmp_eq_u32_e32 vcc, 0, v1
	v_cndmask_b32_e64 v2, 0, v2, s[20:21]
	v_or_b32_e32 v4, 0x800000, v3
	v_cndmask_b32_e32 v2, v2, v60, vcc
	v_cndmask_b32_e32 v32, v4, v3, vcc
	v_add_u32_e32 v3, 20, v2
	v_lshlrev_b64 v[3:4], v3, -1
	v_add_u32_e32 v5, 19, v2
	v_lshlrev_b64 v[5:6], v5, 1
	v_lshrrev_b64 v[41:42], v2, v[32:33]
	v_bfi_b32 v4, v4, 0, 0
	v_bfi_b32 v3, v3, 0, v32
	v_cmp_eq_u64_e64 s[20:21], v[3:4], v[5:6]
	v_mov_b32_e32 v43, v42
	v_mov_b32_e32 v42, v41
	s_and_saveexec_b64 s[90:91], s[20:21]
; %bb.4784:                             ;   in Loop: Header=BB2_4766 Depth=2
	v_bfe_u32 v3, v41, 20, 1
	v_add_co_u32_e64 v3, s[20:21], v41, v3
	v_add_co_u32_e64 v42, s[20:21], -1, v3
; %bb.4785:                             ;   in Loop: Header=BB2_4766 Depth=2
	s_or_b64 exec, exec, s[90:91]
	v_add_u32_e32 v1, 0xffffff81, v1
	v_cndmask_b32_e32 v1, v1, v61, vcc
	v_lshrrev_b32_e32 v3, 23, v41
	v_add3_u32 v3, v2, v1, v3
	v_add_u32_e32 v2, 6, v3
	v_and_b32_e32 v1, 0xfffff, v42
	v_add_u32_e32 v32, v1, v41
	v_cmp_ne_u32_e32 vcc, 0, v2
                                        ; implicit-def: $vgpr41_vgpr42
                                        ; implicit-def: $vgpr1
	s_and_saveexec_b64 s[20:21], vcc
	s_xor_b64 s[20:21], exec, s[20:21]
; %bb.4786:                             ;   in Loop: Header=BB2_4766 Depth=2
	v_cmp_lt_u64_e32 vcc, s[58:59], v[32:33]
	v_add_u32_e32 v1, 7, v3
	v_cndmask_b32_e32 v1, v2, v1, vcc
	v_cndmask_b32_e64 v2, 0, 1, vcc
	v_lshrrev_b64 v[41:42], v2, v[32:33]
; %bb.4787:                             ;   in Loop: Header=BB2_4766 Depth=2
	s_andn2_saveexec_b64 s[20:21], s[20:21]
; %bb.4788:                             ;   in Loop: Header=BB2_4766 Depth=2
	v_mov_b32_e32 v42, v33
	v_bfe_u32 v1, v32, 23, 1
	v_mov_b32_e32 v41, v32
; %bb.4789:                             ;   in Loop: Header=BB2_4766 Depth=2
	s_or_b64 exec, exec, s[20:21]
	v_lshrrev_b64 v[2:3], 20, v[41:42]
	v_cmp_gt_i32_e32 vcc, 16, v1
	v_cndmask_b32_e32 v3, 0, v3, vcc
	v_cndmask_b32_e32 v2, 7, v2, vcc
	v_cmp_eq_u32_e32 vcc, 0, v1
	v_min_i32_e32 v1, 15, v1
	v_cmp_eq_u64_e64 s[20:21], 0, v[2:3]
	v_lshlrev_b32_e32 v1, 3, v1
	v_and_b32_e32 v1, 0xf8, v1
	v_and_or_b32 v1, v2, 7, v1
	s_and_b64 s[20:21], vcc, s[20:21]
	v_cndmask_b32_e64 v1, v1, 0, s[20:21]
	v_or_b32_e32 v46, v1, v0
.LBB2_4790:                             ;   in Loop: Header=BB2_4766 Depth=2
	s_or_b64 exec, exec, s[88:89]
                                        ; implicit-def: $vgpr0
.LBB2_4791:                             ;   in Loop: Header=BB2_4766 Depth=2
	s_andn2_saveexec_b64 s[20:21], s[78:79]
; %bb.4792:                             ;   in Loop: Header=BB2_4766 Depth=2
	v_or_b32_e32 v46, 0x7e, v0
; %bb.4793:                             ;   in Loop: Header=BB2_4766 Depth=2
	s_or_b64 exec, exec, s[20:21]
                                        ; implicit-def: $vgpr1
.LBB2_4794:                             ;   in Loop: Header=BB2_4766 Depth=2
	s_andn2_saveexec_b64 s[20:21], s[76:77]
; %bb.4795:                             ;   in Loop: Header=BB2_4766 Depth=2
	v_or_b32_sdwa v46, v1, s39 dst_sel:DWORD dst_unused:UNUSED_PAD src0_sel:BYTE_3 src1_sel:DWORD
; %bb.4796:                             ;   in Loop: Header=BB2_4766 Depth=2
	s_or_b64 exec, exec, s[20:21]
	v_lshrrev_b16_e32 v30, 8, v10
	v_cmp_ne_u16_e32 vcc, 0, v30
	v_mov_b32_e32 v0, 0
	s_and_saveexec_b64 s[20:21], vcc
	s_cbranch_execz .LBB2_4802
; %bb.4797:                             ;   in Loop: Header=BB2_4766 Depth=2
	v_cmp_ne_u16_e32 vcc, s48, v30
	v_bfrev_b32_e32 v0, 1
	s_and_saveexec_b64 s[76:77], vcc
	s_cbranch_execz .LBB2_4801
; %bb.4798:                             ;   in Loop: Header=BB2_4766 Depth=2
	v_and_b32_e32 v1, 0x7f, v30
	v_cmp_ne_u32_e32 vcc, s39, v1
	v_mov_b32_e32 v0, 0x7f800001
	s_and_saveexec_b64 s[78:79], vcc
	s_cbranch_execz .LBB2_4800
; %bb.4799:                             ;   in Loop: Header=BB2_4766 Depth=2
	v_and_b32_e32 v2, 7, v30
	v_ffbh_u32_e32 v0, v2
	v_min_u32_e32 v4, 32, v0
	v_subrev_u32_e32 v0, 28, v4
	v_lshrrev_b32_e32 v3, 3, v1
	v_cmp_gt_u32_e32 vcc, 8, v1
	v_lshlrev_b64 v[0:1], v0, v[30:31]
	v_sub_u32_e32 v1, 29, v4
	v_and_b32_e32 v0, 7, v0
	v_cndmask_b32_e32 v1, v3, v1, vcc
	v_cndmask_b32_e32 v0, v2, v0, vcc
	v_lshlrev_b32_e32 v2, 16, v10
	v_lshlrev_b32_e32 v0, 20, v0
	v_and_b32_e32 v2, 0x80000000, v2
	v_lshl_add_u32 v1, v1, 23, v59
	v_or3_b32 v0, v2, v1, v0
.LBB2_4800:                             ;   in Loop: Header=BB2_4766 Depth=2
	s_or_b64 exec, exec, s[78:79]
.LBB2_4801:                             ;   in Loop: Header=BB2_4766 Depth=2
	s_or_b64 exec, exec, s[76:77]
.LBB2_4802:                             ;   in Loop: Header=BB2_4766 Depth=2
	s_or_b64 exec, exec, s[20:21]
	v_mul_f32_e32 v1, v55, v0
	v_and_b32_e32 v32, 0x7f800000, v1
	v_cmp_ne_u64_e32 vcc, s[46:47], v[32:33]
                                        ; implicit-def: $vgpr58
	s_and_saveexec_b64 s[20:21], vcc
	s_xor_b64 s[76:77], exec, s[20:21]
	s_cbranch_execz .LBB2_4816
; %bb.4803:                             ;   in Loop: Header=BB2_4766 Depth=2
	v_and_b32_e32 v32, 0x7fffffff, v1
	v_cmp_gt_u64_e32 vcc, s[56:57], v[32:33]
	v_and_b32_sdwa v0, v1, s48 dst_sel:DWORD dst_unused:UNUSED_PAD src0_sel:BYTE_3 src1_sel:DWORD
                                        ; implicit-def: $vgpr58
	s_and_saveexec_b64 s[20:21], vcc
	s_xor_b64 s[78:79], exec, s[20:21]
	s_cbranch_execz .LBB2_4813
; %bb.4804:                             ;   in Loop: Header=BB2_4766 Depth=2
	v_mov_b32_e32 v58, 0
	v_cmp_ne_u32_e32 vcc, 0, v1
	s_and_saveexec_b64 s[88:89], vcc
	s_cbranch_execz .LBB2_4812
; %bb.4805:                             ;   in Loop: Header=BB2_4766 Depth=2
	v_and_b32_e32 v3, 0x7fffff, v1
	v_bfe_u32 v1, v1, 23, 8
	v_cmp_gt_u32_e64 s[20:21], s49, v1
	v_sub_u32_e32 v2, 0x79, v1
	v_cmp_eq_u32_e32 vcc, 0, v1
	v_cndmask_b32_e64 v2, 0, v2, s[20:21]
	v_or_b32_e32 v4, 0x800000, v3
	v_cndmask_b32_e32 v2, v2, v60, vcc
	v_cndmask_b32_e32 v32, v4, v3, vcc
	v_add_u32_e32 v3, 20, v2
	v_lshlrev_b64 v[3:4], v3, -1
	v_add_u32_e32 v5, 19, v2
	v_lshlrev_b64 v[5:6], v5, 1
	v_lshrrev_b64 v[41:42], v2, v[32:33]
	v_bfi_b32 v4, v4, 0, 0
	v_bfi_b32 v3, v3, 0, v32
	v_cmp_eq_u64_e64 s[20:21], v[3:4], v[5:6]
	v_mov_b32_e32 v43, v42
	v_mov_b32_e32 v42, v41
	s_and_saveexec_b64 s[90:91], s[20:21]
; %bb.4806:                             ;   in Loop: Header=BB2_4766 Depth=2
	v_bfe_u32 v3, v41, 20, 1
	v_add_co_u32_e64 v3, s[20:21], v41, v3
	v_add_co_u32_e64 v42, s[20:21], -1, v3
; %bb.4807:                             ;   in Loop: Header=BB2_4766 Depth=2
	s_or_b64 exec, exec, s[90:91]
	v_add_u32_e32 v1, 0xffffff81, v1
	v_cndmask_b32_e32 v1, v1, v61, vcc
	v_lshrrev_b32_e32 v3, 23, v41
	v_add3_u32 v3, v2, v1, v3
	v_add_u32_e32 v2, 6, v3
	v_and_b32_e32 v1, 0xfffff, v42
	v_add_u32_e32 v32, v1, v41
	v_cmp_ne_u32_e32 vcc, 0, v2
                                        ; implicit-def: $vgpr41_vgpr42
                                        ; implicit-def: $vgpr1
	s_and_saveexec_b64 s[20:21], vcc
	s_xor_b64 s[20:21], exec, s[20:21]
; %bb.4808:                             ;   in Loop: Header=BB2_4766 Depth=2
	v_cmp_lt_u64_e32 vcc, s[58:59], v[32:33]
	v_add_u32_e32 v1, 7, v3
	v_cndmask_b32_e32 v1, v2, v1, vcc
	v_cndmask_b32_e64 v2, 0, 1, vcc
	v_lshrrev_b64 v[41:42], v2, v[32:33]
; %bb.4809:                             ;   in Loop: Header=BB2_4766 Depth=2
	s_andn2_saveexec_b64 s[20:21], s[20:21]
; %bb.4810:                             ;   in Loop: Header=BB2_4766 Depth=2
	v_mov_b32_e32 v42, v33
	v_bfe_u32 v1, v32, 23, 1
	v_mov_b32_e32 v41, v32
; %bb.4811:                             ;   in Loop: Header=BB2_4766 Depth=2
	s_or_b64 exec, exec, s[20:21]
	v_lshrrev_b64 v[2:3], 20, v[41:42]
	v_cmp_gt_i32_e32 vcc, 16, v1
	v_cndmask_b32_e32 v3, 0, v3, vcc
	v_cndmask_b32_e32 v2, 7, v2, vcc
	v_cmp_eq_u32_e32 vcc, 0, v1
	v_min_i32_e32 v1, 15, v1
	v_cmp_eq_u64_e64 s[20:21], 0, v[2:3]
	v_lshlrev_b32_e32 v1, 3, v1
	v_and_b32_e32 v1, 0xf8, v1
	v_and_or_b32 v1, v2, 7, v1
	s_and_b64 s[20:21], vcc, s[20:21]
	v_cndmask_b32_e64 v1, v1, 0, s[20:21]
	v_or_b32_e32 v58, v1, v0
.LBB2_4812:                             ;   in Loop: Header=BB2_4766 Depth=2
	s_or_b64 exec, exec, s[88:89]
                                        ; implicit-def: $vgpr0
.LBB2_4813:                             ;   in Loop: Header=BB2_4766 Depth=2
	s_andn2_saveexec_b64 s[20:21], s[78:79]
; %bb.4814:                             ;   in Loop: Header=BB2_4766 Depth=2
	v_or_b32_e32 v58, 0x7e, v0
; %bb.4815:                             ;   in Loop: Header=BB2_4766 Depth=2
	s_or_b64 exec, exec, s[20:21]
                                        ; implicit-def: $vgpr1
.LBB2_4816:                             ;   in Loop: Header=BB2_4766 Depth=2
	s_andn2_saveexec_b64 s[20:21], s[76:77]
; %bb.4817:                             ;   in Loop: Header=BB2_4766 Depth=2
	v_or_b32_sdwa v58, v1, s39 dst_sel:DWORD dst_unused:UNUSED_PAD src0_sel:BYTE_3 src1_sel:DWORD
; %bb.4818:                             ;   in Loop: Header=BB2_4766 Depth=2
	s_or_b64 exec, exec, s[20:21]
	v_lshrrev_b32_e32 v30, 16, v10
	v_cmp_ne_u16_sdwa s[76:77], v30, v33 src0_sel:BYTE_0 src1_sel:DWORD
	v_mov_b32_e32 v0, 0
	s_and_saveexec_b64 s[20:21], s[76:77]
	s_cbranch_execz .LBB2_4824
; %bb.4819:                             ;   in Loop: Header=BB2_4766 Depth=2
	v_cmp_ne_u16_sdwa s[78:79], v30, s48 src0_sel:BYTE_0 src1_sel:DWORD
	v_bfrev_b32_e32 v0, 1
	s_and_saveexec_b64 s[76:77], s[78:79]
	s_cbranch_execz .LBB2_4823
; %bb.4820:                             ;   in Loop: Header=BB2_4766 Depth=2
	v_bfe_u32 v1, v10, 16, 7
	v_cmp_ne_u32_e32 vcc, s39, v1
	v_mov_b32_e32 v0, 0x7f800001
	s_and_saveexec_b64 s[78:79], vcc
	s_cbranch_execz .LBB2_4822
; %bb.4821:                             ;   in Loop: Header=BB2_4766 Depth=2
	v_and_b32_e32 v2, 7, v30
	v_ffbh_u32_e32 v0, v2
	v_min_u32_e32 v4, 32, v0
	v_subrev_u32_e32 v0, 28, v4
	v_lshrrev_b32_e32 v3, 3, v1
	v_cmp_gt_u32_e32 vcc, 8, v1
	v_lshlrev_b64 v[0:1], v0, v[30:31]
	v_sub_u32_e32 v1, 29, v4
	v_and_b32_e32 v0, 7, v0
	v_cndmask_b32_e32 v1, v3, v1, vcc
	v_cndmask_b32_e32 v0, v2, v0, vcc
	v_lshlrev_b32_e32 v2, 24, v30
	v_lshlrev_b32_e32 v0, 20, v0
	v_and_b32_e32 v2, 0x80000000, v2
	v_lshl_add_u32 v1, v1, 23, v59
	v_or3_b32 v0, v2, v1, v0
.LBB2_4822:                             ;   in Loop: Header=BB2_4766 Depth=2
	s_or_b64 exec, exec, s[78:79]
.LBB2_4823:                             ;   in Loop: Header=BB2_4766 Depth=2
	s_or_b64 exec, exec, s[76:77]
.LBB2_4824:                             ;   in Loop: Header=BB2_4766 Depth=2
	s_or_b64 exec, exec, s[20:21]
	v_mul_f32_e32 v1, v55, v0
	v_and_b32_e32 v32, 0x7f800000, v1
	v_cmp_ne_u64_e32 vcc, s[46:47], v[32:33]
                                        ; implicit-def: $vgpr31
	s_and_saveexec_b64 s[20:21], vcc
	s_xor_b64 s[76:77], exec, s[20:21]
	s_cbranch_execz .LBB2_4838
; %bb.4825:                             ;   in Loop: Header=BB2_4766 Depth=2
	v_and_b32_e32 v32, 0x7fffffff, v1
	v_cmp_gt_u64_e32 vcc, s[56:57], v[32:33]
	v_and_b32_sdwa v0, v1, s48 dst_sel:DWORD dst_unused:UNUSED_PAD src0_sel:BYTE_3 src1_sel:DWORD
                                        ; implicit-def: $vgpr31
	s_and_saveexec_b64 s[20:21], vcc
	s_xor_b64 s[78:79], exec, s[20:21]
	s_cbranch_execz .LBB2_4835
; %bb.4826:                             ;   in Loop: Header=BB2_4766 Depth=2
	v_mov_b32_e32 v31, 0
	v_cmp_ne_u32_e32 vcc, 0, v1
	s_and_saveexec_b64 s[88:89], vcc
	s_cbranch_execz .LBB2_4834
; %bb.4827:                             ;   in Loop: Header=BB2_4766 Depth=2
	v_and_b32_e32 v3, 0x7fffff, v1
	v_bfe_u32 v1, v1, 23, 8
	v_cmp_gt_u32_e64 s[20:21], s49, v1
	v_sub_u32_e32 v2, 0x79, v1
	v_cmp_eq_u32_e32 vcc, 0, v1
	v_cndmask_b32_e64 v2, 0, v2, s[20:21]
	v_or_b32_e32 v4, 0x800000, v3
	v_cndmask_b32_e32 v2, v2, v60, vcc
	v_cndmask_b32_e32 v32, v4, v3, vcc
	v_add_u32_e32 v3, 20, v2
	v_lshlrev_b64 v[3:4], v3, -1
	v_add_u32_e32 v5, 19, v2
	v_lshlrev_b64 v[5:6], v5, 1
	v_lshrrev_b64 v[41:42], v2, v[32:33]
	v_bfi_b32 v4, v4, 0, 0
	v_bfi_b32 v3, v3, 0, v32
	v_cmp_eq_u64_e64 s[20:21], v[3:4], v[5:6]
	v_mov_b32_e32 v43, v42
	v_mov_b32_e32 v42, v41
	s_and_saveexec_b64 s[90:91], s[20:21]
; %bb.4828:                             ;   in Loop: Header=BB2_4766 Depth=2
	v_bfe_u32 v3, v41, 20, 1
	v_add_co_u32_e64 v3, s[20:21], v41, v3
	v_add_co_u32_e64 v42, s[20:21], -1, v3
; %bb.4829:                             ;   in Loop: Header=BB2_4766 Depth=2
	s_or_b64 exec, exec, s[90:91]
	v_add_u32_e32 v1, 0xffffff81, v1
	v_cndmask_b32_e32 v1, v1, v61, vcc
	v_lshrrev_b32_e32 v3, 23, v41
	v_add3_u32 v3, v2, v1, v3
	v_add_u32_e32 v2, 6, v3
	v_and_b32_e32 v1, 0xfffff, v42
	v_add_u32_e32 v32, v1, v41
	v_cmp_ne_u32_e32 vcc, 0, v2
                                        ; implicit-def: $vgpr41_vgpr42
                                        ; implicit-def: $vgpr1
	s_and_saveexec_b64 s[20:21], vcc
	s_xor_b64 s[20:21], exec, s[20:21]
; %bb.4830:                             ;   in Loop: Header=BB2_4766 Depth=2
	v_cmp_lt_u64_e32 vcc, s[58:59], v[32:33]
	v_add_u32_e32 v1, 7, v3
	v_cndmask_b32_e32 v1, v2, v1, vcc
	v_cndmask_b32_e64 v2, 0, 1, vcc
	v_lshrrev_b64 v[41:42], v2, v[32:33]
; %bb.4831:                             ;   in Loop: Header=BB2_4766 Depth=2
	s_andn2_saveexec_b64 s[20:21], s[20:21]
; %bb.4832:                             ;   in Loop: Header=BB2_4766 Depth=2
	v_mov_b32_e32 v42, v33
	v_bfe_u32 v1, v32, 23, 1
	v_mov_b32_e32 v41, v32
; %bb.4833:                             ;   in Loop: Header=BB2_4766 Depth=2
	s_or_b64 exec, exec, s[20:21]
	v_lshrrev_b64 v[2:3], 20, v[41:42]
	v_cmp_gt_i32_e32 vcc, 16, v1
	v_cndmask_b32_e32 v3, 0, v3, vcc
	v_cndmask_b32_e32 v2, 7, v2, vcc
	v_cmp_eq_u32_e32 vcc, 0, v1
	v_min_i32_e32 v1, 15, v1
	v_cmp_eq_u64_e64 s[20:21], 0, v[2:3]
	v_lshlrev_b32_e32 v1, 3, v1
	v_and_b32_e32 v1, 0xf8, v1
	v_and_or_b32 v1, v2, 7, v1
	s_and_b64 s[20:21], vcc, s[20:21]
	v_cndmask_b32_e64 v1, v1, 0, s[20:21]
	v_or_b32_e32 v31, v1, v0
.LBB2_4834:                             ;   in Loop: Header=BB2_4766 Depth=2
	s_or_b64 exec, exec, s[88:89]
                                        ; implicit-def: $vgpr0
.LBB2_4835:                             ;   in Loop: Header=BB2_4766 Depth=2
	s_andn2_saveexec_b64 s[20:21], s[78:79]
; %bb.4836:                             ;   in Loop: Header=BB2_4766 Depth=2
	v_or_b32_e32 v31, 0x7e, v0
; %bb.4837:                             ;   in Loop: Header=BB2_4766 Depth=2
	s_or_b64 exec, exec, s[20:21]
                                        ; implicit-def: $vgpr1
.LBB2_4838:                             ;   in Loop: Header=BB2_4766 Depth=2
	s_andn2_saveexec_b64 s[20:21], s[76:77]
; %bb.4839:                             ;   in Loop: Header=BB2_4766 Depth=2
	v_or_b32_sdwa v31, v1, s39 dst_sel:DWORD dst_unused:UNUSED_PAD src0_sel:BYTE_3 src1_sel:DWORD
; %bb.4840:                             ;   in Loop: Header=BB2_4766 Depth=2
	s_or_b64 exec, exec, s[20:21]
	v_cmp_lt_u32_e32 vcc, s61, v10
	v_mov_b32_e32 v0, 0
	s_and_saveexec_b64 s[20:21], vcc
	s_cbranch_execz .LBB2_4846
; %bb.4841:                             ;   in Loop: Header=BB2_4766 Depth=2
	v_lshrrev_b32_e32 v30, 24, v10
	v_cmp_ne_u32_e32 vcc, s48, v30
	v_bfrev_b32_e32 v0, 1
	s_and_saveexec_b64 s[76:77], vcc
	s_cbranch_execz .LBB2_4845
; %bb.4842:                             ;   in Loop: Header=BB2_4766 Depth=2
	v_bfe_u32 v1, v10, 24, 7
	v_cmp_ne_u32_e32 vcc, s39, v1
	v_mov_b32_e32 v0, 0x7f800001
	s_and_saveexec_b64 s[78:79], vcc
	s_cbranch_execz .LBB2_4844
; %bb.4843:                             ;   in Loop: Header=BB2_4766 Depth=2
	v_and_b32_e32 v2, 7, v30
	v_ffbh_u32_e32 v0, v2
	v_min_u32_e32 v4, 32, v0
	v_subrev_u32_e32 v0, 28, v4
	v_lshrrev_b32_e32 v3, 3, v1
	v_cmp_gt_u32_e32 vcc, 8, v1
	v_lshlrev_b64 v[0:1], v0, v[30:31]
	v_sub_u32_e32 v1, 29, v4
	v_and_b32_e32 v0, 7, v0
	v_cndmask_b32_e32 v1, v3, v1, vcc
	v_cndmask_b32_e32 v0, v2, v0, vcc
	v_lshlrev_b32_e32 v2, 24, v30
	v_lshlrev_b32_e32 v0, 20, v0
	v_and_b32_e32 v2, 0x80000000, v2
	v_lshl_add_u32 v1, v1, 23, v59
	v_or3_b32 v0, v2, v1, v0
.LBB2_4844:                             ;   in Loop: Header=BB2_4766 Depth=2
	s_or_b64 exec, exec, s[78:79]
.LBB2_4845:                             ;   in Loop: Header=BB2_4766 Depth=2
	s_or_b64 exec, exec, s[76:77]
.LBB2_4846:                             ;   in Loop: Header=BB2_4766 Depth=2
	s_or_b64 exec, exec, s[20:21]
	v_mul_f32_e32 v1, v55, v0
	v_and_b32_e32 v32, 0x7f800000, v1
	v_cmp_ne_u64_e32 vcc, s[46:47], v[32:33]
                                        ; implicit-def: $vgpr34
	s_and_saveexec_b64 s[20:21], vcc
	s_xor_b64 s[76:77], exec, s[20:21]
	s_cbranch_execz .LBB2_4860
; %bb.4847:                             ;   in Loop: Header=BB2_4766 Depth=2
	v_and_b32_e32 v32, 0x7fffffff, v1
	v_cmp_gt_u64_e32 vcc, s[56:57], v[32:33]
	v_and_b32_sdwa v0, v1, s48 dst_sel:DWORD dst_unused:UNUSED_PAD src0_sel:BYTE_3 src1_sel:DWORD
                                        ; implicit-def: $vgpr34
	s_and_saveexec_b64 s[20:21], vcc
	s_xor_b64 s[78:79], exec, s[20:21]
	s_cbranch_execz .LBB2_4857
; %bb.4848:                             ;   in Loop: Header=BB2_4766 Depth=2
	v_mov_b32_e32 v34, 0
	v_cmp_ne_u32_e32 vcc, 0, v1
	s_and_saveexec_b64 s[88:89], vcc
	s_cbranch_execz .LBB2_4856
; %bb.4849:                             ;   in Loop: Header=BB2_4766 Depth=2
	v_and_b32_e32 v3, 0x7fffff, v1
	v_bfe_u32 v1, v1, 23, 8
	v_cmp_gt_u32_e64 s[20:21], s49, v1
	v_sub_u32_e32 v2, 0x79, v1
	v_cmp_eq_u32_e32 vcc, 0, v1
	v_cndmask_b32_e64 v2, 0, v2, s[20:21]
	v_or_b32_e32 v4, 0x800000, v3
	v_cndmask_b32_e32 v2, v2, v60, vcc
	v_cndmask_b32_e32 v32, v4, v3, vcc
	v_add_u32_e32 v3, 20, v2
	v_lshlrev_b64 v[3:4], v3, -1
	v_add_u32_e32 v5, 19, v2
	v_lshlrev_b64 v[5:6], v5, 1
	v_lshrrev_b64 v[41:42], v2, v[32:33]
	v_bfi_b32 v4, v4, 0, 0
	v_bfi_b32 v3, v3, 0, v32
	v_cmp_eq_u64_e64 s[20:21], v[3:4], v[5:6]
	v_mov_b32_e32 v43, v42
	v_mov_b32_e32 v42, v41
	s_and_saveexec_b64 s[90:91], s[20:21]
; %bb.4850:                             ;   in Loop: Header=BB2_4766 Depth=2
	v_bfe_u32 v3, v41, 20, 1
	v_add_co_u32_e64 v3, s[20:21], v41, v3
	v_add_co_u32_e64 v42, s[20:21], -1, v3
; %bb.4851:                             ;   in Loop: Header=BB2_4766 Depth=2
	s_or_b64 exec, exec, s[90:91]
	v_add_u32_e32 v1, 0xffffff81, v1
	v_cndmask_b32_e32 v1, v1, v61, vcc
	v_lshrrev_b32_e32 v3, 23, v41
	v_add3_u32 v3, v2, v1, v3
	v_add_u32_e32 v2, 6, v3
	v_and_b32_e32 v1, 0xfffff, v42
	v_add_u32_e32 v32, v1, v41
	v_cmp_ne_u32_e32 vcc, 0, v2
                                        ; implicit-def: $vgpr41_vgpr42
                                        ; implicit-def: $vgpr1
	s_and_saveexec_b64 s[20:21], vcc
	s_xor_b64 s[20:21], exec, s[20:21]
; %bb.4852:                             ;   in Loop: Header=BB2_4766 Depth=2
	v_cmp_lt_u64_e32 vcc, s[58:59], v[32:33]
	v_add_u32_e32 v1, 7, v3
	v_cndmask_b32_e32 v1, v2, v1, vcc
	v_cndmask_b32_e64 v2, 0, 1, vcc
	v_lshrrev_b64 v[41:42], v2, v[32:33]
; %bb.4853:                             ;   in Loop: Header=BB2_4766 Depth=2
	s_andn2_saveexec_b64 s[20:21], s[20:21]
; %bb.4854:                             ;   in Loop: Header=BB2_4766 Depth=2
	v_mov_b32_e32 v42, v33
	v_bfe_u32 v1, v32, 23, 1
	v_mov_b32_e32 v41, v32
; %bb.4855:                             ;   in Loop: Header=BB2_4766 Depth=2
	s_or_b64 exec, exec, s[20:21]
	v_lshrrev_b64 v[2:3], 20, v[41:42]
	v_cmp_gt_i32_e32 vcc, 16, v1
	v_cndmask_b32_e32 v3, 0, v3, vcc
	v_cndmask_b32_e32 v2, 7, v2, vcc
	v_cmp_eq_u32_e32 vcc, 0, v1
	v_min_i32_e32 v1, 15, v1
	v_cmp_eq_u64_e64 s[20:21], 0, v[2:3]
	v_lshlrev_b32_e32 v1, 3, v1
	v_and_b32_e32 v1, 0xf8, v1
	v_and_or_b32 v1, v2, 7, v1
	s_and_b64 s[20:21], vcc, s[20:21]
	v_cndmask_b32_e64 v1, v1, 0, s[20:21]
	v_or_b32_e32 v34, v1, v0
.LBB2_4856:                             ;   in Loop: Header=BB2_4766 Depth=2
	s_or_b64 exec, exec, s[88:89]
                                        ; implicit-def: $vgpr0
.LBB2_4857:                             ;   in Loop: Header=BB2_4766 Depth=2
	s_andn2_saveexec_b64 s[20:21], s[78:79]
; %bb.4858:                             ;   in Loop: Header=BB2_4766 Depth=2
	v_or_b32_e32 v34, 0x7e, v0
; %bb.4859:                             ;   in Loop: Header=BB2_4766 Depth=2
	s_or_b64 exec, exec, s[20:21]
                                        ; implicit-def: $vgpr1
.LBB2_4860:                             ;   in Loop: Header=BB2_4766 Depth=2
	s_andn2_saveexec_b64 s[20:21], s[76:77]
; %bb.4861:                             ;   in Loop: Header=BB2_4766 Depth=2
	v_or_b32_sdwa v34, v1, s39 dst_sel:DWORD dst_unused:UNUSED_PAD src0_sel:BYTE_3 src1_sel:DWORD
; %bb.4862:                             ;   in Loop: Header=BB2_4766 Depth=2
	s_or_b64 exec, exec, s[20:21]
	v_mov_b32_e32 v32, v11
	v_cmp_ne_u16_sdwa s[76:77], v11, v33 src0_sel:BYTE_0 src1_sel:DWORD
	v_mov_b32_e32 v0, 0
	s_and_saveexec_b64 s[20:21], s[76:77]
	s_cbranch_execz .LBB2_4868
; %bb.4863:                             ;   in Loop: Header=BB2_4766 Depth=2
	v_cmp_ne_u16_sdwa s[78:79], v11, s48 src0_sel:BYTE_0 src1_sel:DWORD
	v_bfrev_b32_e32 v0, 1
	s_and_saveexec_b64 s[76:77], s[78:79]
	s_cbranch_execz .LBB2_4867
; %bb.4864:                             ;   in Loop: Header=BB2_4766 Depth=2
	v_and_b32_e32 v1, 0x7f, v11
	v_cmp_ne_u32_e32 vcc, s39, v1
	v_mov_b32_e32 v0, 0x7f800001
	s_and_saveexec_b64 s[78:79], vcc
	s_cbranch_execz .LBB2_4866
; %bb.4865:                             ;   in Loop: Header=BB2_4766 Depth=2
	v_and_b32_e32 v0, 7, v11
	v_ffbh_u32_e32 v0, v0
	v_min_u32_e32 v0, 32, v0
	v_lshrrev_b32_e32 v2, 3, v1
	v_cmp_gt_u32_e32 vcc, 8, v1
	v_subrev_u32_e32 v1, 28, v0
	v_sub_u32_e32 v0, 29, v0
	v_cndmask_b32_e32 v2, v2, v0, vcc
	v_cndmask_b32_e32 v0, 0, v1, vcc
	v_lshlrev_b64 v[0:1], v0, v[32:33]
	v_lshlrev_b32_e32 v1, 24, v32
	v_lshlrev_b32_e32 v0, 20, v0
	v_and_b32_e32 v0, 0x700000, v0
	v_and_b32_e32 v1, 0x80000000, v1
	v_lshl_add_u32 v2, v2, 23, v59
	v_or3_b32 v0, v1, v2, v0
.LBB2_4866:                             ;   in Loop: Header=BB2_4766 Depth=2
	s_or_b64 exec, exec, s[78:79]
.LBB2_4867:                             ;   in Loop: Header=BB2_4766 Depth=2
	s_or_b64 exec, exec, s[76:77]
.LBB2_4868:                             ;   in Loop: Header=BB2_4766 Depth=2
	s_or_b64 exec, exec, s[20:21]
	v_mul_f32_e32 v1, v55, v0
	v_and_b32_e32 v2, 0x7f800000, v1
	v_mov_b32_e32 v3, v33
	v_cmp_ne_u64_e32 vcc, s[46:47], v[2:3]
                                        ; implicit-def: $vgpr35
	s_and_saveexec_b64 s[20:21], vcc
	s_xor_b64 s[76:77], exec, s[20:21]
	s_cbranch_execz .LBB2_4882
; %bb.4869:                             ;   in Loop: Header=BB2_4766 Depth=2
	v_and_b32_e32 v2, 0x7fffffff, v1
	v_mov_b32_e32 v3, v33
	v_cmp_gt_u64_e32 vcc, s[56:57], v[2:3]
	v_and_b32_sdwa v0, v1, s48 dst_sel:DWORD dst_unused:UNUSED_PAD src0_sel:BYTE_3 src1_sel:DWORD
                                        ; implicit-def: $vgpr35
	s_and_saveexec_b64 s[20:21], vcc
	s_xor_b64 s[78:79], exec, s[20:21]
	s_cbranch_execz .LBB2_4879
; %bb.4870:                             ;   in Loop: Header=BB2_4766 Depth=2
	v_mov_b32_e32 v35, 0
	v_cmp_ne_u32_e32 vcc, 0, v1
	s_and_saveexec_b64 s[88:89], vcc
	s_cbranch_execz .LBB2_4878
; %bb.4871:                             ;   in Loop: Header=BB2_4766 Depth=2
	v_and_b32_e32 v3, 0x7fffff, v1
	v_bfe_u32 v1, v1, 23, 8
	v_cmp_gt_u32_e64 s[20:21], s49, v1
	v_sub_u32_e32 v2, 0x79, v1
	v_cmp_eq_u32_e32 vcc, 0, v1
	v_cndmask_b32_e64 v2, 0, v2, s[20:21]
	v_cndmask_b32_e32 v2, v2, v60, vcc
	v_or_b32_e32 v4, 0x800000, v3
	v_add_u32_e32 v5, 20, v2
	v_cndmask_b32_e32 v3, v4, v3, vcc
	v_mov_b32_e32 v4, v33
	v_lshlrev_b64 v[5:6], v5, -1
	v_add_u32_e32 v7, 19, v2
	v_lshlrev_b64 v[7:8], v7, 1
	v_lshrrev_b64 v[41:42], v2, v[3:4]
	v_bfi_b32 v6, v6, 0, 0
	v_bfi_b32 v5, v5, 0, v3
	v_cmp_eq_u64_e64 s[20:21], v[5:6], v[7:8]
	v_mov_b32_e32 v43, v42
	v_mov_b32_e32 v42, v41
	s_and_saveexec_b64 s[90:91], s[20:21]
; %bb.4872:                             ;   in Loop: Header=BB2_4766 Depth=2
	v_bfe_u32 v3, v41, 20, 1
	v_add_co_u32_e64 v3, s[20:21], v41, v3
	v_add_co_u32_e64 v42, s[20:21], -1, v3
; %bb.4873:                             ;   in Loop: Header=BB2_4766 Depth=2
	s_or_b64 exec, exec, s[90:91]
	v_add_u32_e32 v1, 0xffffff81, v1
	v_cndmask_b32_e32 v1, v1, v61, vcc
	v_lshrrev_b32_e32 v3, 23, v41
	v_add3_u32 v3, v2, v1, v3
	v_add_u32_e32 v2, 6, v3
	v_and_b32_e32 v1, 0xfffff, v42
	v_add_u32_e32 v41, v1, v41
	v_mov_b32_e32 v42, v33
	v_cmp_ne_u32_e32 vcc, 0, v2
                                        ; implicit-def: $vgpr1
	s_and_saveexec_b64 s[20:21], vcc
	s_xor_b64 s[20:21], exec, s[20:21]
; %bb.4874:                             ;   in Loop: Header=BB2_4766 Depth=2
	v_cmp_lt_u64_e32 vcc, s[58:59], v[41:42]
	v_add_u32_e32 v1, 7, v3
	v_cndmask_b32_e32 v1, v2, v1, vcc
	v_cndmask_b32_e64 v2, 0, 1, vcc
	v_lshrrev_b64 v[41:42], v2, v[41:42]
; %bb.4875:                             ;   in Loop: Header=BB2_4766 Depth=2
	s_andn2_saveexec_b64 s[20:21], s[20:21]
; %bb.4876:                             ;   in Loop: Header=BB2_4766 Depth=2
	v_bfe_u32 v1, v41, 23, 1
; %bb.4877:                             ;   in Loop: Header=BB2_4766 Depth=2
	s_or_b64 exec, exec, s[20:21]
	v_lshrrev_b64 v[2:3], 20, v[41:42]
	v_cmp_gt_i32_e32 vcc, 16, v1
	v_cndmask_b32_e32 v3, 0, v3, vcc
	v_cndmask_b32_e32 v2, 7, v2, vcc
	v_cmp_eq_u32_e32 vcc, 0, v1
	v_min_i32_e32 v1, 15, v1
	v_cmp_eq_u64_e64 s[20:21], 0, v[2:3]
	v_lshlrev_b32_e32 v1, 3, v1
	v_and_b32_e32 v1, 0xf8, v1
	v_and_or_b32 v1, v2, 7, v1
	s_and_b64 s[20:21], vcc, s[20:21]
	v_cndmask_b32_e64 v1, v1, 0, s[20:21]
	v_or_b32_e32 v35, v1, v0
.LBB2_4878:                             ;   in Loop: Header=BB2_4766 Depth=2
	s_or_b64 exec, exec, s[88:89]
                                        ; implicit-def: $vgpr0
.LBB2_4879:                             ;   in Loop: Header=BB2_4766 Depth=2
	s_andn2_saveexec_b64 s[20:21], s[78:79]
; %bb.4880:                             ;   in Loop: Header=BB2_4766 Depth=2
	v_or_b32_e32 v35, 0x7e, v0
; %bb.4881:                             ;   in Loop: Header=BB2_4766 Depth=2
	s_or_b64 exec, exec, s[20:21]
                                        ; implicit-def: $vgpr1
.LBB2_4882:                             ;   in Loop: Header=BB2_4766 Depth=2
	s_andn2_saveexec_b64 s[20:21], s[76:77]
; %bb.4883:                             ;   in Loop: Header=BB2_4766 Depth=2
	v_or_b32_sdwa v35, v1, s39 dst_sel:DWORD dst_unused:UNUSED_PAD src0_sel:BYTE_3 src1_sel:DWORD
; %bb.4884:                             ;   in Loop: Header=BB2_4766 Depth=2
	s_or_b64 exec, exec, s[20:21]
	v_lshrrev_b16_e32 v30, 8, v32
	v_cmp_ne_u16_e32 vcc, 0, v30
	v_mov_b32_e32 v0, 0
	s_and_saveexec_b64 s[20:21], vcc
	s_cbranch_execz .LBB2_4890
; %bb.4885:                             ;   in Loop: Header=BB2_4766 Depth=2
	v_cmp_ne_u16_e32 vcc, s48, v30
	v_bfrev_b32_e32 v0, 1
	s_and_saveexec_b64 s[76:77], vcc
	s_cbranch_execz .LBB2_4889
; %bb.4886:                             ;   in Loop: Header=BB2_4766 Depth=2
	v_and_b32_e32 v1, 0x7f, v30
	v_cmp_ne_u32_e32 vcc, s39, v1
	v_mov_b32_e32 v0, 0x7f800001
	s_and_saveexec_b64 s[78:79], vcc
	s_cbranch_execz .LBB2_4888
; %bb.4887:                             ;   in Loop: Header=BB2_4766 Depth=2
	v_and_b32_e32 v2, 7, v30
	v_ffbh_u32_e32 v0, v2
	v_min_u32_e32 v4, 32, v0
	v_subrev_u32_e32 v0, 28, v4
	v_lshrrev_b32_e32 v3, 3, v1
	v_cmp_gt_u32_e32 vcc, 8, v1
	v_lshlrev_b64 v[0:1], v0, v[30:31]
	v_sub_u32_e32 v1, 29, v4
	v_and_b32_e32 v0, 7, v0
	v_cndmask_b32_e32 v1, v3, v1, vcc
	v_cndmask_b32_e32 v0, v2, v0, vcc
	v_lshlrev_b32_e32 v2, 16, v32
	v_lshlrev_b32_e32 v0, 20, v0
	v_and_b32_e32 v2, 0x80000000, v2
	v_lshl_add_u32 v1, v1, 23, v59
	v_or3_b32 v0, v2, v1, v0
.LBB2_4888:                             ;   in Loop: Header=BB2_4766 Depth=2
	s_or_b64 exec, exec, s[78:79]
.LBB2_4889:                             ;   in Loop: Header=BB2_4766 Depth=2
	s_or_b64 exec, exec, s[76:77]
.LBB2_4890:                             ;   in Loop: Header=BB2_4766 Depth=2
	s_or_b64 exec, exec, s[20:21]
	v_mul_f32_e32 v1, v55, v0
	v_and_b32_e32 v32, 0x7f800000, v1
	v_cmp_ne_u64_e32 vcc, s[46:47], v[32:33]
                                        ; implicit-def: $vgpr3
	s_and_saveexec_b64 s[20:21], vcc
	s_xor_b64 s[76:77], exec, s[20:21]
	s_cbranch_execz .LBB2_4904
; %bb.4891:                             ;   in Loop: Header=BB2_4766 Depth=2
	v_and_b32_e32 v32, 0x7fffffff, v1
	v_cmp_gt_u64_e32 vcc, s[56:57], v[32:33]
	v_and_b32_sdwa v0, v1, s48 dst_sel:DWORD dst_unused:UNUSED_PAD src0_sel:BYTE_3 src1_sel:DWORD
                                        ; implicit-def: $vgpr3
	s_and_saveexec_b64 s[20:21], vcc
	s_xor_b64 s[78:79], exec, s[20:21]
	s_cbranch_execz .LBB2_4901
; %bb.4892:                             ;   in Loop: Header=BB2_4766 Depth=2
	v_mov_b32_e32 v3, 0
	v_cmp_ne_u32_e32 vcc, 0, v1
	s_and_saveexec_b64 s[88:89], vcc
	s_cbranch_execz .LBB2_4900
; %bb.4893:                             ;   in Loop: Header=BB2_4766 Depth=2
	v_and_b32_e32 v3, 0x7fffff, v1
	v_bfe_u32 v1, v1, 23, 8
	v_cmp_gt_u32_e64 s[20:21], s49, v1
	v_sub_u32_e32 v2, 0x79, v1
	v_cmp_eq_u32_e32 vcc, 0, v1
	v_cndmask_b32_e64 v2, 0, v2, s[20:21]
	v_or_b32_e32 v4, 0x800000, v3
	v_cndmask_b32_e32 v2, v2, v60, vcc
	v_cndmask_b32_e32 v32, v4, v3, vcc
	v_add_u32_e32 v3, 20, v2
	v_lshlrev_b64 v[3:4], v3, -1
	v_add_u32_e32 v5, 19, v2
	v_lshlrev_b64 v[5:6], v5, 1
	v_lshrrev_b64 v[41:42], v2, v[32:33]
	v_bfi_b32 v4, v4, 0, 0
	v_bfi_b32 v3, v3, 0, v32
	v_cmp_eq_u64_e64 s[20:21], v[3:4], v[5:6]
	v_mov_b32_e32 v43, v42
	v_mov_b32_e32 v42, v41
	s_and_saveexec_b64 s[90:91], s[20:21]
; %bb.4894:                             ;   in Loop: Header=BB2_4766 Depth=2
	v_bfe_u32 v3, v41, 20, 1
	v_add_co_u32_e64 v3, s[20:21], v41, v3
	v_add_co_u32_e64 v42, s[20:21], -1, v3
; %bb.4895:                             ;   in Loop: Header=BB2_4766 Depth=2
	s_or_b64 exec, exec, s[90:91]
	v_add_u32_e32 v1, 0xffffff81, v1
	v_cndmask_b32_e32 v1, v1, v61, vcc
	v_lshrrev_b32_e32 v3, 23, v41
	v_add3_u32 v3, v2, v1, v3
	v_add_u32_e32 v2, 6, v3
	v_and_b32_e32 v1, 0xfffff, v42
	v_add_u32_e32 v32, v1, v41
	v_cmp_ne_u32_e32 vcc, 0, v2
                                        ; implicit-def: $vgpr41_vgpr42
                                        ; implicit-def: $vgpr1
	s_and_saveexec_b64 s[20:21], vcc
	s_xor_b64 s[20:21], exec, s[20:21]
; %bb.4896:                             ;   in Loop: Header=BB2_4766 Depth=2
	v_cmp_lt_u64_e32 vcc, s[58:59], v[32:33]
	v_add_u32_e32 v1, 7, v3
	v_cndmask_b32_e32 v1, v2, v1, vcc
	v_cndmask_b32_e64 v2, 0, 1, vcc
	v_lshrrev_b64 v[41:42], v2, v[32:33]
; %bb.4897:                             ;   in Loop: Header=BB2_4766 Depth=2
	s_andn2_saveexec_b64 s[20:21], s[20:21]
; %bb.4898:                             ;   in Loop: Header=BB2_4766 Depth=2
	v_mov_b32_e32 v42, v33
	v_bfe_u32 v1, v32, 23, 1
	v_mov_b32_e32 v41, v32
; %bb.4899:                             ;   in Loop: Header=BB2_4766 Depth=2
	s_or_b64 exec, exec, s[20:21]
	v_lshrrev_b64 v[2:3], 20, v[41:42]
	v_cmp_gt_i32_e32 vcc, 16, v1
	v_cndmask_b32_e32 v3, 0, v3, vcc
	v_cndmask_b32_e32 v2, 7, v2, vcc
	v_cmp_eq_u32_e32 vcc, 0, v1
	v_min_i32_e32 v1, 15, v1
	v_cmp_eq_u64_e64 s[20:21], 0, v[2:3]
	v_lshlrev_b32_e32 v1, 3, v1
	v_and_b32_e32 v1, 0xf8, v1
	v_and_or_b32 v1, v2, 7, v1
	s_and_b64 s[20:21], vcc, s[20:21]
	v_cndmask_b32_e64 v1, v1, 0, s[20:21]
	v_or_b32_e32 v3, v1, v0
.LBB2_4900:                             ;   in Loop: Header=BB2_4766 Depth=2
	s_or_b64 exec, exec, s[88:89]
                                        ; implicit-def: $vgpr0
.LBB2_4901:                             ;   in Loop: Header=BB2_4766 Depth=2
	s_andn2_saveexec_b64 s[20:21], s[78:79]
; %bb.4902:                             ;   in Loop: Header=BB2_4766 Depth=2
	v_or_b32_e32 v3, 0x7e, v0
; %bb.4903:                             ;   in Loop: Header=BB2_4766 Depth=2
	s_or_b64 exec, exec, s[20:21]
                                        ; implicit-def: $vgpr1
.LBB2_4904:                             ;   in Loop: Header=BB2_4766 Depth=2
	s_andn2_saveexec_b64 s[20:21], s[76:77]
; %bb.4905:                             ;   in Loop: Header=BB2_4766 Depth=2
	v_or_b32_sdwa v3, v1, s39 dst_sel:DWORD dst_unused:UNUSED_PAD src0_sel:BYTE_3 src1_sel:DWORD
; %bb.4906:                             ;   in Loop: Header=BB2_4766 Depth=2
	s_or_b64 exec, exec, s[20:21]
	v_lshrrev_b32_e32 v30, 16, v11
	v_cmp_ne_u16_sdwa s[76:77], v30, v33 src0_sel:BYTE_0 src1_sel:DWORD
	v_mov_b32_e32 v0, 0
	s_and_saveexec_b64 s[20:21], s[76:77]
	s_cbranch_execz .LBB2_4912
; %bb.4907:                             ;   in Loop: Header=BB2_4766 Depth=2
	v_cmp_ne_u16_sdwa s[78:79], v30, s48 src0_sel:BYTE_0 src1_sel:DWORD
	v_bfrev_b32_e32 v0, 1
	s_and_saveexec_b64 s[76:77], s[78:79]
	s_cbranch_execz .LBB2_4911
; %bb.4908:                             ;   in Loop: Header=BB2_4766 Depth=2
	v_bfe_u32 v1, v11, 16, 7
	v_cmp_ne_u32_e32 vcc, s39, v1
	v_mov_b32_e32 v0, 0x7f800001
	s_and_saveexec_b64 s[78:79], vcc
	s_cbranch_execz .LBB2_4910
; %bb.4909:                             ;   in Loop: Header=BB2_4766 Depth=2
	v_and_b32_e32 v2, 7, v30
	v_ffbh_u32_e32 v0, v2
	v_min_u32_e32 v5, 32, v0
	v_subrev_u32_e32 v0, 28, v5
	v_lshrrev_b32_e32 v4, 3, v1
	v_cmp_gt_u32_e32 vcc, 8, v1
	v_lshlrev_b64 v[0:1], v0, v[30:31]
	v_sub_u32_e32 v1, 29, v5
	v_and_b32_e32 v0, 7, v0
	v_cndmask_b32_e32 v1, v4, v1, vcc
	v_cndmask_b32_e32 v0, v2, v0, vcc
	v_lshlrev_b32_e32 v2, 24, v30
	v_lshlrev_b32_e32 v0, 20, v0
	v_and_b32_e32 v2, 0x80000000, v2
	v_lshl_add_u32 v1, v1, 23, v59
	v_or3_b32 v0, v2, v1, v0
.LBB2_4910:                             ;   in Loop: Header=BB2_4766 Depth=2
	s_or_b64 exec, exec, s[78:79]
.LBB2_4911:                             ;   in Loop: Header=BB2_4766 Depth=2
	s_or_b64 exec, exec, s[76:77]
.LBB2_4912:                             ;   in Loop: Header=BB2_4766 Depth=2
	s_or_b64 exec, exec, s[20:21]
	v_mul_f32_e32 v1, v55, v0
	v_and_b32_e32 v32, 0x7f800000, v1
	v_cmp_ne_u64_e32 vcc, s[46:47], v[32:33]
                                        ; implicit-def: $vgpr43
	s_and_saveexec_b64 s[20:21], vcc
	s_xor_b64 s[76:77], exec, s[20:21]
	s_cbranch_execz .LBB2_4926
; %bb.4913:                             ;   in Loop: Header=BB2_4766 Depth=2
	v_and_b32_e32 v32, 0x7fffffff, v1
	v_cmp_gt_u64_e32 vcc, s[56:57], v[32:33]
	v_and_b32_sdwa v0, v1, s48 dst_sel:DWORD dst_unused:UNUSED_PAD src0_sel:BYTE_3 src1_sel:DWORD
                                        ; implicit-def: $vgpr43
	s_and_saveexec_b64 s[20:21], vcc
	s_xor_b64 s[78:79], exec, s[20:21]
	s_cbranch_execz .LBB2_4923
; %bb.4914:                             ;   in Loop: Header=BB2_4766 Depth=2
	v_mov_b32_e32 v43, 0
	v_cmp_ne_u32_e32 vcc, 0, v1
	s_and_saveexec_b64 s[88:89], vcc
	s_cbranch_execz .LBB2_4922
; %bb.4915:                             ;   in Loop: Header=BB2_4766 Depth=2
	v_and_b32_e32 v4, 0x7fffff, v1
	v_bfe_u32 v1, v1, 23, 8
	v_cmp_gt_u32_e64 s[20:21], s49, v1
	v_sub_u32_e32 v2, 0x79, v1
	v_cmp_eq_u32_e32 vcc, 0, v1
	v_cndmask_b32_e64 v2, 0, v2, s[20:21]
	v_or_b32_e32 v5, 0x800000, v4
	v_cndmask_b32_e32 v2, v2, v60, vcc
	v_cndmask_b32_e32 v32, v5, v4, vcc
	v_add_u32_e32 v4, 20, v2
	v_lshlrev_b64 v[4:5], v4, -1
	v_add_u32_e32 v6, 19, v2
	v_lshlrev_b64 v[6:7], v6, 1
	v_lshrrev_b64 v[41:42], v2, v[32:33]
	v_bfi_b32 v5, v5, 0, 0
	v_bfi_b32 v4, v4, 0, v32
	v_cmp_eq_u64_e64 s[20:21], v[4:5], v[6:7]
	v_mov_b32_e32 v43, v42
	v_mov_b32_e32 v42, v41
	s_and_saveexec_b64 s[90:91], s[20:21]
; %bb.4916:                             ;   in Loop: Header=BB2_4766 Depth=2
	v_bfe_u32 v4, v41, 20, 1
	v_add_co_u32_e64 v4, s[20:21], v41, v4
	v_add_co_u32_e64 v42, s[20:21], -1, v4
; %bb.4917:                             ;   in Loop: Header=BB2_4766 Depth=2
	s_or_b64 exec, exec, s[90:91]
	v_add_u32_e32 v1, 0xffffff81, v1
	v_cndmask_b32_e32 v1, v1, v61, vcc
	v_lshrrev_b32_e32 v4, 23, v41
	v_add3_u32 v4, v2, v1, v4
	v_add_u32_e32 v2, 6, v4
	v_and_b32_e32 v1, 0xfffff, v42
	v_add_u32_e32 v32, v1, v41
	v_cmp_ne_u32_e32 vcc, 0, v2
                                        ; implicit-def: $vgpr41_vgpr42
                                        ; implicit-def: $vgpr1
	s_and_saveexec_b64 s[20:21], vcc
	s_xor_b64 s[20:21], exec, s[20:21]
; %bb.4918:                             ;   in Loop: Header=BB2_4766 Depth=2
	v_cmp_lt_u64_e32 vcc, s[58:59], v[32:33]
	v_add_u32_e32 v1, 7, v4
	v_cndmask_b32_e32 v1, v2, v1, vcc
	v_cndmask_b32_e64 v2, 0, 1, vcc
	v_lshrrev_b64 v[41:42], v2, v[32:33]
; %bb.4919:                             ;   in Loop: Header=BB2_4766 Depth=2
	s_andn2_saveexec_b64 s[20:21], s[20:21]
; %bb.4920:                             ;   in Loop: Header=BB2_4766 Depth=2
	v_mov_b32_e32 v42, v33
	v_bfe_u32 v1, v32, 23, 1
	v_mov_b32_e32 v41, v32
; %bb.4921:                             ;   in Loop: Header=BB2_4766 Depth=2
	s_or_b64 exec, exec, s[20:21]
	v_lshrrev_b64 v[4:5], 20, v[41:42]
	v_cmp_gt_i32_e32 vcc, 16, v1
	v_cndmask_b32_e32 v5, 0, v5, vcc
	v_cndmask_b32_e32 v4, 7, v4, vcc
	v_cmp_eq_u32_e32 vcc, 0, v1
	v_min_i32_e32 v1, 15, v1
	v_cmp_eq_u64_e64 s[20:21], 0, v[4:5]
	v_lshlrev_b32_e32 v1, 3, v1
	v_and_b32_e32 v1, 0xf8, v1
	v_and_or_b32 v1, v4, 7, v1
	s_and_b64 s[20:21], vcc, s[20:21]
	v_cndmask_b32_e64 v1, v1, 0, s[20:21]
	v_or_b32_e32 v43, v1, v0
.LBB2_4922:                             ;   in Loop: Header=BB2_4766 Depth=2
	s_or_b64 exec, exec, s[88:89]
                                        ; implicit-def: $vgpr0
.LBB2_4923:                             ;   in Loop: Header=BB2_4766 Depth=2
	s_andn2_saveexec_b64 s[20:21], s[78:79]
; %bb.4924:                             ;   in Loop: Header=BB2_4766 Depth=2
	v_or_b32_e32 v43, 0x7e, v0
; %bb.4925:                             ;   in Loop: Header=BB2_4766 Depth=2
	s_or_b64 exec, exec, s[20:21]
                                        ; implicit-def: $vgpr1
.LBB2_4926:                             ;   in Loop: Header=BB2_4766 Depth=2
	s_andn2_saveexec_b64 s[20:21], s[76:77]
; %bb.4927:                             ;   in Loop: Header=BB2_4766 Depth=2
	v_or_b32_sdwa v43, v1, s39 dst_sel:DWORD dst_unused:UNUSED_PAD src0_sel:BYTE_3 src1_sel:DWORD
; %bb.4928:                             ;   in Loop: Header=BB2_4766 Depth=2
	s_or_b64 exec, exec, s[20:21]
	v_cmp_lt_u64_e32 vcc, s[60:61], v[10:11]
	v_mov_b32_e32 v0, 0
	s_and_saveexec_b64 s[20:21], vcc
	s_cbranch_execz .LBB2_4934
; %bb.4929:                             ;   in Loop: Header=BB2_4766 Depth=2
	v_lshrrev_b32_e32 v10, 24, v11
	v_cmp_ne_u32_e32 vcc, s48, v10
	v_bfrev_b32_e32 v0, 1
	s_and_saveexec_b64 s[76:77], vcc
	s_cbranch_execz .LBB2_4933
; %bb.4930:                             ;   in Loop: Header=BB2_4766 Depth=2
	v_bfe_u32 v1, v11, 24, 7
	v_cmp_ne_u32_e32 vcc, s39, v1
	v_mov_b32_e32 v0, 0x7f800001
	s_and_saveexec_b64 s[78:79], vcc
	s_cbranch_execz .LBB2_4932
; %bb.4931:                             ;   in Loop: Header=BB2_4766 Depth=2
	v_and_b32_e32 v2, 7, v10
	v_ffbh_u32_e32 v0, v2
	v_min_u32_e32 v5, 32, v0
	v_subrev_u32_e32 v0, 28, v5
	v_lshrrev_b32_e32 v4, 3, v1
	v_cmp_gt_u32_e32 vcc, 8, v1
	v_lshlrev_b64 v[0:1], v0, v[10:11]
	v_sub_u32_e32 v1, 29, v5
	v_and_b32_e32 v0, 7, v0
	v_cndmask_b32_e32 v1, v4, v1, vcc
	v_cndmask_b32_e32 v0, v2, v0, vcc
	v_lshlrev_b32_e32 v2, 24, v10
	v_lshlrev_b32_e32 v0, 20, v0
	v_and_b32_e32 v2, 0x80000000, v2
	v_lshl_add_u32 v1, v1, 23, v59
	v_or3_b32 v0, v2, v1, v0
.LBB2_4932:                             ;   in Loop: Header=BB2_4766 Depth=2
	s_or_b64 exec, exec, s[78:79]
.LBB2_4933:                             ;   in Loop: Header=BB2_4766 Depth=2
	s_or_b64 exec, exec, s[76:77]
.LBB2_4934:                             ;   in Loop: Header=BB2_4766 Depth=2
	s_or_b64 exec, exec, s[20:21]
	v_mul_f32_e32 v1, v55, v0
	v_and_b32_e32 v32, 0x7f800000, v1
	v_cmp_ne_u64_e32 vcc, s[46:47], v[32:33]
                                        ; implicit-def: $vgpr57
	s_and_saveexec_b64 s[20:21], vcc
	s_xor_b64 s[76:77], exec, s[20:21]
	s_cbranch_execz .LBB2_4948
; %bb.4935:                             ;   in Loop: Header=BB2_4766 Depth=2
	v_and_b32_e32 v32, 0x7fffffff, v1
	v_cmp_gt_u64_e32 vcc, s[56:57], v[32:33]
	v_and_b32_sdwa v0, v1, s48 dst_sel:DWORD dst_unused:UNUSED_PAD src0_sel:BYTE_3 src1_sel:DWORD
                                        ; implicit-def: $vgpr57
	s_and_saveexec_b64 s[20:21], vcc
	s_xor_b64 s[78:79], exec, s[20:21]
	s_cbranch_execz .LBB2_4945
; %bb.4936:                             ;   in Loop: Header=BB2_4766 Depth=2
	v_mov_b32_e32 v57, 0
	v_cmp_ne_u32_e32 vcc, 0, v1
	s_and_saveexec_b64 s[88:89], vcc
	s_cbranch_execz .LBB2_4944
; %bb.4937:                             ;   in Loop: Header=BB2_4766 Depth=2
	v_and_b32_e32 v4, 0x7fffff, v1
	v_bfe_u32 v1, v1, 23, 8
	v_cmp_gt_u32_e64 s[20:21], s49, v1
	v_sub_u32_e32 v2, 0x79, v1
	v_cmp_eq_u32_e32 vcc, 0, v1
	v_cndmask_b32_e64 v2, 0, v2, s[20:21]
	v_or_b32_e32 v5, 0x800000, v4
	v_cndmask_b32_e32 v2, v2, v60, vcc
	v_cndmask_b32_e32 v32, v5, v4, vcc
	v_add_u32_e32 v4, 20, v2
	v_lshlrev_b64 v[4:5], v4, -1
	v_add_u32_e32 v6, 19, v2
	v_lshlrev_b64 v[6:7], v6, 1
	v_lshrrev_b64 v[10:11], v2, v[32:33]
	v_bfi_b32 v5, v5, 0, 0
	v_bfi_b32 v4, v4, 0, v32
	v_cmp_eq_u64_e64 s[20:21], v[4:5], v[6:7]
	v_mov_b32_e32 v42, v11
	v_mov_b32_e32 v41, v10
	s_and_saveexec_b64 s[90:91], s[20:21]
; %bb.4938:                             ;   in Loop: Header=BB2_4766 Depth=2
	v_bfe_u32 v4, v10, 20, 1
	v_add_co_u32_e64 v4, s[20:21], v10, v4
	v_add_co_u32_e64 v41, s[20:21], -1, v4
; %bb.4939:                             ;   in Loop: Header=BB2_4766 Depth=2
	s_or_b64 exec, exec, s[90:91]
	v_add_u32_e32 v1, 0xffffff81, v1
	v_cndmask_b32_e32 v1, v1, v61, vcc
	v_lshrrev_b32_e32 v4, 23, v10
	v_add3_u32 v4, v2, v1, v4
	v_add_u32_e32 v2, 6, v4
	v_and_b32_e32 v1, 0xfffff, v41
	v_add_u32_e32 v32, v1, v10
	v_cmp_ne_u32_e32 vcc, 0, v2
                                        ; implicit-def: $vgpr10_vgpr11
                                        ; implicit-def: $vgpr1
	s_and_saveexec_b64 s[20:21], vcc
	s_xor_b64 s[20:21], exec, s[20:21]
; %bb.4940:                             ;   in Loop: Header=BB2_4766 Depth=2
	v_cmp_lt_u64_e32 vcc, s[58:59], v[32:33]
	v_add_u32_e32 v1, 7, v4
	v_cndmask_b32_e32 v1, v2, v1, vcc
	v_cndmask_b32_e64 v2, 0, 1, vcc
	v_lshrrev_b64 v[10:11], v2, v[32:33]
; %bb.4941:                             ;   in Loop: Header=BB2_4766 Depth=2
	s_andn2_saveexec_b64 s[20:21], s[20:21]
; %bb.4942:                             ;   in Loop: Header=BB2_4766 Depth=2
	v_mov_b32_e32 v10, v32
	v_bfe_u32 v1, v32, 23, 1
	v_mov_b32_e32 v11, v33
; %bb.4943:                             ;   in Loop: Header=BB2_4766 Depth=2
	s_or_b64 exec, exec, s[20:21]
	v_lshrrev_b64 v[4:5], 20, v[10:11]
	v_cmp_gt_i32_e32 vcc, 16, v1
	v_cndmask_b32_e32 v5, 0, v5, vcc
	v_cndmask_b32_e32 v4, 7, v4, vcc
	v_cmp_eq_u32_e32 vcc, 0, v1
	v_min_i32_e32 v1, 15, v1
	v_cmp_eq_u64_e64 s[20:21], 0, v[4:5]
	v_lshlrev_b32_e32 v1, 3, v1
	v_and_b32_e32 v1, 0xf8, v1
	v_and_or_b32 v1, v4, 7, v1
	s_and_b64 s[20:21], vcc, s[20:21]
	v_cndmask_b32_e64 v1, v1, 0, s[20:21]
	v_or_b32_e32 v57, v1, v0
.LBB2_4944:                             ;   in Loop: Header=BB2_4766 Depth=2
	s_or_b64 exec, exec, s[88:89]
                                        ; implicit-def: $vgpr0
.LBB2_4945:                             ;   in Loop: Header=BB2_4766 Depth=2
	s_andn2_saveexec_b64 s[20:21], s[78:79]
; %bb.4946:                             ;   in Loop: Header=BB2_4766 Depth=2
	v_or_b32_e32 v57, 0x7e, v0
; %bb.4947:                             ;   in Loop: Header=BB2_4766 Depth=2
	s_or_b64 exec, exec, s[20:21]
                                        ; implicit-def: $vgpr1
.LBB2_4948:                             ;   in Loop: Header=BB2_4766 Depth=2
	s_andn2_saveexec_b64 s[20:21], s[76:77]
; %bb.4949:                             ;   in Loop: Header=BB2_4766 Depth=2
	v_or_b32_sdwa v57, v1, s39 dst_sel:DWORD dst_unused:UNUSED_PAD src0_sel:BYTE_3 src1_sel:DWORD
; %bb.4950:                             ;   in Loop: Header=BB2_4766 Depth=2
	s_or_b64 exec, exec, s[20:21]
	v_cmp_ne_u16_sdwa s[76:77], v12, v33 src0_sel:BYTE_0 src1_sel:DWORD
	v_mov_b32_e32 v0, 0
	s_and_saveexec_b64 s[20:21], s[76:77]
	s_cbranch_execz .LBB2_4956
; %bb.4951:                             ;   in Loop: Header=BB2_4766 Depth=2
	v_cmp_ne_u16_sdwa s[78:79], v12, s48 src0_sel:BYTE_0 src1_sel:DWORD
	v_bfrev_b32_e32 v0, 1
	s_and_saveexec_b64 s[76:77], s[78:79]
	s_cbranch_execz .LBB2_4955
; %bb.4952:                             ;   in Loop: Header=BB2_4766 Depth=2
	v_and_b32_e32 v1, 0x7f, v12
	v_cmp_ne_u32_e32 vcc, s39, v1
	v_mov_b32_e32 v0, 0x7f800001
	s_and_saveexec_b64 s[78:79], vcc
	s_cbranch_execz .LBB2_4954
; %bb.4953:                             ;   in Loop: Header=BB2_4766 Depth=2
	v_and_b32_e32 v0, 7, v12
	v_ffbh_u32_e32 v0, v0
	v_min_u32_e32 v0, 32, v0
	v_lshrrev_b32_e32 v2, 3, v1
	v_cmp_gt_u32_e32 vcc, 8, v1
	v_subrev_u32_e32 v1, 28, v0
	v_sub_u32_e32 v0, 29, v0
	v_cndmask_b32_e32 v2, v2, v0, vcc
	v_cndmask_b32_e32 v0, 0, v1, vcc
	v_lshlrev_b64 v[0:1], v0, v[12:13]
	v_lshlrev_b32_e32 v1, 24, v12
	v_lshlrev_b32_e32 v0, 20, v0
	v_and_b32_e32 v0, 0x700000, v0
	v_and_b32_e32 v1, 0x80000000, v1
	v_lshl_add_u32 v2, v2, 23, v59
	v_or3_b32 v0, v1, v2, v0
.LBB2_4954:                             ;   in Loop: Header=BB2_4766 Depth=2
	s_or_b64 exec, exec, s[78:79]
.LBB2_4955:                             ;   in Loop: Header=BB2_4766 Depth=2
	s_or_b64 exec, exec, s[76:77]
.LBB2_4956:                             ;   in Loop: Header=BB2_4766 Depth=2
	s_or_b64 exec, exec, s[20:21]
	v_mul_f32_e32 v1, v55, v0
	v_and_b32_e32 v32, 0x7f800000, v1
	v_cmp_ne_u64_e32 vcc, s[46:47], v[32:33]
                                        ; implicit-def: $vgpr28
	s_and_saveexec_b64 s[20:21], vcc
	s_xor_b64 s[76:77], exec, s[20:21]
	s_cbranch_execz .LBB2_4970
; %bb.4957:                             ;   in Loop: Header=BB2_4766 Depth=2
	v_and_b32_e32 v32, 0x7fffffff, v1
	v_cmp_gt_u64_e32 vcc, s[56:57], v[32:33]
	v_and_b32_sdwa v0, v1, s48 dst_sel:DWORD dst_unused:UNUSED_PAD src0_sel:BYTE_3 src1_sel:DWORD
                                        ; implicit-def: $vgpr28
	s_and_saveexec_b64 s[20:21], vcc
	s_xor_b64 s[78:79], exec, s[20:21]
	s_cbranch_execz .LBB2_4967
; %bb.4958:                             ;   in Loop: Header=BB2_4766 Depth=2
	v_mov_b32_e32 v28, 0
	v_cmp_ne_u32_e32 vcc, 0, v1
	s_and_saveexec_b64 s[88:89], vcc
	s_cbranch_execz .LBB2_4966
; %bb.4959:                             ;   in Loop: Header=BB2_4766 Depth=2
	v_and_b32_e32 v4, 0x7fffff, v1
	v_bfe_u32 v1, v1, 23, 8
	v_cmp_gt_u32_e64 s[20:21], s49, v1
	v_sub_u32_e32 v2, 0x79, v1
	v_cmp_eq_u32_e32 vcc, 0, v1
	v_cndmask_b32_e64 v2, 0, v2, s[20:21]
	v_or_b32_e32 v5, 0x800000, v4
	v_cndmask_b32_e32 v2, v2, v60, vcc
	v_cndmask_b32_e32 v32, v5, v4, vcc
	v_add_u32_e32 v4, 20, v2
	v_lshlrev_b64 v[4:5], v4, -1
	v_add_u32_e32 v6, 19, v2
	v_lshlrev_b64 v[6:7], v6, 1
	v_lshrrev_b64 v[10:11], v2, v[32:33]
	v_bfi_b32 v5, v5, 0, 0
	v_bfi_b32 v4, v4, 0, v32
	v_cmp_eq_u64_e64 s[20:21], v[4:5], v[6:7]
	v_mov_b32_e32 v42, v11
	v_mov_b32_e32 v41, v10
	s_and_saveexec_b64 s[90:91], s[20:21]
; %bb.4960:                             ;   in Loop: Header=BB2_4766 Depth=2
	v_bfe_u32 v4, v10, 20, 1
	v_add_co_u32_e64 v4, s[20:21], v10, v4
	v_add_co_u32_e64 v41, s[20:21], -1, v4
; %bb.4961:                             ;   in Loop: Header=BB2_4766 Depth=2
	s_or_b64 exec, exec, s[90:91]
	v_add_u32_e32 v1, 0xffffff81, v1
	v_cndmask_b32_e32 v1, v1, v61, vcc
	v_lshrrev_b32_e32 v4, 23, v10
	v_add3_u32 v4, v2, v1, v4
	v_add_u32_e32 v2, 6, v4
	v_and_b32_e32 v1, 0xfffff, v41
	v_add_u32_e32 v32, v1, v10
	v_cmp_ne_u32_e32 vcc, 0, v2
                                        ; implicit-def: $vgpr10_vgpr11
                                        ; implicit-def: $vgpr1
	s_and_saveexec_b64 s[20:21], vcc
	s_xor_b64 s[20:21], exec, s[20:21]
; %bb.4962:                             ;   in Loop: Header=BB2_4766 Depth=2
	v_cmp_lt_u64_e32 vcc, s[58:59], v[32:33]
	v_add_u32_e32 v1, 7, v4
	v_cndmask_b32_e32 v1, v2, v1, vcc
	v_cndmask_b32_e64 v2, 0, 1, vcc
	v_lshrrev_b64 v[10:11], v2, v[32:33]
; %bb.4963:                             ;   in Loop: Header=BB2_4766 Depth=2
	s_andn2_saveexec_b64 s[20:21], s[20:21]
; %bb.4964:                             ;   in Loop: Header=BB2_4766 Depth=2
	v_mov_b32_e32 v10, v32
	v_bfe_u32 v1, v32, 23, 1
	v_mov_b32_e32 v11, v33
; %bb.4965:                             ;   in Loop: Header=BB2_4766 Depth=2
	s_or_b64 exec, exec, s[20:21]
	v_lshrrev_b64 v[4:5], 20, v[10:11]
	v_cmp_gt_i32_e32 vcc, 16, v1
	v_cndmask_b32_e32 v5, 0, v5, vcc
	v_cndmask_b32_e32 v4, 7, v4, vcc
	v_cmp_eq_u32_e32 vcc, 0, v1
	v_min_i32_e32 v1, 15, v1
	v_cmp_eq_u64_e64 s[20:21], 0, v[4:5]
	v_lshlrev_b32_e32 v1, 3, v1
	v_and_b32_e32 v1, 0xf8, v1
	v_and_or_b32 v1, v4, 7, v1
	s_and_b64 s[20:21], vcc, s[20:21]
	v_cndmask_b32_e64 v1, v1, 0, s[20:21]
	v_or_b32_e32 v28, v1, v0
.LBB2_4966:                             ;   in Loop: Header=BB2_4766 Depth=2
	s_or_b64 exec, exec, s[88:89]
                                        ; implicit-def: $vgpr0
.LBB2_4967:                             ;   in Loop: Header=BB2_4766 Depth=2
	s_andn2_saveexec_b64 s[20:21], s[78:79]
; %bb.4968:                             ;   in Loop: Header=BB2_4766 Depth=2
	v_or_b32_e32 v28, 0x7e, v0
; %bb.4969:                             ;   in Loop: Header=BB2_4766 Depth=2
	s_or_b64 exec, exec, s[20:21]
                                        ; implicit-def: $vgpr1
.LBB2_4970:                             ;   in Loop: Header=BB2_4766 Depth=2
	s_andn2_saveexec_b64 s[20:21], s[76:77]
; %bb.4971:                             ;   in Loop: Header=BB2_4766 Depth=2
	v_or_b32_sdwa v28, v1, s39 dst_sel:DWORD dst_unused:UNUSED_PAD src0_sel:BYTE_3 src1_sel:DWORD
; %bb.4972:                             ;   in Loop: Header=BB2_4766 Depth=2
	s_or_b64 exec, exec, s[20:21]
	v_lshrrev_b16_e32 v10, 8, v12
	v_cmp_ne_u16_e32 vcc, 0, v10
	v_mov_b32_e32 v0, 0
	s_and_saveexec_b64 s[20:21], vcc
	s_cbranch_execz .LBB2_4978
; %bb.4973:                             ;   in Loop: Header=BB2_4766 Depth=2
	v_cmp_ne_u16_e32 vcc, s48, v10
	v_bfrev_b32_e32 v0, 1
	s_and_saveexec_b64 s[76:77], vcc
	s_cbranch_execz .LBB2_4977
; %bb.4974:                             ;   in Loop: Header=BB2_4766 Depth=2
	v_and_b32_e32 v1, 0x7f, v10
	v_cmp_ne_u32_e32 vcc, s39, v1
	v_mov_b32_e32 v0, 0x7f800001
	s_and_saveexec_b64 s[78:79], vcc
	s_cbranch_execz .LBB2_4976
; %bb.4975:                             ;   in Loop: Header=BB2_4766 Depth=2
	v_and_b32_e32 v2, 7, v10
	v_ffbh_u32_e32 v0, v2
	v_min_u32_e32 v5, 32, v0
	v_subrev_u32_e32 v0, 28, v5
	v_lshrrev_b32_e32 v4, 3, v1
	v_cmp_gt_u32_e32 vcc, 8, v1
	v_lshlrev_b64 v[0:1], v0, v[10:11]
	v_sub_u32_e32 v1, 29, v5
	v_and_b32_e32 v0, 7, v0
	v_cndmask_b32_e32 v1, v4, v1, vcc
	v_cndmask_b32_e32 v0, v2, v0, vcc
	v_lshlrev_b32_e32 v2, 16, v12
	v_lshlrev_b32_e32 v0, 20, v0
	v_and_b32_e32 v2, 0x80000000, v2
	v_lshl_add_u32 v1, v1, 23, v59
	v_or3_b32 v0, v2, v1, v0
.LBB2_4976:                             ;   in Loop: Header=BB2_4766 Depth=2
	s_or_b64 exec, exec, s[78:79]
.LBB2_4977:                             ;   in Loop: Header=BB2_4766 Depth=2
	s_or_b64 exec, exec, s[76:77]
.LBB2_4978:                             ;   in Loop: Header=BB2_4766 Depth=2
	s_or_b64 exec, exec, s[20:21]
	v_mul_f32_e32 v1, v55, v0
	v_and_b32_e32 v32, 0x7f800000, v1
	v_cmp_ne_u64_e32 vcc, s[46:47], v[32:33]
                                        ; implicit-def: $vgpr29
	s_and_saveexec_b64 s[20:21], vcc
	s_xor_b64 s[76:77], exec, s[20:21]
	s_cbranch_execz .LBB2_4992
; %bb.4979:                             ;   in Loop: Header=BB2_4766 Depth=2
	v_and_b32_e32 v32, 0x7fffffff, v1
	v_cmp_gt_u64_e32 vcc, s[56:57], v[32:33]
	v_and_b32_sdwa v0, v1, s48 dst_sel:DWORD dst_unused:UNUSED_PAD src0_sel:BYTE_3 src1_sel:DWORD
                                        ; implicit-def: $vgpr29
	s_and_saveexec_b64 s[20:21], vcc
	s_xor_b64 s[78:79], exec, s[20:21]
	s_cbranch_execz .LBB2_4989
; %bb.4980:                             ;   in Loop: Header=BB2_4766 Depth=2
	v_mov_b32_e32 v29, 0
	v_cmp_ne_u32_e32 vcc, 0, v1
	s_and_saveexec_b64 s[88:89], vcc
	s_cbranch_execz .LBB2_4988
; %bb.4981:                             ;   in Loop: Header=BB2_4766 Depth=2
	v_and_b32_e32 v4, 0x7fffff, v1
	v_bfe_u32 v1, v1, 23, 8
	v_cmp_gt_u32_e64 s[20:21], s49, v1
	v_sub_u32_e32 v2, 0x79, v1
	v_cmp_eq_u32_e32 vcc, 0, v1
	v_cndmask_b32_e64 v2, 0, v2, s[20:21]
	v_or_b32_e32 v5, 0x800000, v4
	v_cndmask_b32_e32 v2, v2, v60, vcc
	v_cndmask_b32_e32 v32, v5, v4, vcc
	v_add_u32_e32 v4, 20, v2
	v_lshlrev_b64 v[4:5], v4, -1
	v_add_u32_e32 v6, 19, v2
	v_lshlrev_b64 v[6:7], v6, 1
	v_lshrrev_b64 v[10:11], v2, v[32:33]
	v_bfi_b32 v5, v5, 0, 0
	v_bfi_b32 v4, v4, 0, v32
	v_cmp_eq_u64_e64 s[20:21], v[4:5], v[6:7]
	v_mov_b32_e32 v42, v11
	v_mov_b32_e32 v41, v10
	s_and_saveexec_b64 s[90:91], s[20:21]
; %bb.4982:                             ;   in Loop: Header=BB2_4766 Depth=2
	v_bfe_u32 v4, v10, 20, 1
	v_add_co_u32_e64 v4, s[20:21], v10, v4
	v_add_co_u32_e64 v41, s[20:21], -1, v4
; %bb.4983:                             ;   in Loop: Header=BB2_4766 Depth=2
	s_or_b64 exec, exec, s[90:91]
	v_add_u32_e32 v1, 0xffffff81, v1
	v_cndmask_b32_e32 v1, v1, v61, vcc
	v_lshrrev_b32_e32 v4, 23, v10
	v_add3_u32 v4, v2, v1, v4
	v_add_u32_e32 v2, 6, v4
	v_and_b32_e32 v1, 0xfffff, v41
	v_add_u32_e32 v32, v1, v10
	v_cmp_ne_u32_e32 vcc, 0, v2
                                        ; implicit-def: $vgpr10_vgpr11
                                        ; implicit-def: $vgpr1
	s_and_saveexec_b64 s[20:21], vcc
	s_xor_b64 s[20:21], exec, s[20:21]
; %bb.4984:                             ;   in Loop: Header=BB2_4766 Depth=2
	v_cmp_lt_u64_e32 vcc, s[58:59], v[32:33]
	v_add_u32_e32 v1, 7, v4
	v_cndmask_b32_e32 v1, v2, v1, vcc
	v_cndmask_b32_e64 v2, 0, 1, vcc
	v_lshrrev_b64 v[10:11], v2, v[32:33]
; %bb.4985:                             ;   in Loop: Header=BB2_4766 Depth=2
	s_andn2_saveexec_b64 s[20:21], s[20:21]
; %bb.4986:                             ;   in Loop: Header=BB2_4766 Depth=2
	v_mov_b32_e32 v10, v32
	v_bfe_u32 v1, v32, 23, 1
	v_mov_b32_e32 v11, v33
; %bb.4987:                             ;   in Loop: Header=BB2_4766 Depth=2
	s_or_b64 exec, exec, s[20:21]
	v_lshrrev_b64 v[4:5], 20, v[10:11]
	v_cmp_gt_i32_e32 vcc, 16, v1
	v_cndmask_b32_e32 v5, 0, v5, vcc
	v_cndmask_b32_e32 v4, 7, v4, vcc
	v_cmp_eq_u32_e32 vcc, 0, v1
	v_min_i32_e32 v1, 15, v1
	v_cmp_eq_u64_e64 s[20:21], 0, v[4:5]
	v_lshlrev_b32_e32 v1, 3, v1
	v_and_b32_e32 v1, 0xf8, v1
	v_and_or_b32 v1, v4, 7, v1
	s_and_b64 s[20:21], vcc, s[20:21]
	v_cndmask_b32_e64 v1, v1, 0, s[20:21]
	v_or_b32_e32 v29, v1, v0
.LBB2_4988:                             ;   in Loop: Header=BB2_4766 Depth=2
	s_or_b64 exec, exec, s[88:89]
                                        ; implicit-def: $vgpr0
.LBB2_4989:                             ;   in Loop: Header=BB2_4766 Depth=2
	s_andn2_saveexec_b64 s[20:21], s[78:79]
; %bb.4990:                             ;   in Loop: Header=BB2_4766 Depth=2
	v_or_b32_e32 v29, 0x7e, v0
; %bb.4991:                             ;   in Loop: Header=BB2_4766 Depth=2
	s_or_b64 exec, exec, s[20:21]
                                        ; implicit-def: $vgpr1
.LBB2_4992:                             ;   in Loop: Header=BB2_4766 Depth=2
	s_andn2_saveexec_b64 s[20:21], s[76:77]
; %bb.4993:                             ;   in Loop: Header=BB2_4766 Depth=2
	v_or_b32_sdwa v29, v1, s39 dst_sel:DWORD dst_unused:UNUSED_PAD src0_sel:BYTE_3 src1_sel:DWORD
; %bb.4994:                             ;   in Loop: Header=BB2_4766 Depth=2
	s_or_b64 exec, exec, s[20:21]
	v_lshrrev_b32_e32 v10, 16, v12
	v_cmp_ne_u16_sdwa s[76:77], v10, v33 src0_sel:BYTE_0 src1_sel:DWORD
	v_mov_b32_e32 v0, 0
	s_and_saveexec_b64 s[20:21], s[76:77]
	s_cbranch_execz .LBB2_5000
; %bb.4995:                             ;   in Loop: Header=BB2_4766 Depth=2
	v_cmp_ne_u16_sdwa s[78:79], v10, s48 src0_sel:BYTE_0 src1_sel:DWORD
	v_bfrev_b32_e32 v0, 1
	s_and_saveexec_b64 s[76:77], s[78:79]
	s_cbranch_execz .LBB2_4999
; %bb.4996:                             ;   in Loop: Header=BB2_4766 Depth=2
	v_bfe_u32 v1, v12, 16, 7
	v_cmp_ne_u32_e32 vcc, s39, v1
	v_mov_b32_e32 v0, 0x7f800001
	s_and_saveexec_b64 s[78:79], vcc
	s_cbranch_execz .LBB2_4998
; %bb.4997:                             ;   in Loop: Header=BB2_4766 Depth=2
	v_and_b32_e32 v2, 7, v10
	v_ffbh_u32_e32 v0, v2
	v_min_u32_e32 v5, 32, v0
	v_subrev_u32_e32 v0, 28, v5
	v_lshrrev_b32_e32 v4, 3, v1
	v_cmp_gt_u32_e32 vcc, 8, v1
	v_lshlrev_b64 v[0:1], v0, v[10:11]
	v_sub_u32_e32 v1, 29, v5
	v_and_b32_e32 v0, 7, v0
	v_cndmask_b32_e32 v1, v4, v1, vcc
	v_cndmask_b32_e32 v0, v2, v0, vcc
	v_lshlrev_b32_e32 v2, 24, v10
	v_lshlrev_b32_e32 v0, 20, v0
	v_and_b32_e32 v2, 0x80000000, v2
	v_lshl_add_u32 v1, v1, 23, v59
	v_or3_b32 v0, v2, v1, v0
.LBB2_4998:                             ;   in Loop: Header=BB2_4766 Depth=2
	s_or_b64 exec, exec, s[78:79]
.LBB2_4999:                             ;   in Loop: Header=BB2_4766 Depth=2
	s_or_b64 exec, exec, s[76:77]
.LBB2_5000:                             ;   in Loop: Header=BB2_4766 Depth=2
	s_or_b64 exec, exec, s[20:21]
	v_mul_f32_e32 v1, v55, v0
	v_and_b32_e32 v32, 0x7f800000, v1
	v_cmp_ne_u64_e32 vcc, s[46:47], v[32:33]
                                        ; implicit-def: $vgpr14
	s_and_saveexec_b64 s[20:21], vcc
	s_xor_b64 s[76:77], exec, s[20:21]
	s_cbranch_execz .LBB2_5014
; %bb.5001:                             ;   in Loop: Header=BB2_4766 Depth=2
	v_and_b32_e32 v32, 0x7fffffff, v1
	v_cmp_gt_u64_e32 vcc, s[56:57], v[32:33]
	v_and_b32_sdwa v0, v1, s48 dst_sel:DWORD dst_unused:UNUSED_PAD src0_sel:BYTE_3 src1_sel:DWORD
                                        ; implicit-def: $vgpr14
	s_and_saveexec_b64 s[20:21], vcc
	s_xor_b64 s[78:79], exec, s[20:21]
	s_cbranch_execz .LBB2_5011
; %bb.5002:                             ;   in Loop: Header=BB2_4766 Depth=2
	v_mov_b32_e32 v14, 0
	v_cmp_ne_u32_e32 vcc, 0, v1
	s_and_saveexec_b64 s[88:89], vcc
	s_cbranch_execz .LBB2_5010
; %bb.5003:                             ;   in Loop: Header=BB2_4766 Depth=2
	v_and_b32_e32 v4, 0x7fffff, v1
	v_bfe_u32 v1, v1, 23, 8
	v_cmp_gt_u32_e64 s[20:21], s49, v1
	v_sub_u32_e32 v2, 0x79, v1
	v_cmp_eq_u32_e32 vcc, 0, v1
	v_cndmask_b32_e64 v2, 0, v2, s[20:21]
	v_or_b32_e32 v5, 0x800000, v4
	v_cndmask_b32_e32 v2, v2, v60, vcc
	v_cndmask_b32_e32 v32, v5, v4, vcc
	v_add_u32_e32 v4, 20, v2
	v_lshlrev_b64 v[4:5], v4, -1
	v_add_u32_e32 v6, 19, v2
	v_lshlrev_b64 v[6:7], v6, 1
	v_lshrrev_b64 v[10:11], v2, v[32:33]
	v_bfi_b32 v5, v5, 0, 0
	v_bfi_b32 v4, v4, 0, v32
	v_cmp_eq_u64_e64 s[20:21], v[4:5], v[6:7]
	v_mov_b32_e32 v42, v11
	v_mov_b32_e32 v41, v10
	s_and_saveexec_b64 s[90:91], s[20:21]
; %bb.5004:                             ;   in Loop: Header=BB2_4766 Depth=2
	v_bfe_u32 v4, v10, 20, 1
	v_add_co_u32_e64 v4, s[20:21], v10, v4
	v_add_co_u32_e64 v41, s[20:21], -1, v4
; %bb.5005:                             ;   in Loop: Header=BB2_4766 Depth=2
	s_or_b64 exec, exec, s[90:91]
	v_add_u32_e32 v1, 0xffffff81, v1
	v_cndmask_b32_e32 v1, v1, v61, vcc
	v_lshrrev_b32_e32 v4, 23, v10
	v_add3_u32 v4, v2, v1, v4
	v_add_u32_e32 v2, 6, v4
	v_and_b32_e32 v1, 0xfffff, v41
	v_add_u32_e32 v32, v1, v10
	v_cmp_ne_u32_e32 vcc, 0, v2
                                        ; implicit-def: $vgpr10_vgpr11
                                        ; implicit-def: $vgpr1
	s_and_saveexec_b64 s[20:21], vcc
	s_xor_b64 s[20:21], exec, s[20:21]
; %bb.5006:                             ;   in Loop: Header=BB2_4766 Depth=2
	v_cmp_lt_u64_e32 vcc, s[58:59], v[32:33]
	v_add_u32_e32 v1, 7, v4
	v_cndmask_b32_e32 v1, v2, v1, vcc
	v_cndmask_b32_e64 v2, 0, 1, vcc
	v_lshrrev_b64 v[10:11], v2, v[32:33]
; %bb.5007:                             ;   in Loop: Header=BB2_4766 Depth=2
	s_andn2_saveexec_b64 s[20:21], s[20:21]
; %bb.5008:                             ;   in Loop: Header=BB2_4766 Depth=2
	v_mov_b32_e32 v10, v32
	v_bfe_u32 v1, v32, 23, 1
	v_mov_b32_e32 v11, v33
; %bb.5009:                             ;   in Loop: Header=BB2_4766 Depth=2
	s_or_b64 exec, exec, s[20:21]
	v_lshrrev_b64 v[4:5], 20, v[10:11]
	v_cmp_gt_i32_e32 vcc, 16, v1
	v_cndmask_b32_e32 v5, 0, v5, vcc
	v_cndmask_b32_e32 v4, 7, v4, vcc
	v_cmp_eq_u32_e32 vcc, 0, v1
	v_min_i32_e32 v1, 15, v1
	v_cmp_eq_u64_e64 s[20:21], 0, v[4:5]
	v_lshlrev_b32_e32 v1, 3, v1
	v_and_b32_e32 v1, 0xf8, v1
	v_and_or_b32 v1, v4, 7, v1
	s_and_b64 s[20:21], vcc, s[20:21]
	v_cndmask_b32_e64 v1, v1, 0, s[20:21]
	v_or_b32_e32 v14, v1, v0
.LBB2_5010:                             ;   in Loop: Header=BB2_4766 Depth=2
	s_or_b64 exec, exec, s[88:89]
                                        ; implicit-def: $vgpr0
.LBB2_5011:                             ;   in Loop: Header=BB2_4766 Depth=2
	s_andn2_saveexec_b64 s[20:21], s[78:79]
; %bb.5012:                             ;   in Loop: Header=BB2_4766 Depth=2
	v_or_b32_e32 v14, 0x7e, v0
; %bb.5013:                             ;   in Loop: Header=BB2_4766 Depth=2
	s_or_b64 exec, exec, s[20:21]
                                        ; implicit-def: $vgpr1
.LBB2_5014:                             ;   in Loop: Header=BB2_4766 Depth=2
	s_andn2_saveexec_b64 s[20:21], s[76:77]
; %bb.5015:                             ;   in Loop: Header=BB2_4766 Depth=2
	v_or_b32_sdwa v14, v1, s39 dst_sel:DWORD dst_unused:UNUSED_PAD src0_sel:BYTE_3 src1_sel:DWORD
; %bb.5016:                             ;   in Loop: Header=BB2_4766 Depth=2
	s_or_b64 exec, exec, s[20:21]
	v_cmp_lt_u32_e32 vcc, s61, v12
	v_mov_b32_e32 v0, 0
	s_and_saveexec_b64 s[20:21], vcc
	s_cbranch_execz .LBB2_5022
; %bb.5017:                             ;   in Loop: Header=BB2_4766 Depth=2
	v_lshrrev_b32_e32 v10, 24, v12
	v_cmp_ne_u32_e32 vcc, s48, v10
	v_bfrev_b32_e32 v0, 1
	s_and_saveexec_b64 s[76:77], vcc
	s_cbranch_execz .LBB2_5021
; %bb.5018:                             ;   in Loop: Header=BB2_4766 Depth=2
	v_bfe_u32 v1, v12, 24, 7
	v_cmp_ne_u32_e32 vcc, s39, v1
	v_mov_b32_e32 v0, 0x7f800001
	s_and_saveexec_b64 s[78:79], vcc
	s_cbranch_execz .LBB2_5020
; %bb.5019:                             ;   in Loop: Header=BB2_4766 Depth=2
	v_and_b32_e32 v2, 7, v10
	v_ffbh_u32_e32 v0, v2
	v_min_u32_e32 v5, 32, v0
	v_subrev_u32_e32 v0, 28, v5
	v_lshrrev_b32_e32 v4, 3, v1
	v_cmp_gt_u32_e32 vcc, 8, v1
	v_lshlrev_b64 v[0:1], v0, v[10:11]
	v_sub_u32_e32 v1, 29, v5
	v_and_b32_e32 v0, 7, v0
	v_cndmask_b32_e32 v1, v4, v1, vcc
	v_cndmask_b32_e32 v0, v2, v0, vcc
	v_lshlrev_b32_e32 v2, 24, v10
	v_lshlrev_b32_e32 v0, 20, v0
	v_and_b32_e32 v2, 0x80000000, v2
	v_lshl_add_u32 v1, v1, 23, v59
	v_or3_b32 v0, v2, v1, v0
.LBB2_5020:                             ;   in Loop: Header=BB2_4766 Depth=2
	s_or_b64 exec, exec, s[78:79]
.LBB2_5021:                             ;   in Loop: Header=BB2_4766 Depth=2
	s_or_b64 exec, exec, s[76:77]
.LBB2_5022:                             ;   in Loop: Header=BB2_4766 Depth=2
	s_or_b64 exec, exec, s[20:21]
	v_mul_f32_e32 v1, v55, v0
	v_and_b32_e32 v32, 0x7f800000, v1
	v_cmp_ne_u64_e32 vcc, s[46:47], v[32:33]
                                        ; implicit-def: $vgpr15
	s_and_saveexec_b64 s[20:21], vcc
	s_xor_b64 s[76:77], exec, s[20:21]
	s_cbranch_execz .LBB2_5036
; %bb.5023:                             ;   in Loop: Header=BB2_4766 Depth=2
	v_and_b32_e32 v32, 0x7fffffff, v1
	v_cmp_gt_u64_e32 vcc, s[56:57], v[32:33]
	v_and_b32_sdwa v0, v1, s48 dst_sel:DWORD dst_unused:UNUSED_PAD src0_sel:BYTE_3 src1_sel:DWORD
                                        ; implicit-def: $vgpr15
	s_and_saveexec_b64 s[20:21], vcc
	s_xor_b64 s[78:79], exec, s[20:21]
	s_cbranch_execz .LBB2_5033
; %bb.5024:                             ;   in Loop: Header=BB2_4766 Depth=2
	v_mov_b32_e32 v15, 0
	v_cmp_ne_u32_e32 vcc, 0, v1
	s_and_saveexec_b64 s[88:89], vcc
	s_cbranch_execz .LBB2_5032
; %bb.5025:                             ;   in Loop: Header=BB2_4766 Depth=2
	v_and_b32_e32 v4, 0x7fffff, v1
	v_bfe_u32 v1, v1, 23, 8
	v_cmp_gt_u32_e64 s[20:21], s49, v1
	v_sub_u32_e32 v2, 0x79, v1
	v_cmp_eq_u32_e32 vcc, 0, v1
	v_cndmask_b32_e64 v2, 0, v2, s[20:21]
	v_or_b32_e32 v5, 0x800000, v4
	v_cndmask_b32_e32 v2, v2, v60, vcc
	v_cndmask_b32_e32 v32, v5, v4, vcc
	v_add_u32_e32 v4, 20, v2
	v_lshlrev_b64 v[4:5], v4, -1
	v_add_u32_e32 v6, 19, v2
	v_lshlrev_b64 v[6:7], v6, 1
	v_lshrrev_b64 v[10:11], v2, v[32:33]
	v_bfi_b32 v5, v5, 0, 0
	v_bfi_b32 v4, v4, 0, v32
	v_cmp_eq_u64_e64 s[20:21], v[4:5], v[6:7]
	v_mov_b32_e32 v42, v11
	v_mov_b32_e32 v41, v10
	s_and_saveexec_b64 s[90:91], s[20:21]
; %bb.5026:                             ;   in Loop: Header=BB2_4766 Depth=2
	v_bfe_u32 v4, v10, 20, 1
	v_add_co_u32_e64 v4, s[20:21], v10, v4
	v_add_co_u32_e64 v41, s[20:21], -1, v4
; %bb.5027:                             ;   in Loop: Header=BB2_4766 Depth=2
	s_or_b64 exec, exec, s[90:91]
	v_add_u32_e32 v1, 0xffffff81, v1
	v_cndmask_b32_e32 v1, v1, v61, vcc
	v_lshrrev_b32_e32 v4, 23, v10
	v_add3_u32 v4, v2, v1, v4
	v_add_u32_e32 v2, 6, v4
	v_and_b32_e32 v1, 0xfffff, v41
	v_add_u32_e32 v32, v1, v10
	v_cmp_ne_u32_e32 vcc, 0, v2
                                        ; implicit-def: $vgpr10_vgpr11
                                        ; implicit-def: $vgpr1
	s_and_saveexec_b64 s[20:21], vcc
	s_xor_b64 s[20:21], exec, s[20:21]
; %bb.5028:                             ;   in Loop: Header=BB2_4766 Depth=2
	v_cmp_lt_u64_e32 vcc, s[58:59], v[32:33]
	v_add_u32_e32 v1, 7, v4
	v_cndmask_b32_e32 v1, v2, v1, vcc
	v_cndmask_b32_e64 v2, 0, 1, vcc
	v_lshrrev_b64 v[10:11], v2, v[32:33]
; %bb.5029:                             ;   in Loop: Header=BB2_4766 Depth=2
	s_andn2_saveexec_b64 s[20:21], s[20:21]
; %bb.5030:                             ;   in Loop: Header=BB2_4766 Depth=2
	v_mov_b32_e32 v10, v32
	v_bfe_u32 v1, v32, 23, 1
	v_mov_b32_e32 v11, v33
; %bb.5031:                             ;   in Loop: Header=BB2_4766 Depth=2
	s_or_b64 exec, exec, s[20:21]
	v_lshrrev_b64 v[4:5], 20, v[10:11]
	v_cmp_gt_i32_e32 vcc, 16, v1
	v_cndmask_b32_e32 v5, 0, v5, vcc
	v_cndmask_b32_e32 v4, 7, v4, vcc
	v_cmp_eq_u32_e32 vcc, 0, v1
	v_min_i32_e32 v1, 15, v1
	v_cmp_eq_u64_e64 s[20:21], 0, v[4:5]
	v_lshlrev_b32_e32 v1, 3, v1
	v_and_b32_e32 v1, 0xf8, v1
	v_and_or_b32 v1, v4, 7, v1
	s_and_b64 s[20:21], vcc, s[20:21]
	v_cndmask_b32_e64 v1, v1, 0, s[20:21]
	v_or_b32_e32 v15, v1, v0
.LBB2_5032:                             ;   in Loop: Header=BB2_4766 Depth=2
	s_or_b64 exec, exec, s[88:89]
                                        ; implicit-def: $vgpr0
.LBB2_5033:                             ;   in Loop: Header=BB2_4766 Depth=2
	s_andn2_saveexec_b64 s[20:21], s[78:79]
; %bb.5034:                             ;   in Loop: Header=BB2_4766 Depth=2
	v_or_b32_e32 v15, 0x7e, v0
; %bb.5035:                             ;   in Loop: Header=BB2_4766 Depth=2
	s_or_b64 exec, exec, s[20:21]
                                        ; implicit-def: $vgpr1
.LBB2_5036:                             ;   in Loop: Header=BB2_4766 Depth=2
	s_andn2_saveexec_b64 s[20:21], s[76:77]
; %bb.5037:                             ;   in Loop: Header=BB2_4766 Depth=2
	v_or_b32_sdwa v15, v1, s39 dst_sel:DWORD dst_unused:UNUSED_PAD src0_sel:BYTE_3 src1_sel:DWORD
; %bb.5038:                             ;   in Loop: Header=BB2_4766 Depth=2
	s_or_b64 exec, exec, s[20:21]
	v_mov_b32_e32 v32, v13
	v_cmp_ne_u16_sdwa s[76:77], v13, v33 src0_sel:BYTE_0 src1_sel:DWORD
	v_mov_b32_e32 v0, 0
	s_and_saveexec_b64 s[20:21], s[76:77]
	s_cbranch_execz .LBB2_5044
; %bb.5039:                             ;   in Loop: Header=BB2_4766 Depth=2
	v_cmp_ne_u16_sdwa s[78:79], v13, s48 src0_sel:BYTE_0 src1_sel:DWORD
	v_bfrev_b32_e32 v0, 1
	s_and_saveexec_b64 s[76:77], s[78:79]
	s_cbranch_execz .LBB2_5043
; %bb.5040:                             ;   in Loop: Header=BB2_4766 Depth=2
	v_and_b32_e32 v1, 0x7f, v13
	v_cmp_ne_u32_e32 vcc, s39, v1
	v_mov_b32_e32 v0, 0x7f800001
	s_and_saveexec_b64 s[78:79], vcc
	s_cbranch_execz .LBB2_5042
; %bb.5041:                             ;   in Loop: Header=BB2_4766 Depth=2
	v_and_b32_e32 v0, 7, v13
	v_ffbh_u32_e32 v0, v0
	v_min_u32_e32 v0, 32, v0
	v_lshrrev_b32_e32 v2, 3, v1
	v_cmp_gt_u32_e32 vcc, 8, v1
	v_subrev_u32_e32 v1, 28, v0
	v_sub_u32_e32 v0, 29, v0
	v_cndmask_b32_e32 v2, v2, v0, vcc
	v_cndmask_b32_e32 v0, 0, v1, vcc
	v_lshlrev_b64 v[0:1], v0, v[32:33]
	v_lshlrev_b32_e32 v1, 24, v32
	v_lshlrev_b32_e32 v0, 20, v0
	v_and_b32_e32 v0, 0x700000, v0
	v_and_b32_e32 v1, 0x80000000, v1
	v_lshl_add_u32 v2, v2, 23, v59
	v_or3_b32 v0, v1, v2, v0
.LBB2_5042:                             ;   in Loop: Header=BB2_4766 Depth=2
	s_or_b64 exec, exec, s[78:79]
.LBB2_5043:                             ;   in Loop: Header=BB2_4766 Depth=2
	s_or_b64 exec, exec, s[76:77]
.LBB2_5044:                             ;   in Loop: Header=BB2_4766 Depth=2
	s_or_b64 exec, exec, s[20:21]
	v_mul_f32_e32 v2, v55, v0
	v_and_b32_e32 v0, 0x7f800000, v2
	v_mov_b32_e32 v1, v33
	v_cmp_ne_u64_e32 vcc, s[46:47], v[0:1]
                                        ; implicit-def: $vgpr0
	s_and_saveexec_b64 s[20:21], vcc
	s_xor_b64 s[76:77], exec, s[20:21]
	s_cbranch_execz .LBB2_5058
; %bb.5045:                             ;   in Loop: Header=BB2_4766 Depth=2
	v_and_b32_e32 v0, 0x7fffffff, v2
	v_mov_b32_e32 v1, v33
	v_cmp_gt_u64_e32 vcc, s[56:57], v[0:1]
	v_and_b32_sdwa v1, v2, s48 dst_sel:DWORD dst_unused:UNUSED_PAD src0_sel:BYTE_3 src1_sel:DWORD
                                        ; implicit-def: $vgpr0
	s_and_saveexec_b64 s[20:21], vcc
	s_xor_b64 s[78:79], exec, s[20:21]
	s_cbranch_execz .LBB2_5055
; %bb.5046:                             ;   in Loop: Header=BB2_4766 Depth=2
	v_mov_b32_e32 v0, 0
	v_cmp_ne_u32_e32 vcc, 0, v2
	s_and_saveexec_b64 s[88:89], vcc
	s_cbranch_execz .LBB2_5054
; %bb.5047:                             ;   in Loop: Header=BB2_4766 Depth=2
	v_bfe_u32 v0, v2, 23, 8
	v_and_b32_e32 v4, 0x7fffff, v2
	v_cmp_gt_u32_e64 s[20:21], s49, v0
	v_sub_u32_e32 v2, 0x79, v0
	v_cmp_eq_u32_e32 vcc, 0, v0
	v_cndmask_b32_e64 v2, 0, v2, s[20:21]
	v_cndmask_b32_e32 v2, v2, v60, vcc
	v_or_b32_e32 v5, 0x800000, v4
	v_add_u32_e32 v6, 20, v2
	v_cndmask_b32_e32 v4, v5, v4, vcc
	v_mov_b32_e32 v5, v33
	v_lshlrev_b64 v[6:7], v6, -1
	v_add_u32_e32 v8, 19, v2
	v_lshlrev_b64 v[8:9], v8, 1
	v_lshrrev_b64 v[10:11], v2, v[4:5]
	v_bfi_b32 v7, v7, 0, 0
	v_bfi_b32 v6, v6, 0, v4
	v_cmp_eq_u64_e64 s[20:21], v[6:7], v[8:9]
	v_mov_b32_e32 v42, v11
	v_mov_b32_e32 v41, v10
	s_and_saveexec_b64 s[90:91], s[20:21]
; %bb.5048:                             ;   in Loop: Header=BB2_4766 Depth=2
	v_bfe_u32 v4, v10, 20, 1
	v_add_co_u32_e64 v4, s[20:21], v10, v4
	v_add_co_u32_e64 v41, s[20:21], -1, v4
; %bb.5049:                             ;   in Loop: Header=BB2_4766 Depth=2
	s_or_b64 exec, exec, s[90:91]
	v_add_u32_e32 v0, 0xffffff81, v0
	v_cndmask_b32_e32 v0, v0, v61, vcc
	v_lshrrev_b32_e32 v4, 23, v10
	v_add3_u32 v4, v2, v0, v4
	v_add_u32_e32 v2, 6, v4
	v_and_b32_e32 v0, 0xfffff, v41
	v_add_u32_e32 v10, v0, v10
	v_mov_b32_e32 v11, v33
	v_cmp_ne_u32_e32 vcc, 0, v2
                                        ; implicit-def: $vgpr0
	s_and_saveexec_b64 s[20:21], vcc
	s_xor_b64 s[20:21], exec, s[20:21]
; %bb.5050:                             ;   in Loop: Header=BB2_4766 Depth=2
	v_cmp_lt_u64_e32 vcc, s[58:59], v[10:11]
	v_add_u32_e32 v0, 7, v4
	v_cndmask_b32_e32 v0, v2, v0, vcc
	v_cndmask_b32_e64 v2, 0, 1, vcc
	v_lshrrev_b64 v[10:11], v2, v[10:11]
; %bb.5051:                             ;   in Loop: Header=BB2_4766 Depth=2
	s_andn2_saveexec_b64 s[20:21], s[20:21]
; %bb.5052:                             ;   in Loop: Header=BB2_4766 Depth=2
	v_bfe_u32 v0, v10, 23, 1
; %bb.5053:                             ;   in Loop: Header=BB2_4766 Depth=2
	s_or_b64 exec, exec, s[20:21]
	v_lshrrev_b64 v[4:5], 20, v[10:11]
	v_cmp_gt_i32_e32 vcc, 16, v0
	v_cndmask_b32_e32 v5, 0, v5, vcc
	v_cndmask_b32_e32 v4, 7, v4, vcc
	v_cmp_eq_u32_e32 vcc, 0, v0
	v_min_i32_e32 v0, 15, v0
	v_cmp_eq_u64_e64 s[20:21], 0, v[4:5]
	v_lshlrev_b32_e32 v0, 3, v0
	v_and_b32_e32 v0, 0xf8, v0
	v_and_or_b32 v0, v4, 7, v0
	s_and_b64 s[20:21], vcc, s[20:21]
	v_cndmask_b32_e64 v0, v0, 0, s[20:21]
	v_or_b32_e32 v0, v0, v1
.LBB2_5054:                             ;   in Loop: Header=BB2_4766 Depth=2
	s_or_b64 exec, exec, s[88:89]
                                        ; implicit-def: $vgpr1
.LBB2_5055:                             ;   in Loop: Header=BB2_4766 Depth=2
	s_andn2_saveexec_b64 s[20:21], s[78:79]
; %bb.5056:                             ;   in Loop: Header=BB2_4766 Depth=2
	v_or_b32_e32 v0, 0x7e, v1
; %bb.5057:                             ;   in Loop: Header=BB2_4766 Depth=2
	s_or_b64 exec, exec, s[20:21]
                                        ; implicit-def: $vgpr2
.LBB2_5058:                             ;   in Loop: Header=BB2_4766 Depth=2
	s_andn2_saveexec_b64 s[20:21], s[76:77]
; %bb.5059:                             ;   in Loop: Header=BB2_4766 Depth=2
	v_or_b32_sdwa v0, v2, s39 dst_sel:DWORD dst_unused:UNUSED_PAD src0_sel:BYTE_3 src1_sel:DWORD
; %bb.5060:                             ;   in Loop: Header=BB2_4766 Depth=2
	s_or_b64 exec, exec, s[20:21]
	v_lshrrev_b16_e32 v10, 8, v32
	v_cmp_ne_u16_e32 vcc, 0, v10
	v_mov_b32_e32 v1, 0
	s_and_saveexec_b64 s[20:21], vcc
	s_cbranch_execz .LBB2_5066
; %bb.5061:                             ;   in Loop: Header=BB2_4766 Depth=2
	v_cmp_ne_u16_e32 vcc, s48, v10
	v_bfrev_b32_e32 v1, 1
	s_and_saveexec_b64 s[76:77], vcc
	s_cbranch_execz .LBB2_5065
; %bb.5062:                             ;   in Loop: Header=BB2_4766 Depth=2
	v_and_b32_e32 v2, 0x7f, v10
	v_cmp_ne_u32_e32 vcc, s39, v2
	v_mov_b32_e32 v1, 0x7f800001
	s_and_saveexec_b64 s[78:79], vcc
	s_cbranch_execz .LBB2_5064
; %bb.5063:                             ;   in Loop: Header=BB2_4766 Depth=2
	v_and_b32_e32 v4, 7, v10
	v_ffbh_u32_e32 v1, v4
	v_min_u32_e32 v6, 32, v1
	v_subrev_u32_e32 v1, 28, v6
	v_lshrrev_b32_e32 v5, 3, v2
	v_cmp_gt_u32_e32 vcc, 8, v2
	v_lshlrev_b64 v[1:2], v1, v[10:11]
	v_sub_u32_e32 v2, 29, v6
	v_and_b32_e32 v1, 7, v1
	v_cndmask_b32_e32 v2, v5, v2, vcc
	v_cndmask_b32_e32 v1, v4, v1, vcc
	v_lshlrev_b32_e32 v4, 16, v32
	v_lshlrev_b32_e32 v1, 20, v1
	v_and_b32_e32 v4, 0x80000000, v4
	v_lshl_add_u32 v2, v2, 23, v59
	v_or3_b32 v1, v4, v2, v1
.LBB2_5064:                             ;   in Loop: Header=BB2_4766 Depth=2
	s_or_b64 exec, exec, s[78:79]
.LBB2_5065:                             ;   in Loop: Header=BB2_4766 Depth=2
	s_or_b64 exec, exec, s[76:77]
.LBB2_5066:                             ;   in Loop: Header=BB2_4766 Depth=2
	s_or_b64 exec, exec, s[20:21]
	v_mul_f32_e32 v2, v55, v1
	v_and_b32_e32 v32, 0x7f800000, v2
	v_cmp_ne_u64_e32 vcc, s[46:47], v[32:33]
                                        ; implicit-def: $vgpr1
	s_and_saveexec_b64 s[20:21], vcc
	s_xor_b64 s[76:77], exec, s[20:21]
	s_cbranch_execz .LBB2_5080
; %bb.5067:                             ;   in Loop: Header=BB2_4766 Depth=2
	v_and_b32_e32 v32, 0x7fffffff, v2
	v_cmp_gt_u64_e32 vcc, s[56:57], v[32:33]
	v_and_b32_sdwa v4, v2, s48 dst_sel:DWORD dst_unused:UNUSED_PAD src0_sel:BYTE_3 src1_sel:DWORD
                                        ; implicit-def: $vgpr1
	s_and_saveexec_b64 s[20:21], vcc
	s_xor_b64 s[78:79], exec, s[20:21]
	s_cbranch_execz .LBB2_5077
; %bb.5068:                             ;   in Loop: Header=BB2_4766 Depth=2
	v_mov_b32_e32 v1, 0
	v_cmp_ne_u32_e32 vcc, 0, v2
	s_and_saveexec_b64 s[88:89], vcc
	s_cbranch_execz .LBB2_5076
; %bb.5069:                             ;   in Loop: Header=BB2_4766 Depth=2
	v_bfe_u32 v1, v2, 23, 8
	v_and_b32_e32 v5, 0x7fffff, v2
	v_cmp_gt_u32_e64 s[20:21], s49, v1
	v_sub_u32_e32 v2, 0x79, v1
	v_cmp_eq_u32_e32 vcc, 0, v1
	v_cndmask_b32_e64 v2, 0, v2, s[20:21]
	v_or_b32_e32 v6, 0x800000, v5
	v_cndmask_b32_e32 v2, v2, v60, vcc
	v_cndmask_b32_e32 v32, v6, v5, vcc
	v_add_u32_e32 v5, 20, v2
	v_lshlrev_b64 v[5:6], v5, -1
	v_add_u32_e32 v7, 19, v2
	v_lshlrev_b64 v[7:8], v7, 1
	v_lshrrev_b64 v[10:11], v2, v[32:33]
	v_bfi_b32 v6, v6, 0, 0
	v_bfi_b32 v5, v5, 0, v32
	v_cmp_eq_u64_e64 s[20:21], v[5:6], v[7:8]
	v_mov_b32_e32 v42, v11
	v_mov_b32_e32 v41, v10
	s_and_saveexec_b64 s[90:91], s[20:21]
; %bb.5070:                             ;   in Loop: Header=BB2_4766 Depth=2
	v_bfe_u32 v5, v10, 20, 1
	v_add_co_u32_e64 v5, s[20:21], v10, v5
	v_add_co_u32_e64 v41, s[20:21], -1, v5
; %bb.5071:                             ;   in Loop: Header=BB2_4766 Depth=2
	s_or_b64 exec, exec, s[90:91]
	v_add_u32_e32 v1, 0xffffff81, v1
	v_cndmask_b32_e32 v1, v1, v61, vcc
	v_lshrrev_b32_e32 v5, 23, v10
	v_add3_u32 v5, v2, v1, v5
	v_add_u32_e32 v2, 6, v5
	v_and_b32_e32 v1, 0xfffff, v41
	v_add_u32_e32 v32, v1, v10
	v_cmp_ne_u32_e32 vcc, 0, v2
                                        ; implicit-def: $vgpr10_vgpr11
                                        ; implicit-def: $vgpr1
	s_and_saveexec_b64 s[20:21], vcc
	s_xor_b64 s[20:21], exec, s[20:21]
; %bb.5072:                             ;   in Loop: Header=BB2_4766 Depth=2
	v_cmp_lt_u64_e32 vcc, s[58:59], v[32:33]
	v_add_u32_e32 v1, 7, v5
	v_cndmask_b32_e32 v1, v2, v1, vcc
	v_cndmask_b32_e64 v2, 0, 1, vcc
	v_lshrrev_b64 v[10:11], v2, v[32:33]
; %bb.5073:                             ;   in Loop: Header=BB2_4766 Depth=2
	s_andn2_saveexec_b64 s[20:21], s[20:21]
; %bb.5074:                             ;   in Loop: Header=BB2_4766 Depth=2
	v_mov_b32_e32 v10, v32
	v_bfe_u32 v1, v32, 23, 1
	v_mov_b32_e32 v11, v33
; %bb.5075:                             ;   in Loop: Header=BB2_4766 Depth=2
	s_or_b64 exec, exec, s[20:21]
	v_lshrrev_b64 v[5:6], 20, v[10:11]
	v_cmp_gt_i32_e32 vcc, 16, v1
	v_cndmask_b32_e32 v6, 0, v6, vcc
	v_cndmask_b32_e32 v5, 7, v5, vcc
	v_cmp_eq_u32_e32 vcc, 0, v1
	v_min_i32_e32 v1, 15, v1
	v_cmp_eq_u64_e64 s[20:21], 0, v[5:6]
	v_lshlrev_b32_e32 v1, 3, v1
	v_and_b32_e32 v1, 0xf8, v1
	v_and_or_b32 v1, v5, 7, v1
	s_and_b64 s[20:21], vcc, s[20:21]
	v_cndmask_b32_e64 v1, v1, 0, s[20:21]
	v_or_b32_e32 v1, v1, v4
.LBB2_5076:                             ;   in Loop: Header=BB2_4766 Depth=2
	s_or_b64 exec, exec, s[88:89]
                                        ; implicit-def: $vgpr4
.LBB2_5077:                             ;   in Loop: Header=BB2_4766 Depth=2
	s_andn2_saveexec_b64 s[20:21], s[78:79]
; %bb.5078:                             ;   in Loop: Header=BB2_4766 Depth=2
	v_or_b32_e32 v1, 0x7e, v4
; %bb.5079:                             ;   in Loop: Header=BB2_4766 Depth=2
	s_or_b64 exec, exec, s[20:21]
                                        ; implicit-def: $vgpr2
.LBB2_5080:                             ;   in Loop: Header=BB2_4766 Depth=2
	s_andn2_saveexec_b64 s[20:21], s[76:77]
; %bb.5081:                             ;   in Loop: Header=BB2_4766 Depth=2
	v_or_b32_sdwa v1, v2, s39 dst_sel:DWORD dst_unused:UNUSED_PAD src0_sel:BYTE_3 src1_sel:DWORD
; %bb.5082:                             ;   in Loop: Header=BB2_4766 Depth=2
	s_or_b64 exec, exec, s[20:21]
	v_lshrrev_b32_e32 v10, 16, v13
	v_cmp_ne_u16_sdwa s[76:77], v10, v33 src0_sel:BYTE_0 src1_sel:DWORD
	v_mov_b32_e32 v2, 0
	s_and_saveexec_b64 s[20:21], s[76:77]
	s_cbranch_execz .LBB2_5088
; %bb.5083:                             ;   in Loop: Header=BB2_4766 Depth=2
	v_cmp_ne_u16_sdwa s[78:79], v10, s48 src0_sel:BYTE_0 src1_sel:DWORD
	v_bfrev_b32_e32 v2, 1
	s_and_saveexec_b64 s[76:77], s[78:79]
	s_cbranch_execz .LBB2_5087
; %bb.5084:                             ;   in Loop: Header=BB2_4766 Depth=2
	v_bfe_u32 v4, v13, 16, 7
	v_cmp_ne_u32_e32 vcc, s39, v4
	v_mov_b32_e32 v2, 0x7f800001
	s_and_saveexec_b64 s[78:79], vcc
	s_cbranch_execz .LBB2_5086
; %bb.5085:                             ;   in Loop: Header=BB2_4766 Depth=2
	v_and_b32_e32 v2, 7, v10
	v_lshrrev_b32_e32 v6, 3, v4
	v_cmp_gt_u32_e32 vcc, 8, v4
	v_ffbh_u32_e32 v4, v2
	v_min_u32_e32 v7, 32, v4
	v_subrev_u32_e32 v4, 28, v7
	v_lshlrev_b64 v[4:5], v4, v[10:11]
	v_sub_u32_e32 v5, 29, v7
	v_and_b32_e32 v4, 7, v4
	v_cndmask_b32_e32 v5, v6, v5, vcc
	v_cndmask_b32_e32 v2, v2, v4, vcc
	v_lshlrev_b32_e32 v4, 24, v10
	v_lshlrev_b32_e32 v2, 20, v2
	v_and_b32_e32 v4, 0x80000000, v4
	v_lshl_add_u32 v5, v5, 23, v59
	v_or3_b32 v2, v4, v5, v2
.LBB2_5086:                             ;   in Loop: Header=BB2_4766 Depth=2
	s_or_b64 exec, exec, s[78:79]
.LBB2_5087:                             ;   in Loop: Header=BB2_4766 Depth=2
	s_or_b64 exec, exec, s[76:77]
.LBB2_5088:                             ;   in Loop: Header=BB2_4766 Depth=2
	s_or_b64 exec, exec, s[20:21]
	v_mul_f32_e32 v2, v55, v2
	v_and_b32_e32 v32, 0x7f800000, v2
	v_cmp_ne_u64_e32 vcc, s[46:47], v[32:33]
                                        ; implicit-def: $vgpr42
	s_and_saveexec_b64 s[20:21], vcc
	s_xor_b64 s[76:77], exec, s[20:21]
	s_cbranch_execz .LBB2_5102
; %bb.5089:                             ;   in Loop: Header=BB2_4766 Depth=2
	v_and_b32_e32 v32, 0x7fffffff, v2
	v_cmp_gt_u64_e32 vcc, s[56:57], v[32:33]
	v_and_b32_sdwa v4, v2, s48 dst_sel:DWORD dst_unused:UNUSED_PAD src0_sel:BYTE_3 src1_sel:DWORD
                                        ; implicit-def: $vgpr42
	s_and_saveexec_b64 s[20:21], vcc
	s_xor_b64 s[78:79], exec, s[20:21]
	s_cbranch_execz .LBB2_5099
; %bb.5090:                             ;   in Loop: Header=BB2_4766 Depth=2
	v_mov_b32_e32 v42, 0
	v_cmp_ne_u32_e32 vcc, 0, v2
	s_and_saveexec_b64 s[88:89], vcc
	s_cbranch_execz .LBB2_5098
; %bb.5091:                             ;   in Loop: Header=BB2_4766 Depth=2
	v_and_b32_e32 v6, 0x7fffff, v2
	v_bfe_u32 v2, v2, 23, 8
	v_cmp_gt_u32_e64 s[20:21], s49, v2
	v_sub_u32_e32 v5, 0x79, v2
	v_cmp_eq_u32_e32 vcc, 0, v2
	v_cndmask_b32_e64 v5, 0, v5, s[20:21]
	v_or_b32_e32 v7, 0x800000, v6
	v_cndmask_b32_e32 v5, v5, v60, vcc
	v_cndmask_b32_e32 v32, v7, v6, vcc
	v_add_u32_e32 v6, 20, v5
	v_lshlrev_b64 v[6:7], v6, -1
	v_add_u32_e32 v8, 19, v5
	v_lshlrev_b64 v[8:9], v8, 1
	v_lshrrev_b64 v[10:11], v5, v[32:33]
	v_bfi_b32 v7, v7, 0, 0
	v_bfi_b32 v6, v6, 0, v32
	v_cmp_eq_u64_e64 s[20:21], v[6:7], v[8:9]
	v_mov_b32_e32 v42, v11
	v_mov_b32_e32 v41, v10
	s_and_saveexec_b64 s[90:91], s[20:21]
; %bb.5092:                             ;   in Loop: Header=BB2_4766 Depth=2
	v_bfe_u32 v6, v10, 20, 1
	v_add_co_u32_e64 v6, s[20:21], v10, v6
	v_add_co_u32_e64 v41, s[20:21], -1, v6
; %bb.5093:                             ;   in Loop: Header=BB2_4766 Depth=2
	s_or_b64 exec, exec, s[90:91]
	v_add_u32_e32 v2, 0xffffff81, v2
	v_cndmask_b32_e32 v2, v2, v61, vcc
	v_lshrrev_b32_e32 v6, 23, v10
	v_add3_u32 v6, v5, v2, v6
	v_add_u32_e32 v5, 6, v6
	v_and_b32_e32 v2, 0xfffff, v41
	v_add_u32_e32 v32, v2, v10
	v_cmp_ne_u32_e32 vcc, 0, v5
                                        ; implicit-def: $vgpr10_vgpr11
                                        ; implicit-def: $vgpr2
	s_and_saveexec_b64 s[20:21], vcc
	s_xor_b64 s[20:21], exec, s[20:21]
; %bb.5094:                             ;   in Loop: Header=BB2_4766 Depth=2
	v_cmp_lt_u64_e32 vcc, s[58:59], v[32:33]
	v_add_u32_e32 v2, 7, v6
	v_cndmask_b32_e32 v2, v5, v2, vcc
	v_cndmask_b32_e64 v5, 0, 1, vcc
	v_lshrrev_b64 v[10:11], v5, v[32:33]
; %bb.5095:                             ;   in Loop: Header=BB2_4766 Depth=2
	s_andn2_saveexec_b64 s[20:21], s[20:21]
; %bb.5096:                             ;   in Loop: Header=BB2_4766 Depth=2
	v_mov_b32_e32 v10, v32
	v_bfe_u32 v2, v32, 23, 1
	v_mov_b32_e32 v11, v33
; %bb.5097:                             ;   in Loop: Header=BB2_4766 Depth=2
	s_or_b64 exec, exec, s[20:21]
	v_lshrrev_b64 v[5:6], 20, v[10:11]
	v_cmp_gt_i32_e32 vcc, 16, v2
	v_cndmask_b32_e32 v6, 0, v6, vcc
	v_cndmask_b32_e32 v5, 7, v5, vcc
	v_cmp_eq_u32_e32 vcc, 0, v2
	v_min_i32_e32 v2, 15, v2
	v_cmp_eq_u64_e64 s[20:21], 0, v[5:6]
	v_lshlrev_b32_e32 v2, 3, v2
	v_and_b32_e32 v2, 0xf8, v2
	v_and_or_b32 v2, v5, 7, v2
	s_and_b64 s[20:21], vcc, s[20:21]
	v_cndmask_b32_e64 v2, v2, 0, s[20:21]
	v_or_b32_e32 v42, v2, v4
.LBB2_5098:                             ;   in Loop: Header=BB2_4766 Depth=2
	s_or_b64 exec, exec, s[88:89]
                                        ; implicit-def: $vgpr4
.LBB2_5099:                             ;   in Loop: Header=BB2_4766 Depth=2
	s_andn2_saveexec_b64 s[20:21], s[78:79]
; %bb.5100:                             ;   in Loop: Header=BB2_4766 Depth=2
	v_or_b32_e32 v42, 0x7e, v4
; %bb.5101:                             ;   in Loop: Header=BB2_4766 Depth=2
	s_or_b64 exec, exec, s[20:21]
                                        ; implicit-def: $vgpr2
.LBB2_5102:                             ;   in Loop: Header=BB2_4766 Depth=2
	s_andn2_saveexec_b64 s[20:21], s[76:77]
; %bb.5103:                             ;   in Loop: Header=BB2_4766 Depth=2
	v_or_b32_sdwa v42, v2, s39 dst_sel:DWORD dst_unused:UNUSED_PAD src0_sel:BYTE_3 src1_sel:DWORD
; %bb.5104:                             ;   in Loop: Header=BB2_4766 Depth=2
	s_or_b64 exec, exec, s[20:21]
	v_cmp_lt_u64_e32 vcc, s[60:61], v[12:13]
	v_mov_b32_e32 v2, 0
	s_and_saveexec_b64 s[20:21], vcc
	s_cbranch_execz .LBB2_5110
; %bb.5105:                             ;   in Loop: Header=BB2_4766 Depth=2
	v_lshrrev_b32_e32 v10, 24, v13
	v_cmp_ne_u32_e32 vcc, s48, v10
	v_bfrev_b32_e32 v2, 1
	s_and_saveexec_b64 s[76:77], vcc
	s_cbranch_execz .LBB2_5109
; %bb.5106:                             ;   in Loop: Header=BB2_4766 Depth=2
	v_bfe_u32 v4, v13, 24, 7
	v_cmp_ne_u32_e32 vcc, s39, v4
	v_mov_b32_e32 v2, 0x7f800001
	s_and_saveexec_b64 s[78:79], vcc
	s_cbranch_execz .LBB2_5108
; %bb.5107:                             ;   in Loop: Header=BB2_4766 Depth=2
	v_and_b32_e32 v2, 7, v10
	v_lshrrev_b32_e32 v6, 3, v4
	v_cmp_gt_u32_e32 vcc, 8, v4
	v_ffbh_u32_e32 v4, v2
	v_min_u32_e32 v7, 32, v4
	v_subrev_u32_e32 v4, 28, v7
	v_lshlrev_b64 v[4:5], v4, v[10:11]
	v_sub_u32_e32 v5, 29, v7
	v_and_b32_e32 v4, 7, v4
	v_cndmask_b32_e32 v5, v6, v5, vcc
	v_cndmask_b32_e32 v2, v2, v4, vcc
	v_lshlrev_b32_e32 v4, 24, v10
	v_lshlrev_b32_e32 v2, 20, v2
	v_and_b32_e32 v4, 0x80000000, v4
	v_lshl_add_u32 v5, v5, 23, v59
	v_or3_b32 v2, v4, v5, v2
.LBB2_5108:                             ;   in Loop: Header=BB2_4766 Depth=2
	s_or_b64 exec, exec, s[78:79]
.LBB2_5109:                             ;   in Loop: Header=BB2_4766 Depth=2
	s_or_b64 exec, exec, s[76:77]
.LBB2_5110:                             ;   in Loop: Header=BB2_4766 Depth=2
	s_or_b64 exec, exec, s[20:21]
	v_mul_f32_e32 v2, v55, v2
	v_and_b32_e32 v32, 0x7f800000, v2
	v_cmp_ne_u64_e32 vcc, s[46:47], v[32:33]
                                        ; implicit-def: $vgpr20
	s_and_saveexec_b64 s[20:21], vcc
	s_xor_b64 s[76:77], exec, s[20:21]
	s_cbranch_execz .LBB2_5124
; %bb.5111:                             ;   in Loop: Header=BB2_4766 Depth=2
	v_and_b32_e32 v32, 0x7fffffff, v2
	v_cmp_gt_u64_e32 vcc, s[56:57], v[32:33]
	v_and_b32_sdwa v4, v2, s48 dst_sel:DWORD dst_unused:UNUSED_PAD src0_sel:BYTE_3 src1_sel:DWORD
                                        ; implicit-def: $vgpr20
	s_and_saveexec_b64 s[20:21], vcc
	s_xor_b64 s[78:79], exec, s[20:21]
	s_cbranch_execz .LBB2_5121
; %bb.5112:                             ;   in Loop: Header=BB2_4766 Depth=2
	v_mov_b32_e32 v20, 0
	v_cmp_ne_u32_e32 vcc, 0, v2
	s_and_saveexec_b64 s[88:89], vcc
	s_cbranch_execz .LBB2_5120
; %bb.5113:                             ;   in Loop: Header=BB2_4766 Depth=2
	v_and_b32_e32 v6, 0x7fffff, v2
	v_bfe_u32 v2, v2, 23, 8
	v_cmp_gt_u32_e64 s[20:21], s49, v2
	v_sub_u32_e32 v5, 0x79, v2
	v_cmp_eq_u32_e32 vcc, 0, v2
	v_cndmask_b32_e64 v5, 0, v5, s[20:21]
	v_or_b32_e32 v7, 0x800000, v6
	v_cndmask_b32_e32 v5, v5, v60, vcc
	v_cndmask_b32_e32 v32, v7, v6, vcc
	v_add_u32_e32 v6, 20, v5
	v_lshlrev_b64 v[6:7], v6, -1
	v_add_u32_e32 v8, 19, v5
	v_lshlrev_b64 v[8:9], v8, 1
	v_lshrrev_b64 v[10:11], v5, v[32:33]
	v_bfi_b32 v7, v7, 0, 0
	v_bfi_b32 v6, v6, 0, v32
	v_cmp_eq_u64_e64 s[20:21], v[6:7], v[8:9]
	v_mov_b32_e32 v12, v11
	v_mov_b32_e32 v11, v10
	s_and_saveexec_b64 s[90:91], s[20:21]
; %bb.5114:                             ;   in Loop: Header=BB2_4766 Depth=2
	v_bfe_u32 v6, v10, 20, 1
	v_add_co_u32_e64 v6, s[20:21], v10, v6
	v_add_co_u32_e64 v11, s[20:21], -1, v6
; %bb.5115:                             ;   in Loop: Header=BB2_4766 Depth=2
	s_or_b64 exec, exec, s[90:91]
	v_add_u32_e32 v2, 0xffffff81, v2
	v_cndmask_b32_e32 v2, v2, v61, vcc
	v_lshrrev_b32_e32 v6, 23, v10
	v_add3_u32 v6, v5, v2, v6
	v_add_u32_e32 v5, 6, v6
	v_and_b32_e32 v2, 0xfffff, v11
	v_add_u32_e32 v32, v2, v10
	v_cmp_ne_u32_e32 vcc, 0, v5
                                        ; implicit-def: $vgpr10_vgpr11
                                        ; implicit-def: $vgpr2
	s_and_saveexec_b64 s[20:21], vcc
	s_xor_b64 s[20:21], exec, s[20:21]
; %bb.5116:                             ;   in Loop: Header=BB2_4766 Depth=2
	v_cmp_lt_u64_e32 vcc, s[58:59], v[32:33]
	v_add_u32_e32 v2, 7, v6
	v_cndmask_b32_e32 v2, v5, v2, vcc
	v_cndmask_b32_e64 v5, 0, 1, vcc
	v_lshrrev_b64 v[10:11], v5, v[32:33]
; %bb.5117:                             ;   in Loop: Header=BB2_4766 Depth=2
	s_andn2_saveexec_b64 s[20:21], s[20:21]
; %bb.5118:                             ;   in Loop: Header=BB2_4766 Depth=2
	v_mov_b32_e32 v10, v32
	v_bfe_u32 v2, v32, 23, 1
	v_mov_b32_e32 v11, v33
; %bb.5119:                             ;   in Loop: Header=BB2_4766 Depth=2
	s_or_b64 exec, exec, s[20:21]
	v_lshrrev_b64 v[5:6], 20, v[10:11]
	v_cmp_gt_i32_e32 vcc, 16, v2
	v_cndmask_b32_e32 v6, 0, v6, vcc
	v_cndmask_b32_e32 v5, 7, v5, vcc
	v_cmp_eq_u32_e32 vcc, 0, v2
	v_min_i32_e32 v2, 15, v2
	v_cmp_eq_u64_e64 s[20:21], 0, v[5:6]
	v_lshlrev_b32_e32 v2, 3, v2
	v_and_b32_e32 v2, 0xf8, v2
	v_and_or_b32 v2, v5, 7, v2
	s_and_b64 s[20:21], vcc, s[20:21]
	v_cndmask_b32_e64 v2, v2, 0, s[20:21]
	v_or_b32_e32 v20, v2, v4
.LBB2_5120:                             ;   in Loop: Header=BB2_4766 Depth=2
	s_or_b64 exec, exec, s[88:89]
                                        ; implicit-def: $vgpr4
.LBB2_5121:                             ;   in Loop: Header=BB2_4766 Depth=2
	s_andn2_saveexec_b64 s[20:21], s[78:79]
; %bb.5122:                             ;   in Loop: Header=BB2_4766 Depth=2
	v_or_b32_e32 v20, 0x7e, v4
; %bb.5123:                             ;   in Loop: Header=BB2_4766 Depth=2
	s_or_b64 exec, exec, s[20:21]
                                        ; implicit-def: $vgpr2
.LBB2_5124:                             ;   in Loop: Header=BB2_4766 Depth=2
	s_andn2_saveexec_b64 s[20:21], s[76:77]
; %bb.5125:                             ;   in Loop: Header=BB2_4766 Depth=2
	v_or_b32_sdwa v20, v2, s39 dst_sel:DWORD dst_unused:UNUSED_PAD src0_sel:BYTE_3 src1_sel:DWORD
; %bb.5126:                             ;   in Loop: Header=BB2_4766 Depth=2
	s_or_b64 exec, exec, s[20:21]
	global_load_dwordx4 v[10:13], v[39:40], off offset:1024 glc slc
	v_mov_b32_e32 v2, 0
	s_waitcnt vmcnt(0)
	v_cmp_ne_u16_sdwa s[76:77], v10, v33 src0_sel:BYTE_0 src1_sel:DWORD
	s_and_saveexec_b64 s[20:21], s[76:77]
	s_cbranch_execz .LBB2_5132
; %bb.5127:                             ;   in Loop: Header=BB2_4766 Depth=2
	v_cmp_ne_u16_sdwa s[78:79], v10, s48 src0_sel:BYTE_0 src1_sel:DWORD
	v_bfrev_b32_e32 v2, 1
	s_and_saveexec_b64 s[76:77], s[78:79]
	s_cbranch_execz .LBB2_5131
; %bb.5128:                             ;   in Loop: Header=BB2_4766 Depth=2
	v_and_b32_e32 v4, 0x7f, v10
	v_cmp_ne_u32_e32 vcc, s39, v4
	v_mov_b32_e32 v2, 0x7f800001
	s_and_saveexec_b64 s[78:79], vcc
	s_cbranch_execz .LBB2_5130
; %bb.5129:                             ;   in Loop: Header=BB2_4766 Depth=2
	v_and_b32_e32 v2, 7, v10
	v_ffbh_u32_e32 v2, v2
	v_min_u32_e32 v2, 32, v2
	v_lshrrev_b32_e32 v5, 3, v4
	v_cmp_gt_u32_e32 vcc, 8, v4
	v_subrev_u32_e32 v4, 28, v2
	v_sub_u32_e32 v2, 29, v2
	v_cndmask_b32_e32 v4, 0, v4, vcc
	v_cndmask_b32_e32 v2, v5, v2, vcc
	v_lshlrev_b64 v[4:5], v4, v[10:11]
	v_lshlrev_b32_e32 v5, 24, v10
	v_lshlrev_b32_e32 v4, 20, v4
	v_and_b32_e32 v4, 0x700000, v4
	v_and_b32_e32 v5, 0x80000000, v5
	v_lshl_add_u32 v2, v2, 23, v59
	v_or3_b32 v2, v5, v2, v4
.LBB2_5130:                             ;   in Loop: Header=BB2_4766 Depth=2
	s_or_b64 exec, exec, s[78:79]
.LBB2_5131:                             ;   in Loop: Header=BB2_4766 Depth=2
	s_or_b64 exec, exec, s[76:77]
.LBB2_5132:                             ;   in Loop: Header=BB2_4766 Depth=2
	s_or_b64 exec, exec, s[20:21]
	v_mul_f32_e32 v2, v55, v2
	v_and_b32_e32 v32, 0x7f800000, v2
	v_cmp_ne_u64_e32 vcc, s[46:47], v[32:33]
                                        ; implicit-def: $vgpr21
	s_and_saveexec_b64 s[20:21], vcc
	s_xor_b64 s[76:77], exec, s[20:21]
	s_cbranch_execz .LBB2_5146
; %bb.5133:                             ;   in Loop: Header=BB2_4766 Depth=2
	v_and_b32_e32 v32, 0x7fffffff, v2
	v_cmp_gt_u64_e32 vcc, s[56:57], v[32:33]
	v_and_b32_sdwa v4, v2, s48 dst_sel:DWORD dst_unused:UNUSED_PAD src0_sel:BYTE_3 src1_sel:DWORD
                                        ; implicit-def: $vgpr21
	s_and_saveexec_b64 s[20:21], vcc
	s_xor_b64 s[78:79], exec, s[20:21]
	s_cbranch_execz .LBB2_5143
; %bb.5134:                             ;   in Loop: Header=BB2_4766 Depth=2
	v_mov_b32_e32 v21, 0
	v_cmp_ne_u32_e32 vcc, 0, v2
	s_and_saveexec_b64 s[88:89], vcc
	s_cbranch_execz .LBB2_5142
; %bb.5135:                             ;   in Loop: Header=BB2_4766 Depth=2
	v_and_b32_e32 v6, 0x7fffff, v2
	v_bfe_u32 v2, v2, 23, 8
	v_cmp_gt_u32_e64 s[20:21], s49, v2
	v_sub_u32_e32 v5, 0x79, v2
	v_cmp_eq_u32_e32 vcc, 0, v2
	v_cndmask_b32_e64 v5, 0, v5, s[20:21]
	v_or_b32_e32 v7, 0x800000, v6
	v_cndmask_b32_e32 v5, v5, v60, vcc
	v_cndmask_b32_e32 v32, v7, v6, vcc
	v_add_u32_e32 v6, 20, v5
	v_lshlrev_b64 v[6:7], v6, -1
	v_add_u32_e32 v8, 19, v5
	v_lshlrev_b64 v[8:9], v8, 1
	v_lshrrev_b64 v[39:40], v5, v[32:33]
	v_bfi_b32 v7, v7, 0, 0
	v_bfi_b32 v6, v6, 0, v32
	v_cmp_eq_u64_e64 s[20:21], v[6:7], v[8:9]
	v_mov_b32_e32 v41, v40
	v_mov_b32_e32 v40, v39
	s_and_saveexec_b64 s[90:91], s[20:21]
; %bb.5136:                             ;   in Loop: Header=BB2_4766 Depth=2
	v_bfe_u32 v6, v39, 20, 1
	v_add_co_u32_e64 v6, s[20:21], v39, v6
	v_add_co_u32_e64 v40, s[20:21], -1, v6
; %bb.5137:                             ;   in Loop: Header=BB2_4766 Depth=2
	s_or_b64 exec, exec, s[90:91]
	v_add_u32_e32 v2, 0xffffff81, v2
	v_cndmask_b32_e32 v2, v2, v61, vcc
	v_lshrrev_b32_e32 v6, 23, v39
	v_add3_u32 v6, v5, v2, v6
	v_add_u32_e32 v5, 6, v6
	v_and_b32_e32 v2, 0xfffff, v40
	v_add_u32_e32 v32, v2, v39
	v_cmp_ne_u32_e32 vcc, 0, v5
                                        ; implicit-def: $vgpr39_vgpr40
                                        ; implicit-def: $vgpr2
	s_and_saveexec_b64 s[20:21], vcc
	s_xor_b64 s[20:21], exec, s[20:21]
; %bb.5138:                             ;   in Loop: Header=BB2_4766 Depth=2
	v_cmp_lt_u64_e32 vcc, s[58:59], v[32:33]
	v_add_u32_e32 v2, 7, v6
	v_cndmask_b32_e32 v2, v5, v2, vcc
	v_cndmask_b32_e64 v5, 0, 1, vcc
	v_lshrrev_b64 v[39:40], v5, v[32:33]
; %bb.5139:                             ;   in Loop: Header=BB2_4766 Depth=2
	s_andn2_saveexec_b64 s[20:21], s[20:21]
; %bb.5140:                             ;   in Loop: Header=BB2_4766 Depth=2
	v_mov_b32_e32 v40, v33
	v_bfe_u32 v2, v32, 23, 1
	v_mov_b32_e32 v39, v32
; %bb.5141:                             ;   in Loop: Header=BB2_4766 Depth=2
	s_or_b64 exec, exec, s[20:21]
	v_lshrrev_b64 v[5:6], 20, v[39:40]
	v_cmp_gt_i32_e32 vcc, 16, v2
	v_cndmask_b32_e32 v6, 0, v6, vcc
	v_cndmask_b32_e32 v5, 7, v5, vcc
	v_cmp_eq_u32_e32 vcc, 0, v2
	v_min_i32_e32 v2, 15, v2
	v_cmp_eq_u64_e64 s[20:21], 0, v[5:6]
	v_lshlrev_b32_e32 v2, 3, v2
	v_and_b32_e32 v2, 0xf8, v2
	v_and_or_b32 v2, v5, 7, v2
	s_and_b64 s[20:21], vcc, s[20:21]
	v_cndmask_b32_e64 v2, v2, 0, s[20:21]
	v_or_b32_e32 v21, v2, v4
.LBB2_5142:                             ;   in Loop: Header=BB2_4766 Depth=2
	s_or_b64 exec, exec, s[88:89]
                                        ; implicit-def: $vgpr4
.LBB2_5143:                             ;   in Loop: Header=BB2_4766 Depth=2
	s_andn2_saveexec_b64 s[20:21], s[78:79]
; %bb.5144:                             ;   in Loop: Header=BB2_4766 Depth=2
	v_or_b32_e32 v21, 0x7e, v4
; %bb.5145:                             ;   in Loop: Header=BB2_4766 Depth=2
	s_or_b64 exec, exec, s[20:21]
                                        ; implicit-def: $vgpr2
.LBB2_5146:                             ;   in Loop: Header=BB2_4766 Depth=2
	s_andn2_saveexec_b64 s[20:21], s[76:77]
; %bb.5147:                             ;   in Loop: Header=BB2_4766 Depth=2
	v_or_b32_sdwa v21, v2, s39 dst_sel:DWORD dst_unused:UNUSED_PAD src0_sel:BYTE_3 src1_sel:DWORD
; %bb.5148:                             ;   in Loop: Header=BB2_4766 Depth=2
	s_or_b64 exec, exec, s[20:21]
	v_lshrrev_b16_e32 v30, 8, v10
	v_cmp_ne_u16_e32 vcc, 0, v30
	v_mov_b32_e32 v2, 0
	s_and_saveexec_b64 s[20:21], vcc
	s_cbranch_execz .LBB2_5154
; %bb.5149:                             ;   in Loop: Header=BB2_4766 Depth=2
	v_cmp_ne_u16_e32 vcc, s48, v30
	v_bfrev_b32_e32 v2, 1
	s_and_saveexec_b64 s[76:77], vcc
	s_cbranch_execz .LBB2_5153
; %bb.5150:                             ;   in Loop: Header=BB2_4766 Depth=2
	v_and_b32_e32 v4, 0x7f, v30
	v_cmp_ne_u32_e32 vcc, s39, v4
	v_mov_b32_e32 v2, 0x7f800001
	s_and_saveexec_b64 s[78:79], vcc
	s_cbranch_execz .LBB2_5152
; %bb.5151:                             ;   in Loop: Header=BB2_4766 Depth=2
	v_and_b32_e32 v2, 7, v30
	v_lshrrev_b32_e32 v6, 3, v4
	v_cmp_gt_u32_e32 vcc, 8, v4
	v_ffbh_u32_e32 v4, v2
	v_min_u32_e32 v7, 32, v4
	v_subrev_u32_e32 v4, 28, v7
	v_lshlrev_b64 v[4:5], v4, v[30:31]
	v_sub_u32_e32 v5, 29, v7
	v_and_b32_e32 v4, 7, v4
	v_cndmask_b32_e32 v5, v6, v5, vcc
	v_cndmask_b32_e32 v2, v2, v4, vcc
	v_lshlrev_b32_e32 v4, 16, v10
	v_lshlrev_b32_e32 v2, 20, v2
	v_and_b32_e32 v4, 0x80000000, v4
	v_lshl_add_u32 v5, v5, 23, v59
	v_or3_b32 v2, v4, v5, v2
.LBB2_5152:                             ;   in Loop: Header=BB2_4766 Depth=2
	s_or_b64 exec, exec, s[78:79]
.LBB2_5153:                             ;   in Loop: Header=BB2_4766 Depth=2
	s_or_b64 exec, exec, s[76:77]
.LBB2_5154:                             ;   in Loop: Header=BB2_4766 Depth=2
	s_or_b64 exec, exec, s[20:21]
	v_mul_f32_e32 v2, v55, v2
	v_and_b32_e32 v32, 0x7f800000, v2
	v_cmp_ne_u64_e32 vcc, s[46:47], v[32:33]
                                        ; implicit-def: $vgpr44
	s_and_saveexec_b64 s[20:21], vcc
	s_xor_b64 s[76:77], exec, s[20:21]
	s_cbranch_execz .LBB2_5168
; %bb.5155:                             ;   in Loop: Header=BB2_4766 Depth=2
	v_and_b32_e32 v32, 0x7fffffff, v2
	v_cmp_gt_u64_e32 vcc, s[56:57], v[32:33]
	v_and_b32_sdwa v4, v2, s48 dst_sel:DWORD dst_unused:UNUSED_PAD src0_sel:BYTE_3 src1_sel:DWORD
                                        ; implicit-def: $vgpr44
	s_and_saveexec_b64 s[20:21], vcc
	s_xor_b64 s[78:79], exec, s[20:21]
	s_cbranch_execz .LBB2_5165
; %bb.5156:                             ;   in Loop: Header=BB2_4766 Depth=2
	v_mov_b32_e32 v44, 0
	v_cmp_ne_u32_e32 vcc, 0, v2
	s_and_saveexec_b64 s[88:89], vcc
	s_cbranch_execz .LBB2_5164
; %bb.5157:                             ;   in Loop: Header=BB2_4766 Depth=2
	v_and_b32_e32 v6, 0x7fffff, v2
	v_bfe_u32 v2, v2, 23, 8
	v_cmp_gt_u32_e64 s[20:21], s49, v2
	v_sub_u32_e32 v5, 0x79, v2
	v_cmp_eq_u32_e32 vcc, 0, v2
	v_cndmask_b32_e64 v5, 0, v5, s[20:21]
	v_or_b32_e32 v7, 0x800000, v6
	v_cndmask_b32_e32 v5, v5, v60, vcc
	v_cndmask_b32_e32 v32, v7, v6, vcc
	v_add_u32_e32 v6, 20, v5
	v_lshlrev_b64 v[6:7], v6, -1
	v_add_u32_e32 v8, 19, v5
	v_lshlrev_b64 v[8:9], v8, 1
	v_lshrrev_b64 v[39:40], v5, v[32:33]
	v_bfi_b32 v7, v7, 0, 0
	v_bfi_b32 v6, v6, 0, v32
	v_cmp_eq_u64_e64 s[20:21], v[6:7], v[8:9]
	v_mov_b32_e32 v41, v40
	v_mov_b32_e32 v40, v39
	s_and_saveexec_b64 s[90:91], s[20:21]
; %bb.5158:                             ;   in Loop: Header=BB2_4766 Depth=2
	v_bfe_u32 v6, v39, 20, 1
	v_add_co_u32_e64 v6, s[20:21], v39, v6
	v_add_co_u32_e64 v40, s[20:21], -1, v6
; %bb.5159:                             ;   in Loop: Header=BB2_4766 Depth=2
	s_or_b64 exec, exec, s[90:91]
	v_add_u32_e32 v2, 0xffffff81, v2
	v_cndmask_b32_e32 v2, v2, v61, vcc
	v_lshrrev_b32_e32 v6, 23, v39
	v_add3_u32 v6, v5, v2, v6
	v_add_u32_e32 v5, 6, v6
	v_and_b32_e32 v2, 0xfffff, v40
	v_add_u32_e32 v32, v2, v39
	v_cmp_ne_u32_e32 vcc, 0, v5
                                        ; implicit-def: $vgpr39_vgpr40
                                        ; implicit-def: $vgpr2
	s_and_saveexec_b64 s[20:21], vcc
	s_xor_b64 s[20:21], exec, s[20:21]
; %bb.5160:                             ;   in Loop: Header=BB2_4766 Depth=2
	v_cmp_lt_u64_e32 vcc, s[58:59], v[32:33]
	v_add_u32_e32 v2, 7, v6
	v_cndmask_b32_e32 v2, v5, v2, vcc
	v_cndmask_b32_e64 v5, 0, 1, vcc
	v_lshrrev_b64 v[39:40], v5, v[32:33]
; %bb.5161:                             ;   in Loop: Header=BB2_4766 Depth=2
	s_andn2_saveexec_b64 s[20:21], s[20:21]
; %bb.5162:                             ;   in Loop: Header=BB2_4766 Depth=2
	v_mov_b32_e32 v40, v33
	v_bfe_u32 v2, v32, 23, 1
	v_mov_b32_e32 v39, v32
; %bb.5163:                             ;   in Loop: Header=BB2_4766 Depth=2
	s_or_b64 exec, exec, s[20:21]
	v_lshrrev_b64 v[5:6], 20, v[39:40]
	v_cmp_gt_i32_e32 vcc, 16, v2
	v_cndmask_b32_e32 v6, 0, v6, vcc
	v_cndmask_b32_e32 v5, 7, v5, vcc
	v_cmp_eq_u32_e32 vcc, 0, v2
	v_min_i32_e32 v2, 15, v2
	v_cmp_eq_u64_e64 s[20:21], 0, v[5:6]
	v_lshlrev_b32_e32 v2, 3, v2
	v_and_b32_e32 v2, 0xf8, v2
	v_and_or_b32 v2, v5, 7, v2
	s_and_b64 s[20:21], vcc, s[20:21]
	v_cndmask_b32_e64 v2, v2, 0, s[20:21]
	v_or_b32_e32 v44, v2, v4
.LBB2_5164:                             ;   in Loop: Header=BB2_4766 Depth=2
	s_or_b64 exec, exec, s[88:89]
                                        ; implicit-def: $vgpr4
.LBB2_5165:                             ;   in Loop: Header=BB2_4766 Depth=2
	s_andn2_saveexec_b64 s[20:21], s[78:79]
; %bb.5166:                             ;   in Loop: Header=BB2_4766 Depth=2
	v_or_b32_e32 v44, 0x7e, v4
; %bb.5167:                             ;   in Loop: Header=BB2_4766 Depth=2
	s_or_b64 exec, exec, s[20:21]
                                        ; implicit-def: $vgpr2
.LBB2_5168:                             ;   in Loop: Header=BB2_4766 Depth=2
	s_andn2_saveexec_b64 s[20:21], s[76:77]
; %bb.5169:                             ;   in Loop: Header=BB2_4766 Depth=2
	v_or_b32_sdwa v44, v2, s39 dst_sel:DWORD dst_unused:UNUSED_PAD src0_sel:BYTE_3 src1_sel:DWORD
; %bb.5170:                             ;   in Loop: Header=BB2_4766 Depth=2
	s_or_b64 exec, exec, s[20:21]
	v_lshrrev_b32_e32 v30, 16, v10
	v_cmp_ne_u16_sdwa s[76:77], v30, v33 src0_sel:BYTE_0 src1_sel:DWORD
	v_mov_b32_e32 v2, 0
	s_and_saveexec_b64 s[20:21], s[76:77]
	s_cbranch_execz .LBB2_5176
; %bb.5171:                             ;   in Loop: Header=BB2_4766 Depth=2
	v_cmp_ne_u16_sdwa s[78:79], v30, s48 src0_sel:BYTE_0 src1_sel:DWORD
	v_bfrev_b32_e32 v2, 1
	s_and_saveexec_b64 s[76:77], s[78:79]
	s_cbranch_execz .LBB2_5175
; %bb.5172:                             ;   in Loop: Header=BB2_4766 Depth=2
	v_bfe_u32 v4, v10, 16, 7
	v_cmp_ne_u32_e32 vcc, s39, v4
	v_mov_b32_e32 v2, 0x7f800001
	s_and_saveexec_b64 s[78:79], vcc
	s_cbranch_execz .LBB2_5174
; %bb.5173:                             ;   in Loop: Header=BB2_4766 Depth=2
	v_and_b32_e32 v2, 7, v30
	v_lshrrev_b32_e32 v6, 3, v4
	v_cmp_gt_u32_e32 vcc, 8, v4
	v_ffbh_u32_e32 v4, v2
	v_min_u32_e32 v7, 32, v4
	v_subrev_u32_e32 v4, 28, v7
	v_lshlrev_b64 v[4:5], v4, v[30:31]
	v_sub_u32_e32 v5, 29, v7
	v_and_b32_e32 v4, 7, v4
	v_cndmask_b32_e32 v5, v6, v5, vcc
	v_cndmask_b32_e32 v2, v2, v4, vcc
	v_lshlrev_b32_e32 v4, 24, v30
	v_lshlrev_b32_e32 v2, 20, v2
	v_and_b32_e32 v4, 0x80000000, v4
	v_lshl_add_u32 v5, v5, 23, v59
	v_or3_b32 v2, v4, v5, v2
.LBB2_5174:                             ;   in Loop: Header=BB2_4766 Depth=2
	s_or_b64 exec, exec, s[78:79]
.LBB2_5175:                             ;   in Loop: Header=BB2_4766 Depth=2
	s_or_b64 exec, exec, s[76:77]
.LBB2_5176:                             ;   in Loop: Header=BB2_4766 Depth=2
	s_or_b64 exec, exec, s[20:21]
	v_mul_f32_e32 v2, v55, v2
	v_and_b32_e32 v32, 0x7f800000, v2
	v_cmp_ne_u64_e32 vcc, s[46:47], v[32:33]
                                        ; implicit-def: $vgpr56
	s_and_saveexec_b64 s[20:21], vcc
	s_xor_b64 s[76:77], exec, s[20:21]
	s_cbranch_execz .LBB2_5190
; %bb.5177:                             ;   in Loop: Header=BB2_4766 Depth=2
	v_and_b32_e32 v32, 0x7fffffff, v2
	v_cmp_gt_u64_e32 vcc, s[56:57], v[32:33]
	v_and_b32_sdwa v4, v2, s48 dst_sel:DWORD dst_unused:UNUSED_PAD src0_sel:BYTE_3 src1_sel:DWORD
                                        ; implicit-def: $vgpr56
	s_and_saveexec_b64 s[20:21], vcc
	s_xor_b64 s[78:79], exec, s[20:21]
	s_cbranch_execz .LBB2_5187
; %bb.5178:                             ;   in Loop: Header=BB2_4766 Depth=2
	v_mov_b32_e32 v56, 0
	v_cmp_ne_u32_e32 vcc, 0, v2
	s_and_saveexec_b64 s[88:89], vcc
	s_cbranch_execz .LBB2_5186
; %bb.5179:                             ;   in Loop: Header=BB2_4766 Depth=2
	v_and_b32_e32 v6, 0x7fffff, v2
	v_bfe_u32 v2, v2, 23, 8
	v_cmp_gt_u32_e64 s[20:21], s49, v2
	v_sub_u32_e32 v5, 0x79, v2
	v_cmp_eq_u32_e32 vcc, 0, v2
	v_cndmask_b32_e64 v5, 0, v5, s[20:21]
	v_or_b32_e32 v7, 0x800000, v6
	v_cndmask_b32_e32 v5, v5, v60, vcc
	v_cndmask_b32_e32 v32, v7, v6, vcc
	v_add_u32_e32 v6, 20, v5
	v_lshlrev_b64 v[6:7], v6, -1
	v_add_u32_e32 v8, 19, v5
	v_lshlrev_b64 v[8:9], v8, 1
	v_lshrrev_b64 v[39:40], v5, v[32:33]
	v_bfi_b32 v7, v7, 0, 0
	v_bfi_b32 v6, v6, 0, v32
	v_cmp_eq_u64_e64 s[20:21], v[6:7], v[8:9]
	v_mov_b32_e32 v41, v40
	v_mov_b32_e32 v40, v39
	s_and_saveexec_b64 s[90:91], s[20:21]
; %bb.5180:                             ;   in Loop: Header=BB2_4766 Depth=2
	v_bfe_u32 v6, v39, 20, 1
	v_add_co_u32_e64 v6, s[20:21], v39, v6
	v_add_co_u32_e64 v40, s[20:21], -1, v6
; %bb.5181:                             ;   in Loop: Header=BB2_4766 Depth=2
	s_or_b64 exec, exec, s[90:91]
	v_add_u32_e32 v2, 0xffffff81, v2
	v_cndmask_b32_e32 v2, v2, v61, vcc
	v_lshrrev_b32_e32 v6, 23, v39
	v_add3_u32 v6, v5, v2, v6
	v_add_u32_e32 v5, 6, v6
	v_and_b32_e32 v2, 0xfffff, v40
	v_add_u32_e32 v32, v2, v39
	v_cmp_ne_u32_e32 vcc, 0, v5
                                        ; implicit-def: $vgpr39_vgpr40
                                        ; implicit-def: $vgpr2
	s_and_saveexec_b64 s[20:21], vcc
	s_xor_b64 s[20:21], exec, s[20:21]
; %bb.5182:                             ;   in Loop: Header=BB2_4766 Depth=2
	v_cmp_lt_u64_e32 vcc, s[58:59], v[32:33]
	v_add_u32_e32 v2, 7, v6
	v_cndmask_b32_e32 v2, v5, v2, vcc
	v_cndmask_b32_e64 v5, 0, 1, vcc
	v_lshrrev_b64 v[39:40], v5, v[32:33]
; %bb.5183:                             ;   in Loop: Header=BB2_4766 Depth=2
	s_andn2_saveexec_b64 s[20:21], s[20:21]
; %bb.5184:                             ;   in Loop: Header=BB2_4766 Depth=2
	v_mov_b32_e32 v40, v33
	v_bfe_u32 v2, v32, 23, 1
	v_mov_b32_e32 v39, v32
; %bb.5185:                             ;   in Loop: Header=BB2_4766 Depth=2
	s_or_b64 exec, exec, s[20:21]
	v_lshrrev_b64 v[5:6], 20, v[39:40]
	v_cmp_gt_i32_e32 vcc, 16, v2
	v_cndmask_b32_e32 v6, 0, v6, vcc
	v_cndmask_b32_e32 v5, 7, v5, vcc
	v_cmp_eq_u32_e32 vcc, 0, v2
	v_min_i32_e32 v2, 15, v2
	v_cmp_eq_u64_e64 s[20:21], 0, v[5:6]
	v_lshlrev_b32_e32 v2, 3, v2
	v_and_b32_e32 v2, 0xf8, v2
	v_and_or_b32 v2, v5, 7, v2
	s_and_b64 s[20:21], vcc, s[20:21]
	v_cndmask_b32_e64 v2, v2, 0, s[20:21]
	v_or_b32_e32 v56, v2, v4
.LBB2_5186:                             ;   in Loop: Header=BB2_4766 Depth=2
	s_or_b64 exec, exec, s[88:89]
                                        ; implicit-def: $vgpr4
.LBB2_5187:                             ;   in Loop: Header=BB2_4766 Depth=2
	s_andn2_saveexec_b64 s[20:21], s[78:79]
; %bb.5188:                             ;   in Loop: Header=BB2_4766 Depth=2
	v_or_b32_e32 v56, 0x7e, v4
; %bb.5189:                             ;   in Loop: Header=BB2_4766 Depth=2
	s_or_b64 exec, exec, s[20:21]
                                        ; implicit-def: $vgpr2
.LBB2_5190:                             ;   in Loop: Header=BB2_4766 Depth=2
	s_andn2_saveexec_b64 s[20:21], s[76:77]
; %bb.5191:                             ;   in Loop: Header=BB2_4766 Depth=2
	v_or_b32_sdwa v56, v2, s39 dst_sel:DWORD dst_unused:UNUSED_PAD src0_sel:BYTE_3 src1_sel:DWORD
; %bb.5192:                             ;   in Loop: Header=BB2_4766 Depth=2
	s_or_b64 exec, exec, s[20:21]
	v_cmp_lt_u32_e32 vcc, s61, v10
	v_mov_b32_e32 v2, 0
	s_and_saveexec_b64 s[20:21], vcc
	s_cbranch_execz .LBB2_5198
; %bb.5193:                             ;   in Loop: Header=BB2_4766 Depth=2
	v_lshrrev_b32_e32 v30, 24, v10
	v_cmp_ne_u32_e32 vcc, s48, v30
	v_bfrev_b32_e32 v2, 1
	s_and_saveexec_b64 s[76:77], vcc
	s_cbranch_execz .LBB2_5197
; %bb.5194:                             ;   in Loop: Header=BB2_4766 Depth=2
	v_bfe_u32 v4, v10, 24, 7
	v_cmp_ne_u32_e32 vcc, s39, v4
	v_mov_b32_e32 v2, 0x7f800001
	s_and_saveexec_b64 s[78:79], vcc
	s_cbranch_execz .LBB2_5196
; %bb.5195:                             ;   in Loop: Header=BB2_4766 Depth=2
	v_and_b32_e32 v2, 7, v30
	v_lshrrev_b32_e32 v6, 3, v4
	v_cmp_gt_u32_e32 vcc, 8, v4
	v_ffbh_u32_e32 v4, v2
	v_min_u32_e32 v7, 32, v4
	v_subrev_u32_e32 v4, 28, v7
	v_lshlrev_b64 v[4:5], v4, v[30:31]
	v_sub_u32_e32 v5, 29, v7
	v_and_b32_e32 v4, 7, v4
	v_cndmask_b32_e32 v5, v6, v5, vcc
	v_cndmask_b32_e32 v2, v2, v4, vcc
	v_lshlrev_b32_e32 v4, 24, v30
	v_lshlrev_b32_e32 v2, 20, v2
	v_and_b32_e32 v4, 0x80000000, v4
	v_lshl_add_u32 v5, v5, 23, v59
	v_or3_b32 v2, v4, v5, v2
.LBB2_5196:                             ;   in Loop: Header=BB2_4766 Depth=2
	s_or_b64 exec, exec, s[78:79]
.LBB2_5197:                             ;   in Loop: Header=BB2_4766 Depth=2
	s_or_b64 exec, exec, s[76:77]
.LBB2_5198:                             ;   in Loop: Header=BB2_4766 Depth=2
	s_or_b64 exec, exec, s[20:21]
	v_mul_f32_e32 v2, v55, v2
	v_and_b32_e32 v32, 0x7f800000, v2
	v_cmp_ne_u64_e32 vcc, s[46:47], v[32:33]
                                        ; implicit-def: $vgpr62
	s_and_saveexec_b64 s[20:21], vcc
	s_xor_b64 s[76:77], exec, s[20:21]
	s_cbranch_execz .LBB2_5212
; %bb.5199:                             ;   in Loop: Header=BB2_4766 Depth=2
	v_and_b32_e32 v32, 0x7fffffff, v2
	v_cmp_gt_u64_e32 vcc, s[56:57], v[32:33]
	v_and_b32_sdwa v4, v2, s48 dst_sel:DWORD dst_unused:UNUSED_PAD src0_sel:BYTE_3 src1_sel:DWORD
                                        ; implicit-def: $vgpr62
	s_and_saveexec_b64 s[20:21], vcc
	s_xor_b64 s[78:79], exec, s[20:21]
	s_cbranch_execz .LBB2_5209
; %bb.5200:                             ;   in Loop: Header=BB2_4766 Depth=2
	v_mov_b32_e32 v62, 0
	v_cmp_ne_u32_e32 vcc, 0, v2
	s_and_saveexec_b64 s[88:89], vcc
	s_cbranch_execz .LBB2_5208
; %bb.5201:                             ;   in Loop: Header=BB2_4766 Depth=2
	v_and_b32_e32 v6, 0x7fffff, v2
	v_bfe_u32 v2, v2, 23, 8
	v_cmp_gt_u32_e64 s[20:21], s49, v2
	v_sub_u32_e32 v5, 0x79, v2
	v_cmp_eq_u32_e32 vcc, 0, v2
	v_cndmask_b32_e64 v5, 0, v5, s[20:21]
	v_or_b32_e32 v7, 0x800000, v6
	v_cndmask_b32_e32 v5, v5, v60, vcc
	v_cndmask_b32_e32 v32, v7, v6, vcc
	v_add_u32_e32 v6, 20, v5
	v_lshlrev_b64 v[6:7], v6, -1
	v_add_u32_e32 v8, 19, v5
	v_lshlrev_b64 v[8:9], v8, 1
	v_lshrrev_b64 v[39:40], v5, v[32:33]
	v_bfi_b32 v7, v7, 0, 0
	v_bfi_b32 v6, v6, 0, v32
	v_cmp_eq_u64_e64 s[20:21], v[6:7], v[8:9]
	v_mov_b32_e32 v41, v40
	v_mov_b32_e32 v40, v39
	s_and_saveexec_b64 s[90:91], s[20:21]
; %bb.5202:                             ;   in Loop: Header=BB2_4766 Depth=2
	v_bfe_u32 v6, v39, 20, 1
	v_add_co_u32_e64 v6, s[20:21], v39, v6
	v_add_co_u32_e64 v40, s[20:21], -1, v6
; %bb.5203:                             ;   in Loop: Header=BB2_4766 Depth=2
	s_or_b64 exec, exec, s[90:91]
	v_add_u32_e32 v2, 0xffffff81, v2
	v_cndmask_b32_e32 v2, v2, v61, vcc
	v_lshrrev_b32_e32 v6, 23, v39
	v_add3_u32 v6, v5, v2, v6
	v_add_u32_e32 v5, 6, v6
	v_and_b32_e32 v2, 0xfffff, v40
	v_add_u32_e32 v32, v2, v39
	v_cmp_ne_u32_e32 vcc, 0, v5
                                        ; implicit-def: $vgpr39_vgpr40
                                        ; implicit-def: $vgpr2
	s_and_saveexec_b64 s[20:21], vcc
	s_xor_b64 s[20:21], exec, s[20:21]
; %bb.5204:                             ;   in Loop: Header=BB2_4766 Depth=2
	v_cmp_lt_u64_e32 vcc, s[58:59], v[32:33]
	v_add_u32_e32 v2, 7, v6
	v_cndmask_b32_e32 v2, v5, v2, vcc
	v_cndmask_b32_e64 v5, 0, 1, vcc
	v_lshrrev_b64 v[39:40], v5, v[32:33]
; %bb.5205:                             ;   in Loop: Header=BB2_4766 Depth=2
	s_andn2_saveexec_b64 s[20:21], s[20:21]
; %bb.5206:                             ;   in Loop: Header=BB2_4766 Depth=2
	v_mov_b32_e32 v40, v33
	v_bfe_u32 v2, v32, 23, 1
	v_mov_b32_e32 v39, v32
; %bb.5207:                             ;   in Loop: Header=BB2_4766 Depth=2
	s_or_b64 exec, exec, s[20:21]
	v_lshrrev_b64 v[5:6], 20, v[39:40]
	v_cmp_gt_i32_e32 vcc, 16, v2
	v_cndmask_b32_e32 v6, 0, v6, vcc
	v_cndmask_b32_e32 v5, 7, v5, vcc
	v_cmp_eq_u32_e32 vcc, 0, v2
	v_min_i32_e32 v2, 15, v2
	v_cmp_eq_u64_e64 s[20:21], 0, v[5:6]
	v_lshlrev_b32_e32 v2, 3, v2
	v_and_b32_e32 v2, 0xf8, v2
	v_and_or_b32 v2, v5, 7, v2
	s_and_b64 s[20:21], vcc, s[20:21]
	v_cndmask_b32_e64 v2, v2, 0, s[20:21]
	v_or_b32_e32 v62, v2, v4
.LBB2_5208:                             ;   in Loop: Header=BB2_4766 Depth=2
	s_or_b64 exec, exec, s[88:89]
                                        ; implicit-def: $vgpr4
.LBB2_5209:                             ;   in Loop: Header=BB2_4766 Depth=2
	s_andn2_saveexec_b64 s[20:21], s[78:79]
; %bb.5210:                             ;   in Loop: Header=BB2_4766 Depth=2
	v_or_b32_e32 v62, 0x7e, v4
; %bb.5211:                             ;   in Loop: Header=BB2_4766 Depth=2
	s_or_b64 exec, exec, s[20:21]
                                        ; implicit-def: $vgpr2
.LBB2_5212:                             ;   in Loop: Header=BB2_4766 Depth=2
	s_andn2_saveexec_b64 s[20:21], s[76:77]
; %bb.5213:                             ;   in Loop: Header=BB2_4766 Depth=2
	v_or_b32_sdwa v62, v2, s39 dst_sel:DWORD dst_unused:UNUSED_PAD src0_sel:BYTE_3 src1_sel:DWORD
; %bb.5214:                             ;   in Loop: Header=BB2_4766 Depth=2
	s_or_b64 exec, exec, s[20:21]
	v_mov_b32_e32 v32, v11
	v_cmp_ne_u16_sdwa s[76:77], v11, v33 src0_sel:BYTE_0 src1_sel:DWORD
	v_mov_b32_e32 v2, 0
	s_and_saveexec_b64 s[20:21], s[76:77]
	s_cbranch_execz .LBB2_5220
; %bb.5215:                             ;   in Loop: Header=BB2_4766 Depth=2
	v_cmp_ne_u16_sdwa s[78:79], v11, s48 src0_sel:BYTE_0 src1_sel:DWORD
	v_bfrev_b32_e32 v2, 1
	s_and_saveexec_b64 s[76:77], s[78:79]
	s_cbranch_execz .LBB2_5219
; %bb.5216:                             ;   in Loop: Header=BB2_4766 Depth=2
	v_and_b32_e32 v4, 0x7f, v11
	v_cmp_ne_u32_e32 vcc, s39, v4
	v_mov_b32_e32 v2, 0x7f800001
	s_and_saveexec_b64 s[78:79], vcc
	s_cbranch_execz .LBB2_5218
; %bb.5217:                             ;   in Loop: Header=BB2_4766 Depth=2
	v_and_b32_e32 v2, 7, v11
	v_ffbh_u32_e32 v2, v2
	v_min_u32_e32 v2, 32, v2
	v_lshrrev_b32_e32 v5, 3, v4
	v_cmp_gt_u32_e32 vcc, 8, v4
	v_subrev_u32_e32 v4, 28, v2
	v_sub_u32_e32 v2, 29, v2
	v_cndmask_b32_e32 v4, 0, v4, vcc
	v_cndmask_b32_e32 v2, v5, v2, vcc
	v_lshlrev_b64 v[4:5], v4, v[32:33]
	v_lshlrev_b32_e32 v5, 24, v32
	v_lshlrev_b32_e32 v4, 20, v4
	v_and_b32_e32 v4, 0x700000, v4
	v_and_b32_e32 v5, 0x80000000, v5
	v_lshl_add_u32 v2, v2, 23, v59
	v_or3_b32 v2, v5, v2, v4
.LBB2_5218:                             ;   in Loop: Header=BB2_4766 Depth=2
	s_or_b64 exec, exec, s[78:79]
.LBB2_5219:                             ;   in Loop: Header=BB2_4766 Depth=2
	s_or_b64 exec, exec, s[76:77]
.LBB2_5220:                             ;   in Loop: Header=BB2_4766 Depth=2
	s_or_b64 exec, exec, s[20:21]
	v_mul_f32_e32 v2, v55, v2
	v_and_b32_e32 v4, 0x7f800000, v2
	v_mov_b32_e32 v5, v33
	v_cmp_ne_u64_e32 vcc, s[46:47], v[4:5]
                                        ; implicit-def: $vgpr17
	s_and_saveexec_b64 s[20:21], vcc
	s_xor_b64 s[76:77], exec, s[20:21]
	s_cbranch_execz .LBB2_5234
; %bb.5221:                             ;   in Loop: Header=BB2_4766 Depth=2
	v_and_b32_e32 v4, 0x7fffffff, v2
	v_mov_b32_e32 v5, v33
	v_cmp_gt_u64_e32 vcc, s[56:57], v[4:5]
	v_and_b32_sdwa v4, v2, s48 dst_sel:DWORD dst_unused:UNUSED_PAD src0_sel:BYTE_3 src1_sel:DWORD
                                        ; implicit-def: $vgpr17
	s_and_saveexec_b64 s[20:21], vcc
	s_xor_b64 s[78:79], exec, s[20:21]
	s_cbranch_execz .LBB2_5231
; %bb.5222:                             ;   in Loop: Header=BB2_4766 Depth=2
	v_mov_b32_e32 v17, 0
	v_cmp_ne_u32_e32 vcc, 0, v2
	s_and_saveexec_b64 s[88:89], vcc
	s_cbranch_execz .LBB2_5230
; %bb.5223:                             ;   in Loop: Header=BB2_4766 Depth=2
	v_and_b32_e32 v6, 0x7fffff, v2
	v_bfe_u32 v2, v2, 23, 8
	v_cmp_gt_u32_e64 s[20:21], s49, v2
	v_sub_u32_e32 v5, 0x79, v2
	v_cmp_eq_u32_e32 vcc, 0, v2
	v_cndmask_b32_e64 v5, 0, v5, s[20:21]
	v_cndmask_b32_e32 v5, v5, v60, vcc
	v_or_b32_e32 v7, 0x800000, v6
	v_add_u32_e32 v8, 20, v5
	v_cndmask_b32_e32 v6, v7, v6, vcc
	v_mov_b32_e32 v7, v33
	v_lshlrev_b64 v[8:9], v8, -1
	v_add_u32_e32 v17, 19, v5
	v_lshlrev_b64 v[22:23], v17, 1
	v_lshrrev_b64 v[39:40], v5, v[6:7]
	v_bfi_b32 v9, v9, 0, 0
	v_bfi_b32 v8, v8, 0, v6
	v_cmp_eq_u64_e64 s[20:21], v[8:9], v[22:23]
	v_mov_b32_e32 v41, v40
	v_mov_b32_e32 v40, v39
	s_and_saveexec_b64 s[90:91], s[20:21]
; %bb.5224:                             ;   in Loop: Header=BB2_4766 Depth=2
	v_bfe_u32 v6, v39, 20, 1
	v_add_co_u32_e64 v6, s[20:21], v39, v6
	v_add_co_u32_e64 v40, s[20:21], -1, v6
; %bb.5225:                             ;   in Loop: Header=BB2_4766 Depth=2
	s_or_b64 exec, exec, s[90:91]
	v_add_u32_e32 v2, 0xffffff81, v2
	v_cndmask_b32_e32 v2, v2, v61, vcc
	v_lshrrev_b32_e32 v6, 23, v39
	v_add3_u32 v6, v5, v2, v6
	v_add_u32_e32 v5, 6, v6
	v_and_b32_e32 v2, 0xfffff, v40
	v_add_u32_e32 v39, v2, v39
	v_mov_b32_e32 v40, v33
	v_cmp_ne_u32_e32 vcc, 0, v5
                                        ; implicit-def: $vgpr2
	s_and_saveexec_b64 s[20:21], vcc
	s_xor_b64 s[20:21], exec, s[20:21]
; %bb.5226:                             ;   in Loop: Header=BB2_4766 Depth=2
	v_cmp_lt_u64_e32 vcc, s[58:59], v[39:40]
	v_add_u32_e32 v2, 7, v6
	v_cndmask_b32_e32 v2, v5, v2, vcc
	v_cndmask_b32_e64 v5, 0, 1, vcc
	v_lshrrev_b64 v[39:40], v5, v[39:40]
; %bb.5227:                             ;   in Loop: Header=BB2_4766 Depth=2
	s_andn2_saveexec_b64 s[20:21], s[20:21]
; %bb.5228:                             ;   in Loop: Header=BB2_4766 Depth=2
	v_bfe_u32 v2, v39, 23, 1
; %bb.5229:                             ;   in Loop: Header=BB2_4766 Depth=2
	s_or_b64 exec, exec, s[20:21]
	v_lshrrev_b64 v[5:6], 20, v[39:40]
	v_cmp_gt_i32_e32 vcc, 16, v2
	v_cndmask_b32_e32 v6, 0, v6, vcc
	v_cndmask_b32_e32 v5, 7, v5, vcc
	v_cmp_eq_u32_e32 vcc, 0, v2
	v_min_i32_e32 v2, 15, v2
	v_cmp_eq_u64_e64 s[20:21], 0, v[5:6]
	v_lshlrev_b32_e32 v2, 3, v2
	v_and_b32_e32 v2, 0xf8, v2
	v_and_or_b32 v2, v5, 7, v2
	s_and_b64 s[20:21], vcc, s[20:21]
	v_cndmask_b32_e64 v2, v2, 0, s[20:21]
	v_or_b32_e32 v17, v2, v4
.LBB2_5230:                             ;   in Loop: Header=BB2_4766 Depth=2
	s_or_b64 exec, exec, s[88:89]
                                        ; implicit-def: $vgpr4
.LBB2_5231:                             ;   in Loop: Header=BB2_4766 Depth=2
	s_andn2_saveexec_b64 s[20:21], s[78:79]
; %bb.5232:                             ;   in Loop: Header=BB2_4766 Depth=2
	v_or_b32_e32 v17, 0x7e, v4
; %bb.5233:                             ;   in Loop: Header=BB2_4766 Depth=2
	s_or_b64 exec, exec, s[20:21]
                                        ; implicit-def: $vgpr2
.LBB2_5234:                             ;   in Loop: Header=BB2_4766 Depth=2
	s_andn2_saveexec_b64 s[20:21], s[76:77]
; %bb.5235:                             ;   in Loop: Header=BB2_4766 Depth=2
	v_or_b32_sdwa v17, v2, s39 dst_sel:DWORD dst_unused:UNUSED_PAD src0_sel:BYTE_3 src1_sel:DWORD
; %bb.5236:                             ;   in Loop: Header=BB2_4766 Depth=2
	s_or_b64 exec, exec, s[20:21]
	v_lshrrev_b16_e32 v30, 8, v32
	v_cmp_ne_u16_e32 vcc, 0, v30
	v_mov_b32_e32 v2, 0
	s_and_saveexec_b64 s[20:21], vcc
	s_cbranch_execz .LBB2_5242
; %bb.5237:                             ;   in Loop: Header=BB2_4766 Depth=2
	v_cmp_ne_u16_e32 vcc, s48, v30
	v_bfrev_b32_e32 v2, 1
	s_and_saveexec_b64 s[76:77], vcc
	s_cbranch_execz .LBB2_5241
; %bb.5238:                             ;   in Loop: Header=BB2_4766 Depth=2
	v_and_b32_e32 v4, 0x7f, v30
	v_cmp_ne_u32_e32 vcc, s39, v4
	v_mov_b32_e32 v2, 0x7f800001
	s_and_saveexec_b64 s[78:79], vcc
	s_cbranch_execz .LBB2_5240
; %bb.5239:                             ;   in Loop: Header=BB2_4766 Depth=2
	v_and_b32_e32 v2, 7, v30
	v_lshrrev_b32_e32 v6, 3, v4
	v_cmp_gt_u32_e32 vcc, 8, v4
	v_ffbh_u32_e32 v4, v2
	v_min_u32_e32 v7, 32, v4
	v_subrev_u32_e32 v4, 28, v7
	v_lshlrev_b64 v[4:5], v4, v[30:31]
	v_sub_u32_e32 v5, 29, v7
	v_and_b32_e32 v4, 7, v4
	v_cndmask_b32_e32 v5, v6, v5, vcc
	v_cndmask_b32_e32 v2, v2, v4, vcc
	v_lshlrev_b32_e32 v4, 16, v32
	v_lshlrev_b32_e32 v2, 20, v2
	v_and_b32_e32 v4, 0x80000000, v4
	v_lshl_add_u32 v5, v5, 23, v59
	v_or3_b32 v2, v4, v5, v2
.LBB2_5240:                             ;   in Loop: Header=BB2_4766 Depth=2
	s_or_b64 exec, exec, s[78:79]
.LBB2_5241:                             ;   in Loop: Header=BB2_4766 Depth=2
	s_or_b64 exec, exec, s[76:77]
.LBB2_5242:                             ;   in Loop: Header=BB2_4766 Depth=2
	s_or_b64 exec, exec, s[20:21]
	v_mul_f32_e32 v2, v55, v2
	v_and_b32_e32 v32, 0x7f800000, v2
	v_cmp_ne_u64_e32 vcc, s[46:47], v[32:33]
                                        ; implicit-def: $vgpr26
	s_and_saveexec_b64 s[20:21], vcc
	s_xor_b64 s[76:77], exec, s[20:21]
	s_cbranch_execz .LBB2_5256
; %bb.5243:                             ;   in Loop: Header=BB2_4766 Depth=2
	v_and_b32_e32 v32, 0x7fffffff, v2
	v_cmp_gt_u64_e32 vcc, s[56:57], v[32:33]
	v_and_b32_sdwa v4, v2, s48 dst_sel:DWORD dst_unused:UNUSED_PAD src0_sel:BYTE_3 src1_sel:DWORD
                                        ; implicit-def: $vgpr26
	s_and_saveexec_b64 s[20:21], vcc
	s_xor_b64 s[78:79], exec, s[20:21]
	s_cbranch_execz .LBB2_5253
; %bb.5244:                             ;   in Loop: Header=BB2_4766 Depth=2
	v_mov_b32_e32 v26, 0
	v_cmp_ne_u32_e32 vcc, 0, v2
	s_and_saveexec_b64 s[88:89], vcc
	s_cbranch_execz .LBB2_5252
; %bb.5245:                             ;   in Loop: Header=BB2_4766 Depth=2
	v_and_b32_e32 v6, 0x7fffff, v2
	v_bfe_u32 v2, v2, 23, 8
	v_cmp_gt_u32_e64 s[20:21], s49, v2
	v_sub_u32_e32 v5, 0x79, v2
	v_cmp_eq_u32_e32 vcc, 0, v2
	v_cndmask_b32_e64 v5, 0, v5, s[20:21]
	v_or_b32_e32 v7, 0x800000, v6
	v_cndmask_b32_e32 v5, v5, v60, vcc
	v_cndmask_b32_e32 v32, v7, v6, vcc
	v_add_u32_e32 v6, 20, v5
	v_lshlrev_b64 v[6:7], v6, -1
	v_add_u32_e32 v8, 19, v5
	v_lshlrev_b64 v[8:9], v8, 1
	v_lshrrev_b64 v[39:40], v5, v[32:33]
	v_bfi_b32 v7, v7, 0, 0
	v_bfi_b32 v6, v6, 0, v32
	v_cmp_eq_u64_e64 s[20:21], v[6:7], v[8:9]
	v_mov_b32_e32 v41, v40
	v_mov_b32_e32 v40, v39
	s_and_saveexec_b64 s[90:91], s[20:21]
; %bb.5246:                             ;   in Loop: Header=BB2_4766 Depth=2
	v_bfe_u32 v6, v39, 20, 1
	v_add_co_u32_e64 v6, s[20:21], v39, v6
	v_add_co_u32_e64 v40, s[20:21], -1, v6
; %bb.5247:                             ;   in Loop: Header=BB2_4766 Depth=2
	s_or_b64 exec, exec, s[90:91]
	v_add_u32_e32 v2, 0xffffff81, v2
	v_cndmask_b32_e32 v2, v2, v61, vcc
	v_lshrrev_b32_e32 v6, 23, v39
	v_add3_u32 v6, v5, v2, v6
	v_add_u32_e32 v5, 6, v6
	v_and_b32_e32 v2, 0xfffff, v40
	v_add_u32_e32 v32, v2, v39
	v_cmp_ne_u32_e32 vcc, 0, v5
                                        ; implicit-def: $vgpr39_vgpr40
                                        ; implicit-def: $vgpr2
	s_and_saveexec_b64 s[20:21], vcc
	s_xor_b64 s[20:21], exec, s[20:21]
; %bb.5248:                             ;   in Loop: Header=BB2_4766 Depth=2
	v_cmp_lt_u64_e32 vcc, s[58:59], v[32:33]
	v_add_u32_e32 v2, 7, v6
	v_cndmask_b32_e32 v2, v5, v2, vcc
	v_cndmask_b32_e64 v5, 0, 1, vcc
	v_lshrrev_b64 v[39:40], v5, v[32:33]
; %bb.5249:                             ;   in Loop: Header=BB2_4766 Depth=2
	s_andn2_saveexec_b64 s[20:21], s[20:21]
; %bb.5250:                             ;   in Loop: Header=BB2_4766 Depth=2
	v_mov_b32_e32 v40, v33
	v_bfe_u32 v2, v32, 23, 1
	v_mov_b32_e32 v39, v32
; %bb.5251:                             ;   in Loop: Header=BB2_4766 Depth=2
	s_or_b64 exec, exec, s[20:21]
	v_lshrrev_b64 v[5:6], 20, v[39:40]
	v_cmp_gt_i32_e32 vcc, 16, v2
	v_cndmask_b32_e32 v6, 0, v6, vcc
	v_cndmask_b32_e32 v5, 7, v5, vcc
	v_cmp_eq_u32_e32 vcc, 0, v2
	v_min_i32_e32 v2, 15, v2
	v_cmp_eq_u64_e64 s[20:21], 0, v[5:6]
	v_lshlrev_b32_e32 v2, 3, v2
	v_and_b32_e32 v2, 0xf8, v2
	v_and_or_b32 v2, v5, 7, v2
	s_and_b64 s[20:21], vcc, s[20:21]
	v_cndmask_b32_e64 v2, v2, 0, s[20:21]
	v_or_b32_e32 v26, v2, v4
.LBB2_5252:                             ;   in Loop: Header=BB2_4766 Depth=2
	s_or_b64 exec, exec, s[88:89]
                                        ; implicit-def: $vgpr4
.LBB2_5253:                             ;   in Loop: Header=BB2_4766 Depth=2
	s_andn2_saveexec_b64 s[20:21], s[78:79]
; %bb.5254:                             ;   in Loop: Header=BB2_4766 Depth=2
	v_or_b32_e32 v26, 0x7e, v4
; %bb.5255:                             ;   in Loop: Header=BB2_4766 Depth=2
	s_or_b64 exec, exec, s[20:21]
                                        ; implicit-def: $vgpr2
.LBB2_5256:                             ;   in Loop: Header=BB2_4766 Depth=2
	s_andn2_saveexec_b64 s[20:21], s[76:77]
; %bb.5257:                             ;   in Loop: Header=BB2_4766 Depth=2
	v_or_b32_sdwa v26, v2, s39 dst_sel:DWORD dst_unused:UNUSED_PAD src0_sel:BYTE_3 src1_sel:DWORD
; %bb.5258:                             ;   in Loop: Header=BB2_4766 Depth=2
	s_or_b64 exec, exec, s[20:21]
	v_lshrrev_b32_e32 v30, 16, v11
	v_cmp_ne_u16_sdwa s[76:77], v30, v33 src0_sel:BYTE_0 src1_sel:DWORD
	v_mov_b32_e32 v2, 0
	s_and_saveexec_b64 s[20:21], s[76:77]
	s_cbranch_execz .LBB2_5264
; %bb.5259:                             ;   in Loop: Header=BB2_4766 Depth=2
	v_cmp_ne_u16_sdwa s[78:79], v30, s48 src0_sel:BYTE_0 src1_sel:DWORD
	v_bfrev_b32_e32 v2, 1
	s_and_saveexec_b64 s[76:77], s[78:79]
	s_cbranch_execz .LBB2_5263
; %bb.5260:                             ;   in Loop: Header=BB2_4766 Depth=2
	v_bfe_u32 v4, v11, 16, 7
	v_cmp_ne_u32_e32 vcc, s39, v4
	v_mov_b32_e32 v2, 0x7f800001
	s_and_saveexec_b64 s[78:79], vcc
	s_cbranch_execz .LBB2_5262
; %bb.5261:                             ;   in Loop: Header=BB2_4766 Depth=2
	v_and_b32_e32 v2, 7, v30
	v_lshrrev_b32_e32 v6, 3, v4
	v_cmp_gt_u32_e32 vcc, 8, v4
	v_ffbh_u32_e32 v4, v2
	v_min_u32_e32 v7, 32, v4
	v_subrev_u32_e32 v4, 28, v7
	v_lshlrev_b64 v[4:5], v4, v[30:31]
	v_sub_u32_e32 v5, 29, v7
	v_and_b32_e32 v4, 7, v4
	v_cndmask_b32_e32 v5, v6, v5, vcc
	v_cndmask_b32_e32 v2, v2, v4, vcc
	v_lshlrev_b32_e32 v4, 24, v30
	v_lshlrev_b32_e32 v2, 20, v2
	v_and_b32_e32 v4, 0x80000000, v4
	v_lshl_add_u32 v5, v5, 23, v59
	v_or3_b32 v2, v4, v5, v2
.LBB2_5262:                             ;   in Loop: Header=BB2_4766 Depth=2
	s_or_b64 exec, exec, s[78:79]
.LBB2_5263:                             ;   in Loop: Header=BB2_4766 Depth=2
	s_or_b64 exec, exec, s[76:77]
.LBB2_5264:                             ;   in Loop: Header=BB2_4766 Depth=2
	s_or_b64 exec, exec, s[20:21]
	v_mul_f32_e32 v2, v55, v2
	v_and_b32_e32 v32, 0x7f800000, v2
	v_cmp_ne_u64_e32 vcc, s[46:47], v[32:33]
                                        ; implicit-def: $vgpr27
	s_and_saveexec_b64 s[20:21], vcc
	s_xor_b64 s[76:77], exec, s[20:21]
	s_cbranch_execz .LBB2_5278
; %bb.5265:                             ;   in Loop: Header=BB2_4766 Depth=2
	v_and_b32_e32 v32, 0x7fffffff, v2
	v_cmp_gt_u64_e32 vcc, s[56:57], v[32:33]
	v_and_b32_sdwa v4, v2, s48 dst_sel:DWORD dst_unused:UNUSED_PAD src0_sel:BYTE_3 src1_sel:DWORD
                                        ; implicit-def: $vgpr27
	s_and_saveexec_b64 s[20:21], vcc
	s_xor_b64 s[78:79], exec, s[20:21]
	s_cbranch_execz .LBB2_5275
; %bb.5266:                             ;   in Loop: Header=BB2_4766 Depth=2
	v_mov_b32_e32 v27, 0
	v_cmp_ne_u32_e32 vcc, 0, v2
	s_and_saveexec_b64 s[88:89], vcc
	s_cbranch_execz .LBB2_5274
; %bb.5267:                             ;   in Loop: Header=BB2_4766 Depth=2
	v_and_b32_e32 v6, 0x7fffff, v2
	v_bfe_u32 v2, v2, 23, 8
	v_cmp_gt_u32_e64 s[20:21], s49, v2
	v_sub_u32_e32 v5, 0x79, v2
	v_cmp_eq_u32_e32 vcc, 0, v2
	v_cndmask_b32_e64 v5, 0, v5, s[20:21]
	v_or_b32_e32 v7, 0x800000, v6
	v_cndmask_b32_e32 v5, v5, v60, vcc
	v_cndmask_b32_e32 v32, v7, v6, vcc
	v_add_u32_e32 v6, 20, v5
	v_lshlrev_b64 v[6:7], v6, -1
	v_add_u32_e32 v8, 19, v5
	v_lshlrev_b64 v[8:9], v8, 1
	v_lshrrev_b64 v[39:40], v5, v[32:33]
	v_bfi_b32 v7, v7, 0, 0
	v_bfi_b32 v6, v6, 0, v32
	v_cmp_eq_u64_e64 s[20:21], v[6:7], v[8:9]
	v_mov_b32_e32 v41, v40
	v_mov_b32_e32 v40, v39
	s_and_saveexec_b64 s[90:91], s[20:21]
; %bb.5268:                             ;   in Loop: Header=BB2_4766 Depth=2
	v_bfe_u32 v6, v39, 20, 1
	v_add_co_u32_e64 v6, s[20:21], v39, v6
	v_add_co_u32_e64 v40, s[20:21], -1, v6
; %bb.5269:                             ;   in Loop: Header=BB2_4766 Depth=2
	s_or_b64 exec, exec, s[90:91]
	v_add_u32_e32 v2, 0xffffff81, v2
	v_cndmask_b32_e32 v2, v2, v61, vcc
	v_lshrrev_b32_e32 v6, 23, v39
	v_add3_u32 v6, v5, v2, v6
	v_add_u32_e32 v5, 6, v6
	v_and_b32_e32 v2, 0xfffff, v40
	v_add_u32_e32 v32, v2, v39
	v_cmp_ne_u32_e32 vcc, 0, v5
                                        ; implicit-def: $vgpr39_vgpr40
                                        ; implicit-def: $vgpr2
	s_and_saveexec_b64 s[20:21], vcc
	s_xor_b64 s[20:21], exec, s[20:21]
; %bb.5270:                             ;   in Loop: Header=BB2_4766 Depth=2
	v_cmp_lt_u64_e32 vcc, s[58:59], v[32:33]
	v_add_u32_e32 v2, 7, v6
	v_cndmask_b32_e32 v2, v5, v2, vcc
	v_cndmask_b32_e64 v5, 0, 1, vcc
	v_lshrrev_b64 v[39:40], v5, v[32:33]
; %bb.5271:                             ;   in Loop: Header=BB2_4766 Depth=2
	s_andn2_saveexec_b64 s[20:21], s[20:21]
; %bb.5272:                             ;   in Loop: Header=BB2_4766 Depth=2
	v_mov_b32_e32 v40, v33
	v_bfe_u32 v2, v32, 23, 1
	v_mov_b32_e32 v39, v32
; %bb.5273:                             ;   in Loop: Header=BB2_4766 Depth=2
	s_or_b64 exec, exec, s[20:21]
	v_lshrrev_b64 v[5:6], 20, v[39:40]
	v_cmp_gt_i32_e32 vcc, 16, v2
	v_cndmask_b32_e32 v6, 0, v6, vcc
	v_cndmask_b32_e32 v5, 7, v5, vcc
	v_cmp_eq_u32_e32 vcc, 0, v2
	v_min_i32_e32 v2, 15, v2
	v_cmp_eq_u64_e64 s[20:21], 0, v[5:6]
	v_lshlrev_b32_e32 v2, 3, v2
	v_and_b32_e32 v2, 0xf8, v2
	v_and_or_b32 v2, v5, 7, v2
	s_and_b64 s[20:21], vcc, s[20:21]
	v_cndmask_b32_e64 v2, v2, 0, s[20:21]
	v_or_b32_e32 v27, v2, v4
.LBB2_5274:                             ;   in Loop: Header=BB2_4766 Depth=2
	s_or_b64 exec, exec, s[88:89]
                                        ; implicit-def: $vgpr4
.LBB2_5275:                             ;   in Loop: Header=BB2_4766 Depth=2
	s_andn2_saveexec_b64 s[20:21], s[78:79]
; %bb.5276:                             ;   in Loop: Header=BB2_4766 Depth=2
	v_or_b32_e32 v27, 0x7e, v4
; %bb.5277:                             ;   in Loop: Header=BB2_4766 Depth=2
	s_or_b64 exec, exec, s[20:21]
                                        ; implicit-def: $vgpr2
.LBB2_5278:                             ;   in Loop: Header=BB2_4766 Depth=2
	s_andn2_saveexec_b64 s[20:21], s[76:77]
; %bb.5279:                             ;   in Loop: Header=BB2_4766 Depth=2
	v_or_b32_sdwa v27, v2, s39 dst_sel:DWORD dst_unused:UNUSED_PAD src0_sel:BYTE_3 src1_sel:DWORD
; %bb.5280:                             ;   in Loop: Header=BB2_4766 Depth=2
	s_or_b64 exec, exec, s[20:21]
	v_cmp_lt_u64_e32 vcc, s[60:61], v[10:11]
	v_mov_b32_e32 v2, 0
	s_and_saveexec_b64 s[20:21], vcc
	s_cbranch_execz .LBB2_5286
; %bb.5281:                             ;   in Loop: Header=BB2_4766 Depth=2
	v_lshrrev_b32_e32 v10, 24, v11
	v_cmp_ne_u32_e32 vcc, s48, v10
	v_bfrev_b32_e32 v2, 1
	s_and_saveexec_b64 s[76:77], vcc
	s_cbranch_execz .LBB2_5285
; %bb.5282:                             ;   in Loop: Header=BB2_4766 Depth=2
	v_bfe_u32 v4, v11, 24, 7
	v_cmp_ne_u32_e32 vcc, s39, v4
	v_mov_b32_e32 v2, 0x7f800001
	s_and_saveexec_b64 s[78:79], vcc
	s_cbranch_execz .LBB2_5284
; %bb.5283:                             ;   in Loop: Header=BB2_4766 Depth=2
	v_and_b32_e32 v2, 7, v10
	v_lshrrev_b32_e32 v6, 3, v4
	v_cmp_gt_u32_e32 vcc, 8, v4
	v_ffbh_u32_e32 v4, v2
	v_min_u32_e32 v7, 32, v4
	v_subrev_u32_e32 v4, 28, v7
	v_lshlrev_b64 v[4:5], v4, v[10:11]
	v_sub_u32_e32 v5, 29, v7
	v_and_b32_e32 v4, 7, v4
	v_cndmask_b32_e32 v5, v6, v5, vcc
	v_cndmask_b32_e32 v2, v2, v4, vcc
	v_lshlrev_b32_e32 v4, 24, v10
	v_lshlrev_b32_e32 v2, 20, v2
	v_and_b32_e32 v4, 0x80000000, v4
	v_lshl_add_u32 v5, v5, 23, v59
	v_or3_b32 v2, v4, v5, v2
.LBB2_5284:                             ;   in Loop: Header=BB2_4766 Depth=2
	s_or_b64 exec, exec, s[78:79]
.LBB2_5285:                             ;   in Loop: Header=BB2_4766 Depth=2
	s_or_b64 exec, exec, s[76:77]
.LBB2_5286:                             ;   in Loop: Header=BB2_4766 Depth=2
	s_or_b64 exec, exec, s[20:21]
	v_mul_f32_e32 v2, v55, v2
	v_and_b32_e32 v32, 0x7f800000, v2
	v_cmp_ne_u64_e32 vcc, s[46:47], v[32:33]
                                        ; implicit-def: $vgpr30
	s_and_saveexec_b64 s[20:21], vcc
	s_xor_b64 s[76:77], exec, s[20:21]
	s_cbranch_execz .LBB2_5300
; %bb.5287:                             ;   in Loop: Header=BB2_4766 Depth=2
	v_and_b32_e32 v32, 0x7fffffff, v2
	v_cmp_gt_u64_e32 vcc, s[56:57], v[32:33]
	v_and_b32_sdwa v4, v2, s48 dst_sel:DWORD dst_unused:UNUSED_PAD src0_sel:BYTE_3 src1_sel:DWORD
                                        ; implicit-def: $vgpr30
	s_and_saveexec_b64 s[20:21], vcc
	s_xor_b64 s[78:79], exec, s[20:21]
	s_cbranch_execz .LBB2_5297
; %bb.5288:                             ;   in Loop: Header=BB2_4766 Depth=2
	v_mov_b32_e32 v30, 0
	v_cmp_ne_u32_e32 vcc, 0, v2
	s_and_saveexec_b64 s[88:89], vcc
	s_cbranch_execz .LBB2_5296
; %bb.5289:                             ;   in Loop: Header=BB2_4766 Depth=2
	v_and_b32_e32 v6, 0x7fffff, v2
	v_bfe_u32 v2, v2, 23, 8
	v_cmp_gt_u32_e64 s[20:21], s49, v2
	v_sub_u32_e32 v5, 0x79, v2
	v_cmp_eq_u32_e32 vcc, 0, v2
	v_cndmask_b32_e64 v5, 0, v5, s[20:21]
	v_or_b32_e32 v7, 0x800000, v6
	v_cndmask_b32_e32 v5, v5, v60, vcc
	v_cndmask_b32_e32 v32, v7, v6, vcc
	v_add_u32_e32 v6, 20, v5
	v_lshlrev_b64 v[6:7], v6, -1
	v_add_u32_e32 v8, 19, v5
	v_lshlrev_b64 v[8:9], v8, 1
	v_lshrrev_b64 v[10:11], v5, v[32:33]
	v_bfi_b32 v7, v7, 0, 0
	v_bfi_b32 v6, v6, 0, v32
	v_cmp_eq_u64_e64 s[20:21], v[6:7], v[8:9]
	v_mov_b32_e32 v40, v11
	v_mov_b32_e32 v39, v10
	s_and_saveexec_b64 s[90:91], s[20:21]
; %bb.5290:                             ;   in Loop: Header=BB2_4766 Depth=2
	v_bfe_u32 v6, v10, 20, 1
	v_add_co_u32_e64 v6, s[20:21], v10, v6
	v_add_co_u32_e64 v39, s[20:21], -1, v6
; %bb.5291:                             ;   in Loop: Header=BB2_4766 Depth=2
	s_or_b64 exec, exec, s[90:91]
	v_add_u32_e32 v2, 0xffffff81, v2
	v_cndmask_b32_e32 v2, v2, v61, vcc
	v_lshrrev_b32_e32 v6, 23, v10
	v_add3_u32 v6, v5, v2, v6
	v_add_u32_e32 v5, 6, v6
	v_and_b32_e32 v2, 0xfffff, v39
	v_add_u32_e32 v32, v2, v10
	v_cmp_ne_u32_e32 vcc, 0, v5
                                        ; implicit-def: $vgpr10_vgpr11
                                        ; implicit-def: $vgpr2
	s_and_saveexec_b64 s[20:21], vcc
	s_xor_b64 s[20:21], exec, s[20:21]
; %bb.5292:                             ;   in Loop: Header=BB2_4766 Depth=2
	v_cmp_lt_u64_e32 vcc, s[58:59], v[32:33]
	v_add_u32_e32 v2, 7, v6
	v_cndmask_b32_e32 v2, v5, v2, vcc
	v_cndmask_b32_e64 v5, 0, 1, vcc
	v_lshrrev_b64 v[10:11], v5, v[32:33]
; %bb.5293:                             ;   in Loop: Header=BB2_4766 Depth=2
	s_andn2_saveexec_b64 s[20:21], s[20:21]
; %bb.5294:                             ;   in Loop: Header=BB2_4766 Depth=2
	v_mov_b32_e32 v10, v32
	v_bfe_u32 v2, v32, 23, 1
	v_mov_b32_e32 v11, v33
; %bb.5295:                             ;   in Loop: Header=BB2_4766 Depth=2
	s_or_b64 exec, exec, s[20:21]
	v_lshrrev_b64 v[5:6], 20, v[10:11]
	v_cmp_gt_i32_e32 vcc, 16, v2
	v_cndmask_b32_e32 v6, 0, v6, vcc
	v_cndmask_b32_e32 v5, 7, v5, vcc
	v_cmp_eq_u32_e32 vcc, 0, v2
	v_min_i32_e32 v2, 15, v2
	v_cmp_eq_u64_e64 s[20:21], 0, v[5:6]
	v_lshlrev_b32_e32 v2, 3, v2
	v_and_b32_e32 v2, 0xf8, v2
	v_and_or_b32 v2, v5, 7, v2
	s_and_b64 s[20:21], vcc, s[20:21]
	v_cndmask_b32_e64 v2, v2, 0, s[20:21]
	v_or_b32_e32 v30, v2, v4
.LBB2_5296:                             ;   in Loop: Header=BB2_4766 Depth=2
	s_or_b64 exec, exec, s[88:89]
                                        ; implicit-def: $vgpr4
.LBB2_5297:                             ;   in Loop: Header=BB2_4766 Depth=2
	s_andn2_saveexec_b64 s[20:21], s[78:79]
; %bb.5298:                             ;   in Loop: Header=BB2_4766 Depth=2
	v_or_b32_e32 v30, 0x7e, v4
; %bb.5299:                             ;   in Loop: Header=BB2_4766 Depth=2
	s_or_b64 exec, exec, s[20:21]
                                        ; implicit-def: $vgpr2
.LBB2_5300:                             ;   in Loop: Header=BB2_4766 Depth=2
	s_andn2_saveexec_b64 s[20:21], s[76:77]
; %bb.5301:                             ;   in Loop: Header=BB2_4766 Depth=2
	v_or_b32_sdwa v30, v2, s39 dst_sel:DWORD dst_unused:UNUSED_PAD src0_sel:BYTE_3 src1_sel:DWORD
; %bb.5302:                             ;   in Loop: Header=BB2_4766 Depth=2
	s_or_b64 exec, exec, s[20:21]
	v_cmp_ne_u16_sdwa s[76:77], v12, v33 src0_sel:BYTE_0 src1_sel:DWORD
	v_mov_b32_e32 v2, 0
	s_and_saveexec_b64 s[20:21], s[76:77]
	s_cbranch_execz .LBB2_5308
; %bb.5303:                             ;   in Loop: Header=BB2_4766 Depth=2
	v_cmp_ne_u16_sdwa s[78:79], v12, s48 src0_sel:BYTE_0 src1_sel:DWORD
	v_bfrev_b32_e32 v2, 1
	s_and_saveexec_b64 s[76:77], s[78:79]
	s_cbranch_execz .LBB2_5307
; %bb.5304:                             ;   in Loop: Header=BB2_4766 Depth=2
	v_and_b32_e32 v4, 0x7f, v12
	v_cmp_ne_u32_e32 vcc, s39, v4
	v_mov_b32_e32 v2, 0x7f800001
	s_and_saveexec_b64 s[78:79], vcc
	s_cbranch_execz .LBB2_5306
; %bb.5305:                             ;   in Loop: Header=BB2_4766 Depth=2
	v_and_b32_e32 v2, 7, v12
	v_ffbh_u32_e32 v2, v2
	v_min_u32_e32 v2, 32, v2
	v_lshrrev_b32_e32 v5, 3, v4
	v_cmp_gt_u32_e32 vcc, 8, v4
	v_subrev_u32_e32 v4, 28, v2
	v_sub_u32_e32 v2, 29, v2
	v_cndmask_b32_e32 v4, 0, v4, vcc
	v_cndmask_b32_e32 v2, v5, v2, vcc
	v_lshlrev_b64 v[4:5], v4, v[12:13]
	v_lshlrev_b32_e32 v5, 24, v12
	v_lshlrev_b32_e32 v4, 20, v4
	v_and_b32_e32 v4, 0x700000, v4
	v_and_b32_e32 v5, 0x80000000, v5
	v_lshl_add_u32 v2, v2, 23, v59
	v_or3_b32 v2, v5, v2, v4
.LBB2_5306:                             ;   in Loop: Header=BB2_4766 Depth=2
	s_or_b64 exec, exec, s[78:79]
.LBB2_5307:                             ;   in Loop: Header=BB2_4766 Depth=2
	s_or_b64 exec, exec, s[76:77]
.LBB2_5308:                             ;   in Loop: Header=BB2_4766 Depth=2
	s_or_b64 exec, exec, s[20:21]
	v_mul_f32_e32 v2, v55, v2
	v_and_b32_e32 v32, 0x7f800000, v2
	v_cmp_ne_u64_e32 vcc, s[46:47], v[32:33]
                                        ; implicit-def: $vgpr41
	s_and_saveexec_b64 s[20:21], vcc
	s_xor_b64 s[76:77], exec, s[20:21]
	s_cbranch_execz .LBB2_5322
; %bb.5309:                             ;   in Loop: Header=BB2_4766 Depth=2
	v_and_b32_e32 v32, 0x7fffffff, v2
	v_cmp_gt_u64_e32 vcc, s[56:57], v[32:33]
	v_and_b32_sdwa v4, v2, s48 dst_sel:DWORD dst_unused:UNUSED_PAD src0_sel:BYTE_3 src1_sel:DWORD
                                        ; implicit-def: $vgpr41
	s_and_saveexec_b64 s[20:21], vcc
	s_xor_b64 s[78:79], exec, s[20:21]
	s_cbranch_execz .LBB2_5319
; %bb.5310:                             ;   in Loop: Header=BB2_4766 Depth=2
	v_mov_b32_e32 v41, 0
	v_cmp_ne_u32_e32 vcc, 0, v2
	s_and_saveexec_b64 s[88:89], vcc
	s_cbranch_execz .LBB2_5318
; %bb.5311:                             ;   in Loop: Header=BB2_4766 Depth=2
	v_and_b32_e32 v6, 0x7fffff, v2
	v_bfe_u32 v2, v2, 23, 8
	v_cmp_gt_u32_e64 s[20:21], s49, v2
	v_sub_u32_e32 v5, 0x79, v2
	v_cmp_eq_u32_e32 vcc, 0, v2
	v_cndmask_b32_e64 v5, 0, v5, s[20:21]
	v_or_b32_e32 v7, 0x800000, v6
	v_cndmask_b32_e32 v5, v5, v60, vcc
	v_cndmask_b32_e32 v32, v7, v6, vcc
	v_add_u32_e32 v6, 20, v5
	v_lshlrev_b64 v[6:7], v6, -1
	v_add_u32_e32 v8, 19, v5
	v_lshlrev_b64 v[8:9], v8, 1
	v_lshrrev_b64 v[10:11], v5, v[32:33]
	v_bfi_b32 v7, v7, 0, 0
	v_bfi_b32 v6, v6, 0, v32
	v_cmp_eq_u64_e64 s[20:21], v[6:7], v[8:9]
	v_mov_b32_e32 v40, v11
	v_mov_b32_e32 v39, v10
	s_and_saveexec_b64 s[90:91], s[20:21]
; %bb.5312:                             ;   in Loop: Header=BB2_4766 Depth=2
	v_bfe_u32 v6, v10, 20, 1
	v_add_co_u32_e64 v6, s[20:21], v10, v6
	v_add_co_u32_e64 v39, s[20:21], -1, v6
; %bb.5313:                             ;   in Loop: Header=BB2_4766 Depth=2
	s_or_b64 exec, exec, s[90:91]
	v_add_u32_e32 v2, 0xffffff81, v2
	v_cndmask_b32_e32 v2, v2, v61, vcc
	v_lshrrev_b32_e32 v6, 23, v10
	v_add3_u32 v6, v5, v2, v6
	v_add_u32_e32 v5, 6, v6
	v_and_b32_e32 v2, 0xfffff, v39
	v_add_u32_e32 v32, v2, v10
	v_cmp_ne_u32_e32 vcc, 0, v5
                                        ; implicit-def: $vgpr10_vgpr11
                                        ; implicit-def: $vgpr2
	s_and_saveexec_b64 s[20:21], vcc
	s_xor_b64 s[20:21], exec, s[20:21]
; %bb.5314:                             ;   in Loop: Header=BB2_4766 Depth=2
	v_cmp_lt_u64_e32 vcc, s[58:59], v[32:33]
	v_add_u32_e32 v2, 7, v6
	v_cndmask_b32_e32 v2, v5, v2, vcc
	v_cndmask_b32_e64 v5, 0, 1, vcc
	v_lshrrev_b64 v[10:11], v5, v[32:33]
; %bb.5315:                             ;   in Loop: Header=BB2_4766 Depth=2
	s_andn2_saveexec_b64 s[20:21], s[20:21]
; %bb.5316:                             ;   in Loop: Header=BB2_4766 Depth=2
	v_mov_b32_e32 v10, v32
	v_bfe_u32 v2, v32, 23, 1
	v_mov_b32_e32 v11, v33
; %bb.5317:                             ;   in Loop: Header=BB2_4766 Depth=2
	s_or_b64 exec, exec, s[20:21]
	v_lshrrev_b64 v[5:6], 20, v[10:11]
	v_cmp_gt_i32_e32 vcc, 16, v2
	v_cndmask_b32_e32 v6, 0, v6, vcc
	v_cndmask_b32_e32 v5, 7, v5, vcc
	v_cmp_eq_u32_e32 vcc, 0, v2
	v_min_i32_e32 v2, 15, v2
	v_cmp_eq_u64_e64 s[20:21], 0, v[5:6]
	v_lshlrev_b32_e32 v2, 3, v2
	v_and_b32_e32 v2, 0xf8, v2
	v_and_or_b32 v2, v5, 7, v2
	s_and_b64 s[20:21], vcc, s[20:21]
	v_cndmask_b32_e64 v2, v2, 0, s[20:21]
	v_or_b32_e32 v41, v2, v4
.LBB2_5318:                             ;   in Loop: Header=BB2_4766 Depth=2
	s_or_b64 exec, exec, s[88:89]
                                        ; implicit-def: $vgpr4
.LBB2_5319:                             ;   in Loop: Header=BB2_4766 Depth=2
	s_andn2_saveexec_b64 s[20:21], s[78:79]
; %bb.5320:                             ;   in Loop: Header=BB2_4766 Depth=2
	v_or_b32_e32 v41, 0x7e, v4
; %bb.5321:                             ;   in Loop: Header=BB2_4766 Depth=2
	s_or_b64 exec, exec, s[20:21]
                                        ; implicit-def: $vgpr2
.LBB2_5322:                             ;   in Loop: Header=BB2_4766 Depth=2
	s_andn2_saveexec_b64 s[20:21], s[76:77]
; %bb.5323:                             ;   in Loop: Header=BB2_4766 Depth=2
	v_or_b32_sdwa v41, v2, s39 dst_sel:DWORD dst_unused:UNUSED_PAD src0_sel:BYTE_3 src1_sel:DWORD
; %bb.5324:                             ;   in Loop: Header=BB2_4766 Depth=2
	s_or_b64 exec, exec, s[20:21]
	v_lshrrev_b16_e32 v10, 8, v12
	v_cmp_ne_u16_e32 vcc, 0, v10
	v_mov_b32_e32 v2, 0
	s_and_saveexec_b64 s[20:21], vcc
	s_cbranch_execz .LBB2_5330
; %bb.5325:                             ;   in Loop: Header=BB2_4766 Depth=2
	v_cmp_ne_u16_e32 vcc, s48, v10
	v_bfrev_b32_e32 v2, 1
	s_and_saveexec_b64 s[76:77], vcc
	s_cbranch_execz .LBB2_5329
; %bb.5326:                             ;   in Loop: Header=BB2_4766 Depth=2
	v_and_b32_e32 v4, 0x7f, v10
	v_cmp_ne_u32_e32 vcc, s39, v4
	v_mov_b32_e32 v2, 0x7f800001
	s_and_saveexec_b64 s[78:79], vcc
	s_cbranch_execz .LBB2_5328
; %bb.5327:                             ;   in Loop: Header=BB2_4766 Depth=2
	v_and_b32_e32 v2, 7, v10
	v_lshrrev_b32_e32 v6, 3, v4
	v_cmp_gt_u32_e32 vcc, 8, v4
	v_ffbh_u32_e32 v4, v2
	v_min_u32_e32 v7, 32, v4
	v_subrev_u32_e32 v4, 28, v7
	v_lshlrev_b64 v[4:5], v4, v[10:11]
	v_sub_u32_e32 v5, 29, v7
	v_and_b32_e32 v4, 7, v4
	v_cndmask_b32_e32 v5, v6, v5, vcc
	v_cndmask_b32_e32 v2, v2, v4, vcc
	v_lshlrev_b32_e32 v4, 16, v12
	v_lshlrev_b32_e32 v2, 20, v2
	v_and_b32_e32 v4, 0x80000000, v4
	v_lshl_add_u32 v5, v5, 23, v59
	v_or3_b32 v2, v4, v5, v2
.LBB2_5328:                             ;   in Loop: Header=BB2_4766 Depth=2
	s_or_b64 exec, exec, s[78:79]
.LBB2_5329:                             ;   in Loop: Header=BB2_4766 Depth=2
	s_or_b64 exec, exec, s[76:77]
.LBB2_5330:                             ;   in Loop: Header=BB2_4766 Depth=2
	s_or_b64 exec, exec, s[20:21]
	v_mul_f32_e32 v2, v55, v2
	v_and_b32_e32 v32, 0x7f800000, v2
	v_cmp_ne_u64_e32 vcc, s[46:47], v[32:33]
                                        ; implicit-def: $vgpr4
	s_and_saveexec_b64 s[20:21], vcc
	s_xor_b64 s[76:77], exec, s[20:21]
	s_cbranch_execz .LBB2_5344
; %bb.5331:                             ;   in Loop: Header=BB2_4766 Depth=2
	v_and_b32_e32 v32, 0x7fffffff, v2
	v_cmp_gt_u64_e32 vcc, s[56:57], v[32:33]
	v_and_b32_sdwa v5, v2, s48 dst_sel:DWORD dst_unused:UNUSED_PAD src0_sel:BYTE_3 src1_sel:DWORD
                                        ; implicit-def: $vgpr4
	s_and_saveexec_b64 s[20:21], vcc
	s_xor_b64 s[78:79], exec, s[20:21]
	s_cbranch_execz .LBB2_5341
; %bb.5332:                             ;   in Loop: Header=BB2_4766 Depth=2
	v_mov_b32_e32 v4, 0
	v_cmp_ne_u32_e32 vcc, 0, v2
	s_and_saveexec_b64 s[88:89], vcc
	s_cbranch_execz .LBB2_5340
; %bb.5333:                             ;   in Loop: Header=BB2_4766 Depth=2
	v_and_b32_e32 v6, 0x7fffff, v2
	v_bfe_u32 v2, v2, 23, 8
	v_cmp_gt_u32_e64 s[20:21], s49, v2
	v_sub_u32_e32 v4, 0x79, v2
	v_cmp_eq_u32_e32 vcc, 0, v2
	v_cndmask_b32_e64 v4, 0, v4, s[20:21]
	v_or_b32_e32 v7, 0x800000, v6
	v_cndmask_b32_e32 v4, v4, v60, vcc
	v_cndmask_b32_e32 v32, v7, v6, vcc
	v_add_u32_e32 v6, 20, v4
	v_lshlrev_b64 v[6:7], v6, -1
	v_add_u32_e32 v8, 19, v4
	v_lshlrev_b64 v[8:9], v8, 1
	v_lshrrev_b64 v[10:11], v4, v[32:33]
	v_bfi_b32 v7, v7, 0, 0
	v_bfi_b32 v6, v6, 0, v32
	v_cmp_eq_u64_e64 s[20:21], v[6:7], v[8:9]
	v_mov_b32_e32 v40, v11
	v_mov_b32_e32 v39, v10
	s_and_saveexec_b64 s[90:91], s[20:21]
; %bb.5334:                             ;   in Loop: Header=BB2_4766 Depth=2
	v_bfe_u32 v6, v10, 20, 1
	v_add_co_u32_e64 v6, s[20:21], v10, v6
	v_add_co_u32_e64 v39, s[20:21], -1, v6
; %bb.5335:                             ;   in Loop: Header=BB2_4766 Depth=2
	s_or_b64 exec, exec, s[90:91]
	v_add_u32_e32 v2, 0xffffff81, v2
	v_cndmask_b32_e32 v2, v2, v61, vcc
	v_lshrrev_b32_e32 v6, 23, v10
	v_add3_u32 v6, v4, v2, v6
	v_add_u32_e32 v4, 6, v6
	v_and_b32_e32 v2, 0xfffff, v39
	v_add_u32_e32 v32, v2, v10
	v_cmp_ne_u32_e32 vcc, 0, v4
                                        ; implicit-def: $vgpr10_vgpr11
                                        ; implicit-def: $vgpr2
	s_and_saveexec_b64 s[20:21], vcc
	s_xor_b64 s[20:21], exec, s[20:21]
; %bb.5336:                             ;   in Loop: Header=BB2_4766 Depth=2
	v_cmp_lt_u64_e32 vcc, s[58:59], v[32:33]
	v_add_u32_e32 v2, 7, v6
	v_cndmask_b32_e32 v2, v4, v2, vcc
	v_cndmask_b32_e64 v4, 0, 1, vcc
	v_lshrrev_b64 v[10:11], v4, v[32:33]
; %bb.5337:                             ;   in Loop: Header=BB2_4766 Depth=2
	s_andn2_saveexec_b64 s[20:21], s[20:21]
; %bb.5338:                             ;   in Loop: Header=BB2_4766 Depth=2
	v_mov_b32_e32 v10, v32
	v_bfe_u32 v2, v32, 23, 1
	v_mov_b32_e32 v11, v33
; %bb.5339:                             ;   in Loop: Header=BB2_4766 Depth=2
	s_or_b64 exec, exec, s[20:21]
	v_lshrrev_b64 v[6:7], 20, v[10:11]
	v_cmp_gt_i32_e32 vcc, 16, v2
	v_cndmask_b32_e32 v7, 0, v7, vcc
	v_cndmask_b32_e32 v6, 7, v6, vcc
	v_cmp_eq_u32_e32 vcc, 0, v2
	v_min_i32_e32 v2, 15, v2
	v_cmp_eq_u64_e64 s[20:21], 0, v[6:7]
	v_lshlrev_b32_e32 v2, 3, v2
	v_and_b32_e32 v2, 0xf8, v2
	v_and_or_b32 v2, v6, 7, v2
	s_and_b64 s[20:21], vcc, s[20:21]
	v_cndmask_b32_e64 v2, v2, 0, s[20:21]
	v_or_b32_e32 v4, v2, v5
.LBB2_5340:                             ;   in Loop: Header=BB2_4766 Depth=2
	s_or_b64 exec, exec, s[88:89]
                                        ; implicit-def: $vgpr5
.LBB2_5341:                             ;   in Loop: Header=BB2_4766 Depth=2
	s_andn2_saveexec_b64 s[20:21], s[78:79]
; %bb.5342:                             ;   in Loop: Header=BB2_4766 Depth=2
	v_or_b32_e32 v4, 0x7e, v5
; %bb.5343:                             ;   in Loop: Header=BB2_4766 Depth=2
	s_or_b64 exec, exec, s[20:21]
                                        ; implicit-def: $vgpr2
.LBB2_5344:                             ;   in Loop: Header=BB2_4766 Depth=2
	s_andn2_saveexec_b64 s[20:21], s[76:77]
; %bb.5345:                             ;   in Loop: Header=BB2_4766 Depth=2
	v_or_b32_sdwa v4, v2, s39 dst_sel:DWORD dst_unused:UNUSED_PAD src0_sel:BYTE_3 src1_sel:DWORD
; %bb.5346:                             ;   in Loop: Header=BB2_4766 Depth=2
	s_or_b64 exec, exec, s[20:21]
	v_lshrrev_b32_e32 v10, 16, v12
	v_cmp_ne_u16_sdwa s[76:77], v10, v33 src0_sel:BYTE_0 src1_sel:DWORD
	v_mov_b32_e32 v2, 0
	s_and_saveexec_b64 s[20:21], s[76:77]
	s_cbranch_execz .LBB2_5352
; %bb.5347:                             ;   in Loop: Header=BB2_4766 Depth=2
	v_cmp_ne_u16_sdwa s[78:79], v10, s48 src0_sel:BYTE_0 src1_sel:DWORD
	v_bfrev_b32_e32 v2, 1
	s_and_saveexec_b64 s[76:77], s[78:79]
	s_cbranch_execz .LBB2_5351
; %bb.5348:                             ;   in Loop: Header=BB2_4766 Depth=2
	v_bfe_u32 v5, v12, 16, 7
	v_cmp_ne_u32_e32 vcc, s39, v5
	v_mov_b32_e32 v2, 0x7f800001
	s_and_saveexec_b64 s[78:79], vcc
	s_cbranch_execz .LBB2_5350
; %bb.5349:                             ;   in Loop: Header=BB2_4766 Depth=2
	v_and_b32_e32 v2, 7, v10
	v_lshrrev_b32_e32 v7, 3, v5
	v_cmp_gt_u32_e32 vcc, 8, v5
	v_ffbh_u32_e32 v5, v2
	v_min_u32_e32 v8, 32, v5
	v_subrev_u32_e32 v5, 28, v8
	v_lshlrev_b64 v[5:6], v5, v[10:11]
	v_sub_u32_e32 v6, 29, v8
	v_and_b32_e32 v5, 7, v5
	v_cndmask_b32_e32 v6, v7, v6, vcc
	v_cndmask_b32_e32 v2, v2, v5, vcc
	v_lshlrev_b32_e32 v5, 24, v10
	v_lshlrev_b32_e32 v2, 20, v2
	v_and_b32_e32 v5, 0x80000000, v5
	v_lshl_add_u32 v6, v6, 23, v59
	v_or3_b32 v2, v5, v6, v2
.LBB2_5350:                             ;   in Loop: Header=BB2_4766 Depth=2
	s_or_b64 exec, exec, s[78:79]
.LBB2_5351:                             ;   in Loop: Header=BB2_4766 Depth=2
	s_or_b64 exec, exec, s[76:77]
.LBB2_5352:                             ;   in Loop: Header=BB2_4766 Depth=2
	s_or_b64 exec, exec, s[20:21]
	v_mul_f32_e32 v2, v55, v2
	v_and_b32_e32 v32, 0x7f800000, v2
	v_cmp_ne_u64_e32 vcc, s[46:47], v[32:33]
                                        ; implicit-def: $vgpr5
	s_and_saveexec_b64 s[20:21], vcc
	s_xor_b64 s[76:77], exec, s[20:21]
	s_cbranch_execz .LBB2_5366
; %bb.5353:                             ;   in Loop: Header=BB2_4766 Depth=2
	v_and_b32_e32 v32, 0x7fffffff, v2
	v_cmp_gt_u64_e32 vcc, s[56:57], v[32:33]
	v_and_b32_sdwa v22, v2, s48 dst_sel:DWORD dst_unused:UNUSED_PAD src0_sel:BYTE_3 src1_sel:DWORD
                                        ; implicit-def: $vgpr5
	s_and_saveexec_b64 s[20:21], vcc
	s_xor_b64 s[78:79], exec, s[20:21]
	s_cbranch_execz .LBB2_5363
; %bb.5354:                             ;   in Loop: Header=BB2_4766 Depth=2
	v_mov_b32_e32 v5, 0
	v_cmp_ne_u32_e32 vcc, 0, v2
	s_and_saveexec_b64 s[88:89], vcc
	s_cbranch_execz .LBB2_5362
; %bb.5355:                             ;   in Loop: Header=BB2_4766 Depth=2
	v_and_b32_e32 v6, 0x7fffff, v2
	v_bfe_u32 v2, v2, 23, 8
	v_cmp_gt_u32_e64 s[20:21], s49, v2
	v_sub_u32_e32 v5, 0x79, v2
	v_cmp_eq_u32_e32 vcc, 0, v2
	v_cndmask_b32_e64 v5, 0, v5, s[20:21]
	v_or_b32_e32 v7, 0x800000, v6
	v_cndmask_b32_e32 v5, v5, v60, vcc
	v_cndmask_b32_e32 v32, v7, v6, vcc
	v_add_u32_e32 v6, 20, v5
	v_lshlrev_b64 v[6:7], v6, -1
	v_add_u32_e32 v8, 19, v5
	v_lshlrev_b64 v[8:9], v8, 1
	v_lshrrev_b64 v[10:11], v5, v[32:33]
	v_bfi_b32 v7, v7, 0, 0
	v_bfi_b32 v6, v6, 0, v32
	v_cmp_eq_u64_e64 s[20:21], v[6:7], v[8:9]
	v_mov_b32_e32 v40, v11
	v_mov_b32_e32 v39, v10
	s_and_saveexec_b64 s[90:91], s[20:21]
; %bb.5356:                             ;   in Loop: Header=BB2_4766 Depth=2
	v_bfe_u32 v6, v10, 20, 1
	v_add_co_u32_e64 v6, s[20:21], v10, v6
	v_add_co_u32_e64 v39, s[20:21], -1, v6
; %bb.5357:                             ;   in Loop: Header=BB2_4766 Depth=2
	s_or_b64 exec, exec, s[90:91]
	v_add_u32_e32 v2, 0xffffff81, v2
	v_cndmask_b32_e32 v2, v2, v61, vcc
	v_lshrrev_b32_e32 v6, 23, v10
	v_add3_u32 v6, v5, v2, v6
	v_add_u32_e32 v5, 6, v6
	v_and_b32_e32 v2, 0xfffff, v39
	v_add_u32_e32 v32, v2, v10
	v_cmp_ne_u32_e32 vcc, 0, v5
                                        ; implicit-def: $vgpr10_vgpr11
                                        ; implicit-def: $vgpr2
	s_and_saveexec_b64 s[20:21], vcc
	s_xor_b64 s[20:21], exec, s[20:21]
; %bb.5358:                             ;   in Loop: Header=BB2_4766 Depth=2
	v_cmp_lt_u64_e32 vcc, s[58:59], v[32:33]
	v_add_u32_e32 v2, 7, v6
	v_cndmask_b32_e32 v2, v5, v2, vcc
	v_cndmask_b32_e64 v5, 0, 1, vcc
	v_lshrrev_b64 v[10:11], v5, v[32:33]
; %bb.5359:                             ;   in Loop: Header=BB2_4766 Depth=2
	s_andn2_saveexec_b64 s[20:21], s[20:21]
; %bb.5360:                             ;   in Loop: Header=BB2_4766 Depth=2
	v_mov_b32_e32 v10, v32
	v_bfe_u32 v2, v32, 23, 1
	v_mov_b32_e32 v11, v33
; %bb.5361:                             ;   in Loop: Header=BB2_4766 Depth=2
	s_or_b64 exec, exec, s[20:21]
	v_lshrrev_b64 v[5:6], 20, v[10:11]
	v_cmp_gt_i32_e32 vcc, 16, v2
	v_cndmask_b32_e32 v6, 0, v6, vcc
	v_cndmask_b32_e32 v5, 7, v5, vcc
	v_cmp_eq_u32_e32 vcc, 0, v2
	v_min_i32_e32 v2, 15, v2
	v_cmp_eq_u64_e64 s[20:21], 0, v[5:6]
	v_lshlrev_b32_e32 v2, 3, v2
	v_and_b32_e32 v2, 0xf8, v2
	v_and_or_b32 v2, v5, 7, v2
	s_and_b64 s[20:21], vcc, s[20:21]
	v_cndmask_b32_e64 v2, v2, 0, s[20:21]
	v_or_b32_e32 v5, v2, v22
.LBB2_5362:                             ;   in Loop: Header=BB2_4766 Depth=2
	s_or_b64 exec, exec, s[88:89]
                                        ; implicit-def: $vgpr22
.LBB2_5363:                             ;   in Loop: Header=BB2_4766 Depth=2
	s_andn2_saveexec_b64 s[20:21], s[78:79]
; %bb.5364:                             ;   in Loop: Header=BB2_4766 Depth=2
	v_or_b32_e32 v5, 0x7e, v22
; %bb.5365:                             ;   in Loop: Header=BB2_4766 Depth=2
	s_or_b64 exec, exec, s[20:21]
                                        ; implicit-def: $vgpr2
.LBB2_5366:                             ;   in Loop: Header=BB2_4766 Depth=2
	s_andn2_saveexec_b64 s[20:21], s[76:77]
; %bb.5367:                             ;   in Loop: Header=BB2_4766 Depth=2
	v_or_b32_sdwa v5, v2, s39 dst_sel:DWORD dst_unused:UNUSED_PAD src0_sel:BYTE_3 src1_sel:DWORD
; %bb.5368:                             ;   in Loop: Header=BB2_4766 Depth=2
	s_or_b64 exec, exec, s[20:21]
	v_cmp_lt_u32_e32 vcc, s61, v12
	v_mov_b32_e32 v2, 0
	s_and_saveexec_b64 s[20:21], vcc
	s_cbranch_execz .LBB2_5374
; %bb.5369:                             ;   in Loop: Header=BB2_4766 Depth=2
	v_lshrrev_b32_e32 v10, 24, v12
	v_cmp_ne_u32_e32 vcc, s48, v10
	v_bfrev_b32_e32 v2, 1
	s_and_saveexec_b64 s[76:77], vcc
	s_cbranch_execz .LBB2_5373
; %bb.5370:                             ;   in Loop: Header=BB2_4766 Depth=2
	v_bfe_u32 v6, v12, 24, 7
	v_cmp_ne_u32_e32 vcc, s39, v6
	v_mov_b32_e32 v2, 0x7f800001
	s_and_saveexec_b64 s[78:79], vcc
	s_cbranch_execz .LBB2_5372
; %bb.5371:                             ;   in Loop: Header=BB2_4766 Depth=2
	v_and_b32_e32 v2, 7, v10
	v_lshrrev_b32_e32 v8, 3, v6
	v_cmp_gt_u32_e32 vcc, 8, v6
	v_ffbh_u32_e32 v6, v2
	v_min_u32_e32 v9, 32, v6
	v_subrev_u32_e32 v6, 28, v9
	v_lshlrev_b64 v[6:7], v6, v[10:11]
	v_sub_u32_e32 v7, 29, v9
	v_and_b32_e32 v6, 7, v6
	v_cndmask_b32_e32 v7, v8, v7, vcc
	v_cndmask_b32_e32 v2, v2, v6, vcc
	v_lshlrev_b32_e32 v6, 24, v10
	v_lshlrev_b32_e32 v2, 20, v2
	v_and_b32_e32 v6, 0x80000000, v6
	v_lshl_add_u32 v7, v7, 23, v59
	v_or3_b32 v2, v6, v7, v2
.LBB2_5372:                             ;   in Loop: Header=BB2_4766 Depth=2
	s_or_b64 exec, exec, s[78:79]
.LBB2_5373:                             ;   in Loop: Header=BB2_4766 Depth=2
	s_or_b64 exec, exec, s[76:77]
.LBB2_5374:                             ;   in Loop: Header=BB2_4766 Depth=2
	s_or_b64 exec, exec, s[20:21]
	v_mul_f32_e32 v2, v55, v2
	v_and_b32_e32 v32, 0x7f800000, v2
	v_cmp_ne_u64_e32 vcc, s[46:47], v[32:33]
                                        ; implicit-def: $vgpr47
	s_and_saveexec_b64 s[20:21], vcc
	s_xor_b64 s[76:77], exec, s[20:21]
	s_cbranch_execz .LBB2_5388
; %bb.5375:                             ;   in Loop: Header=BB2_4766 Depth=2
	v_and_b32_e32 v32, 0x7fffffff, v2
	v_cmp_gt_u64_e32 vcc, s[56:57], v[32:33]
	v_and_b32_sdwa v22, v2, s48 dst_sel:DWORD dst_unused:UNUSED_PAD src0_sel:BYTE_3 src1_sel:DWORD
                                        ; implicit-def: $vgpr47
	s_and_saveexec_b64 s[20:21], vcc
	s_xor_b64 s[78:79], exec, s[20:21]
	s_cbranch_execz .LBB2_5385
; %bb.5376:                             ;   in Loop: Header=BB2_4766 Depth=2
	v_mov_b32_e32 v47, 0
	v_cmp_ne_u32_e32 vcc, 0, v2
	s_and_saveexec_b64 s[88:89], vcc
	s_cbranch_execz .LBB2_5384
; %bb.5377:                             ;   in Loop: Header=BB2_4766 Depth=2
	v_and_b32_e32 v6, 0x7fffff, v2
	v_bfe_u32 v2, v2, 23, 8
	v_cmp_gt_u32_e64 s[20:21], s49, v2
	v_sub_u32_e32 v7, 0x79, v2
	v_cmp_eq_u32_e32 vcc, 0, v2
	v_cndmask_b32_e64 v7, 0, v7, s[20:21]
	v_or_b32_e32 v8, 0x800000, v6
	v_cndmask_b32_e32 v23, v7, v60, vcc
	v_cndmask_b32_e32 v32, v8, v6, vcc
	v_add_u32_e32 v6, 20, v23
	v_lshlrev_b64 v[6:7], v6, -1
	v_add_u32_e32 v8, 19, v23
	v_lshlrev_b64 v[8:9], v8, 1
	v_lshrrev_b64 v[10:11], v23, v[32:33]
	v_bfi_b32 v7, v7, 0, 0
	v_bfi_b32 v6, v6, 0, v32
	v_cmp_eq_u64_e64 s[20:21], v[6:7], v[8:9]
	v_mov_b32_e32 v40, v11
	v_mov_b32_e32 v39, v10
	s_and_saveexec_b64 s[90:91], s[20:21]
; %bb.5378:                             ;   in Loop: Header=BB2_4766 Depth=2
	v_bfe_u32 v6, v10, 20, 1
	v_add_co_u32_e64 v6, s[20:21], v10, v6
	v_add_co_u32_e64 v39, s[20:21], -1, v6
; %bb.5379:                             ;   in Loop: Header=BB2_4766 Depth=2
	s_or_b64 exec, exec, s[90:91]
	v_add_u32_e32 v2, 0xffffff81, v2
	v_cndmask_b32_e32 v2, v2, v61, vcc
	v_lshrrev_b32_e32 v6, 23, v10
	v_add3_u32 v7, v23, v2, v6
	v_add_u32_e32 v6, 6, v7
	v_and_b32_e32 v2, 0xfffff, v39
	v_add_u32_e32 v32, v2, v10
	v_cmp_ne_u32_e32 vcc, 0, v6
                                        ; implicit-def: $vgpr10_vgpr11
                                        ; implicit-def: $vgpr2
	s_and_saveexec_b64 s[20:21], vcc
	s_xor_b64 s[20:21], exec, s[20:21]
; %bb.5380:                             ;   in Loop: Header=BB2_4766 Depth=2
	v_cmp_lt_u64_e32 vcc, s[58:59], v[32:33]
	v_add_u32_e32 v2, 7, v7
	v_cndmask_b32_e32 v2, v6, v2, vcc
	v_cndmask_b32_e64 v6, 0, 1, vcc
	v_lshrrev_b64 v[10:11], v6, v[32:33]
; %bb.5381:                             ;   in Loop: Header=BB2_4766 Depth=2
	s_andn2_saveexec_b64 s[20:21], s[20:21]
; %bb.5382:                             ;   in Loop: Header=BB2_4766 Depth=2
	v_mov_b32_e32 v10, v32
	v_bfe_u32 v2, v32, 23, 1
	v_mov_b32_e32 v11, v33
; %bb.5383:                             ;   in Loop: Header=BB2_4766 Depth=2
	s_or_b64 exec, exec, s[20:21]
	v_lshrrev_b64 v[6:7], 20, v[10:11]
	v_cmp_gt_i32_e32 vcc, 16, v2
	v_cndmask_b32_e32 v7, 0, v7, vcc
	v_cndmask_b32_e32 v6, 7, v6, vcc
	v_cmp_eq_u32_e32 vcc, 0, v2
	v_min_i32_e32 v2, 15, v2
	v_cmp_eq_u64_e64 s[20:21], 0, v[6:7]
	v_lshlrev_b32_e32 v2, 3, v2
	v_and_b32_e32 v2, 0xf8, v2
	v_and_or_b32 v2, v6, 7, v2
	s_and_b64 s[20:21], vcc, s[20:21]
	v_cndmask_b32_e64 v2, v2, 0, s[20:21]
	v_or_b32_e32 v47, v2, v22
.LBB2_5384:                             ;   in Loop: Header=BB2_4766 Depth=2
	s_or_b64 exec, exec, s[88:89]
                                        ; implicit-def: $vgpr22
.LBB2_5385:                             ;   in Loop: Header=BB2_4766 Depth=2
	s_andn2_saveexec_b64 s[20:21], s[78:79]
; %bb.5386:                             ;   in Loop: Header=BB2_4766 Depth=2
	v_or_b32_e32 v47, 0x7e, v22
; %bb.5387:                             ;   in Loop: Header=BB2_4766 Depth=2
	s_or_b64 exec, exec, s[20:21]
                                        ; implicit-def: $vgpr2
.LBB2_5388:                             ;   in Loop: Header=BB2_4766 Depth=2
	s_andn2_saveexec_b64 s[20:21], s[76:77]
; %bb.5389:                             ;   in Loop: Header=BB2_4766 Depth=2
	v_or_b32_sdwa v47, v2, s39 dst_sel:DWORD dst_unused:UNUSED_PAD src0_sel:BYTE_3 src1_sel:DWORD
; %bb.5390:                             ;   in Loop: Header=BB2_4766 Depth=2
	s_or_b64 exec, exec, s[20:21]
	v_mov_b32_e32 v32, v13
	v_cmp_ne_u16_sdwa s[76:77], v13, v33 src0_sel:BYTE_0 src1_sel:DWORD
	v_mov_b32_e32 v2, 0
	s_and_saveexec_b64 s[20:21], s[76:77]
	s_cbranch_execz .LBB2_5396
; %bb.5391:                             ;   in Loop: Header=BB2_4766 Depth=2
	v_cmp_ne_u16_sdwa s[78:79], v13, s48 src0_sel:BYTE_0 src1_sel:DWORD
	v_bfrev_b32_e32 v2, 1
	s_and_saveexec_b64 s[76:77], s[78:79]
	s_cbranch_execz .LBB2_5395
; %bb.5392:                             ;   in Loop: Header=BB2_4766 Depth=2
	v_and_b32_e32 v6, 0x7f, v13
	v_cmp_ne_u32_e32 vcc, s39, v6
	v_mov_b32_e32 v2, 0x7f800001
	s_and_saveexec_b64 s[78:79], vcc
	s_cbranch_execz .LBB2_5394
; %bb.5393:                             ;   in Loop: Header=BB2_4766 Depth=2
	v_and_b32_e32 v2, 7, v13
	v_ffbh_u32_e32 v2, v2
	v_min_u32_e32 v2, 32, v2
	v_lshrrev_b32_e32 v7, 3, v6
	v_cmp_gt_u32_e32 vcc, 8, v6
	v_subrev_u32_e32 v6, 28, v2
	v_sub_u32_e32 v2, 29, v2
	v_cndmask_b32_e32 v6, 0, v6, vcc
	v_cndmask_b32_e32 v2, v7, v2, vcc
	v_lshlrev_b64 v[6:7], v6, v[32:33]
	v_lshlrev_b32_e32 v7, 24, v32
	v_lshlrev_b32_e32 v6, 20, v6
	v_and_b32_e32 v6, 0x700000, v6
	v_and_b32_e32 v7, 0x80000000, v7
	v_lshl_add_u32 v2, v2, 23, v59
	v_or3_b32 v2, v7, v2, v6
.LBB2_5394:                             ;   in Loop: Header=BB2_4766 Depth=2
	s_or_b64 exec, exec, s[78:79]
.LBB2_5395:                             ;   in Loop: Header=BB2_4766 Depth=2
	s_or_b64 exec, exec, s[76:77]
.LBB2_5396:                             ;   in Loop: Header=BB2_4766 Depth=2
	s_or_b64 exec, exec, s[20:21]
	v_mul_f32_e32 v2, v55, v2
	v_and_b32_e32 v6, 0x7f800000, v2
	v_mov_b32_e32 v7, v33
	v_cmp_ne_u64_e32 vcc, s[46:47], v[6:7]
                                        ; implicit-def: $vgpr22
	s_and_saveexec_b64 s[20:21], vcc
	s_xor_b64 s[76:77], exec, s[20:21]
	s_cbranch_execz .LBB2_5410
; %bb.5397:                             ;   in Loop: Header=BB2_4766 Depth=2
	v_and_b32_e32 v6, 0x7fffffff, v2
	v_mov_b32_e32 v7, v33
	v_cmp_gt_u64_e32 vcc, s[56:57], v[6:7]
	v_and_b32_sdwa v23, v2, s48 dst_sel:DWORD dst_unused:UNUSED_PAD src0_sel:BYTE_3 src1_sel:DWORD
                                        ; implicit-def: $vgpr22
	s_and_saveexec_b64 s[20:21], vcc
	s_xor_b64 s[78:79], exec, s[20:21]
	s_cbranch_execz .LBB2_5407
; %bb.5398:                             ;   in Loop: Header=BB2_4766 Depth=2
	v_mov_b32_e32 v22, 0
	v_cmp_ne_u32_e32 vcc, 0, v2
	s_and_saveexec_b64 s[88:89], vcc
	s_cbranch_execz .LBB2_5406
; %bb.5399:                             ;   in Loop: Header=BB2_4766 Depth=2
	v_and_b32_e32 v6, 0x7fffff, v2
	v_bfe_u32 v2, v2, 23, 8
	v_cmp_gt_u32_e64 s[20:21], s49, v2
	v_sub_u32_e32 v7, 0x79, v2
	v_cmp_eq_u32_e32 vcc, 0, v2
	v_cndmask_b32_e64 v7, 0, v7, s[20:21]
	v_or_b32_e32 v8, 0x800000, v6
	v_cndmask_b32_e32 v22, v7, v60, vcc
	v_cndmask_b32_e32 v6, v8, v6, vcc
	v_add_u32_e32 v8, 20, v22
	v_lshlrev_b64 v[8:9], v8, -1
	v_add_u32_e32 v10, 19, v22
	v_lshlrev_b64 v[10:11], v10, 1
	v_mov_b32_e32 v7, v33
	v_bfi_b32 v9, v9, 0, 0
	v_bfi_b32 v8, v8, 0, v6
	v_cmp_eq_u64_e64 s[20:21], v[8:9], v[10:11]
	v_lshrrev_b64 v[10:11], v22, v[6:7]
	v_mov_b32_e32 v40, v11
	v_mov_b32_e32 v39, v10
	s_and_saveexec_b64 s[90:91], s[20:21]
; %bb.5400:                             ;   in Loop: Header=BB2_4766 Depth=2
	v_bfe_u32 v6, v10, 20, 1
	v_add_co_u32_e64 v6, s[20:21], v10, v6
	v_add_co_u32_e64 v39, s[20:21], -1, v6
; %bb.5401:                             ;   in Loop: Header=BB2_4766 Depth=2
	s_or_b64 exec, exec, s[90:91]
	v_add_u32_e32 v2, 0xffffff81, v2
	v_cndmask_b32_e32 v2, v2, v61, vcc
	v_lshrrev_b32_e32 v6, 23, v10
	v_add3_u32 v7, v22, v2, v6
	v_add_u32_e32 v6, 6, v7
	v_and_b32_e32 v2, 0xfffff, v39
	v_add_u32_e32 v10, v2, v10
	v_mov_b32_e32 v11, v33
	v_cmp_ne_u32_e32 vcc, 0, v6
                                        ; implicit-def: $vgpr2
	s_and_saveexec_b64 s[20:21], vcc
	s_xor_b64 s[20:21], exec, s[20:21]
; %bb.5402:                             ;   in Loop: Header=BB2_4766 Depth=2
	v_cmp_lt_u64_e32 vcc, s[58:59], v[10:11]
	v_add_u32_e32 v2, 7, v7
	v_cndmask_b32_e32 v2, v6, v2, vcc
	v_cndmask_b32_e64 v6, 0, 1, vcc
	v_lshrrev_b64 v[10:11], v6, v[10:11]
; %bb.5403:                             ;   in Loop: Header=BB2_4766 Depth=2
	s_andn2_saveexec_b64 s[20:21], s[20:21]
; %bb.5404:                             ;   in Loop: Header=BB2_4766 Depth=2
	v_bfe_u32 v2, v10, 23, 1
; %bb.5405:                             ;   in Loop: Header=BB2_4766 Depth=2
	s_or_b64 exec, exec, s[20:21]
	v_lshrrev_b64 v[6:7], 20, v[10:11]
	v_cmp_gt_i32_e32 vcc, 16, v2
	v_cndmask_b32_e32 v7, 0, v7, vcc
	v_cndmask_b32_e32 v6, 7, v6, vcc
	v_cmp_eq_u32_e32 vcc, 0, v2
	v_min_i32_e32 v2, 15, v2
	v_cmp_eq_u64_e64 s[20:21], 0, v[6:7]
	v_lshlrev_b32_e32 v2, 3, v2
	v_and_b32_e32 v2, 0xf8, v2
	v_and_or_b32 v2, v6, 7, v2
	s_and_b64 s[20:21], vcc, s[20:21]
	v_cndmask_b32_e64 v2, v2, 0, s[20:21]
	v_or_b32_e32 v22, v2, v23
.LBB2_5406:                             ;   in Loop: Header=BB2_4766 Depth=2
	s_or_b64 exec, exec, s[88:89]
                                        ; implicit-def: $vgpr23
.LBB2_5407:                             ;   in Loop: Header=BB2_4766 Depth=2
	s_andn2_saveexec_b64 s[20:21], s[78:79]
; %bb.5408:                             ;   in Loop: Header=BB2_4766 Depth=2
	v_or_b32_e32 v22, 0x7e, v23
; %bb.5409:                             ;   in Loop: Header=BB2_4766 Depth=2
	s_or_b64 exec, exec, s[20:21]
                                        ; implicit-def: $vgpr2
.LBB2_5410:                             ;   in Loop: Header=BB2_4766 Depth=2
	s_andn2_saveexec_b64 s[20:21], s[76:77]
; %bb.5411:                             ;   in Loop: Header=BB2_4766 Depth=2
	v_or_b32_sdwa v22, v2, s39 dst_sel:DWORD dst_unused:UNUSED_PAD src0_sel:BYTE_3 src1_sel:DWORD
; %bb.5412:                             ;   in Loop: Header=BB2_4766 Depth=2
	s_or_b64 exec, exec, s[20:21]
	v_lshrrev_b16_e32 v10, 8, v32
	v_cmp_ne_u16_e32 vcc, 0, v10
	v_mov_b32_e32 v2, 0
	s_and_saveexec_b64 s[20:21], vcc
	s_cbranch_execz .LBB2_5418
; %bb.5413:                             ;   in Loop: Header=BB2_4766 Depth=2
	v_cmp_ne_u16_e32 vcc, s48, v10
	v_bfrev_b32_e32 v2, 1
	s_and_saveexec_b64 s[76:77], vcc
	s_cbranch_execz .LBB2_5417
; %bb.5414:                             ;   in Loop: Header=BB2_4766 Depth=2
	v_and_b32_e32 v6, 0x7f, v10
	v_cmp_ne_u32_e32 vcc, s39, v6
	v_mov_b32_e32 v2, 0x7f800001
	s_and_saveexec_b64 s[78:79], vcc
	s_cbranch_execz .LBB2_5416
; %bb.5415:                             ;   in Loop: Header=BB2_4766 Depth=2
	v_and_b32_e32 v2, 7, v10
	v_lshrrev_b32_e32 v8, 3, v6
	v_cmp_gt_u32_e32 vcc, 8, v6
	v_ffbh_u32_e32 v6, v2
	v_min_u32_e32 v9, 32, v6
	v_subrev_u32_e32 v6, 28, v9
	v_lshlrev_b64 v[6:7], v6, v[10:11]
	v_sub_u32_e32 v7, 29, v9
	v_and_b32_e32 v6, 7, v6
	v_cndmask_b32_e32 v7, v8, v7, vcc
	v_cndmask_b32_e32 v2, v2, v6, vcc
	v_lshlrev_b32_e32 v6, 16, v32
	v_lshlrev_b32_e32 v2, 20, v2
	v_and_b32_e32 v6, 0x80000000, v6
	v_lshl_add_u32 v7, v7, 23, v59
	v_or3_b32 v2, v6, v7, v2
.LBB2_5416:                             ;   in Loop: Header=BB2_4766 Depth=2
	s_or_b64 exec, exec, s[78:79]
.LBB2_5417:                             ;   in Loop: Header=BB2_4766 Depth=2
	s_or_b64 exec, exec, s[76:77]
.LBB2_5418:                             ;   in Loop: Header=BB2_4766 Depth=2
	s_or_b64 exec, exec, s[20:21]
	v_mul_f32_e32 v10, v55, v2
	v_and_b32_e32 v32, 0x7f800000, v10
	v_cmp_ne_u64_e32 vcc, s[46:47], v[32:33]
                                        ; implicit-def: $vgpr23
	s_and_saveexec_b64 s[20:21], vcc
	s_xor_b64 s[76:77], exec, s[20:21]
	s_cbranch_execz .LBB2_5432
; %bb.5419:                             ;   in Loop: Header=BB2_4766 Depth=2
	v_and_b32_e32 v32, 0x7fffffff, v10
	v_cmp_gt_u64_e32 vcc, s[56:57], v[32:33]
	v_and_b32_sdwa v2, v10, s48 dst_sel:DWORD dst_unused:UNUSED_PAD src0_sel:BYTE_3 src1_sel:DWORD
                                        ; implicit-def: $vgpr23
	s_and_saveexec_b64 s[20:21], vcc
	s_xor_b64 s[78:79], exec, s[20:21]
	s_cbranch_execz .LBB2_5429
; %bb.5420:                             ;   in Loop: Header=BB2_4766 Depth=2
	v_mov_b32_e32 v23, 0
	v_cmp_ne_u32_e32 vcc, 0, v10
	s_and_saveexec_b64 s[88:89], vcc
	s_cbranch_execz .LBB2_5428
; %bb.5421:                             ;   in Loop: Header=BB2_4766 Depth=2
	v_bfe_u32 v23, v10, 23, 8
	v_cmp_gt_u32_e64 s[20:21], s49, v23
	v_sub_u32_e32 v7, 0x79, v23
	v_and_b32_e32 v6, 0x7fffff, v10
	v_cmp_eq_u32_e32 vcc, 0, v23
	v_cndmask_b32_e64 v7, 0, v7, s[20:21]
	v_or_b32_e32 v8, 0x800000, v6
	v_cndmask_b32_e32 v45, v7, v60, vcc
	v_cndmask_b32_e32 v32, v8, v6, vcc
	v_add_u32_e32 v6, 20, v45
	v_lshlrev_b64 v[6:7], v6, -1
	v_add_u32_e32 v8, 19, v45
	v_lshlrev_b64 v[8:9], v8, 1
	v_lshrrev_b64 v[10:11], v45, v[32:33]
	v_bfi_b32 v7, v7, 0, 0
	v_bfi_b32 v6, v6, 0, v32
	v_cmp_eq_u64_e64 s[20:21], v[6:7], v[8:9]
	v_mov_b32_e32 v40, v11
	v_mov_b32_e32 v39, v10
	s_and_saveexec_b64 s[90:91], s[20:21]
; %bb.5422:                             ;   in Loop: Header=BB2_4766 Depth=2
	v_bfe_u32 v6, v10, 20, 1
	v_add_co_u32_e64 v6, s[20:21], v10, v6
	v_add_co_u32_e64 v39, s[20:21], -1, v6
; %bb.5423:                             ;   in Loop: Header=BB2_4766 Depth=2
	s_or_b64 exec, exec, s[90:91]
	v_add_u32_e32 v6, 0xffffff81, v23
	v_cndmask_b32_e32 v6, v6, v61, vcc
	v_lshrrev_b32_e32 v7, 23, v10
	v_add3_u32 v8, v45, v6, v7
	v_add_u32_e32 v7, 6, v8
	v_and_b32_e32 v6, 0xfffff, v39
	v_add_u32_e32 v32, v6, v10
	v_cmp_ne_u32_e32 vcc, 0, v7
                                        ; implicit-def: $vgpr10_vgpr11
                                        ; implicit-def: $vgpr6
	s_and_saveexec_b64 s[20:21], vcc
	s_xor_b64 s[20:21], exec, s[20:21]
; %bb.5424:                             ;   in Loop: Header=BB2_4766 Depth=2
	v_cmp_lt_u64_e32 vcc, s[58:59], v[32:33]
	v_add_u32_e32 v6, 7, v8
	v_cndmask_b32_e32 v6, v7, v6, vcc
	v_cndmask_b32_e64 v7, 0, 1, vcc
	v_lshrrev_b64 v[10:11], v7, v[32:33]
; %bb.5425:                             ;   in Loop: Header=BB2_4766 Depth=2
	s_andn2_saveexec_b64 s[20:21], s[20:21]
; %bb.5426:                             ;   in Loop: Header=BB2_4766 Depth=2
	v_mov_b32_e32 v10, v32
	v_bfe_u32 v6, v32, 23, 1
	v_mov_b32_e32 v11, v33
; %bb.5427:                             ;   in Loop: Header=BB2_4766 Depth=2
	s_or_b64 exec, exec, s[20:21]
	v_lshrrev_b64 v[7:8], 20, v[10:11]
	v_cmp_gt_i32_e32 vcc, 16, v6
	v_cndmask_b32_e32 v8, 0, v8, vcc
	v_cndmask_b32_e32 v7, 7, v7, vcc
	v_cmp_eq_u32_e32 vcc, 0, v6
	v_min_i32_e32 v6, 15, v6
	v_cmp_eq_u64_e64 s[20:21], 0, v[7:8]
	v_lshlrev_b32_e32 v6, 3, v6
	v_and_b32_e32 v6, 0xf8, v6
	v_and_or_b32 v6, v7, 7, v6
	s_and_b64 s[20:21], vcc, s[20:21]
	v_cndmask_b32_e64 v6, v6, 0, s[20:21]
	v_or_b32_e32 v23, v6, v2
.LBB2_5428:                             ;   in Loop: Header=BB2_4766 Depth=2
	s_or_b64 exec, exec, s[88:89]
                                        ; implicit-def: $vgpr2
.LBB2_5429:                             ;   in Loop: Header=BB2_4766 Depth=2
	s_andn2_saveexec_b64 s[20:21], s[78:79]
; %bb.5430:                             ;   in Loop: Header=BB2_4766 Depth=2
	v_or_b32_e32 v23, 0x7e, v2
; %bb.5431:                             ;   in Loop: Header=BB2_4766 Depth=2
	s_or_b64 exec, exec, s[20:21]
                                        ; implicit-def: $vgpr10
.LBB2_5432:                             ;   in Loop: Header=BB2_4766 Depth=2
	s_andn2_saveexec_b64 s[20:21], s[76:77]
; %bb.5433:                             ;   in Loop: Header=BB2_4766 Depth=2
	v_or_b32_sdwa v23, v10, s39 dst_sel:DWORD dst_unused:UNUSED_PAD src0_sel:BYTE_3 src1_sel:DWORD
; %bb.5434:                             ;   in Loop: Header=BB2_4766 Depth=2
	s_or_b64 exec, exec, s[20:21]
	v_lshrrev_b32_e32 v10, 16, v13
	v_cmp_ne_u16_sdwa s[76:77], v10, v33 src0_sel:BYTE_0 src1_sel:DWORD
	v_mov_b32_e32 v2, 0
	s_and_saveexec_b64 s[20:21], s[76:77]
	s_cbranch_execz .LBB2_5440
; %bb.5435:                             ;   in Loop: Header=BB2_4766 Depth=2
	v_cmp_ne_u16_sdwa s[78:79], v10, s48 src0_sel:BYTE_0 src1_sel:DWORD
	v_bfrev_b32_e32 v2, 1
	s_and_saveexec_b64 s[76:77], s[78:79]
	s_cbranch_execz .LBB2_5439
; %bb.5436:                             ;   in Loop: Header=BB2_4766 Depth=2
	v_bfe_u32 v6, v13, 16, 7
	v_cmp_ne_u32_e32 vcc, s39, v6
	v_mov_b32_e32 v2, 0x7f800001
	s_and_saveexec_b64 s[78:79], vcc
	s_cbranch_execz .LBB2_5438
; %bb.5437:                             ;   in Loop: Header=BB2_4766 Depth=2
	v_and_b32_e32 v2, 7, v10
	v_lshrrev_b32_e32 v8, 3, v6
	v_cmp_gt_u32_e32 vcc, 8, v6
	v_ffbh_u32_e32 v6, v2
	v_min_u32_e32 v9, 32, v6
	v_subrev_u32_e32 v6, 28, v9
	v_lshlrev_b64 v[6:7], v6, v[10:11]
	v_sub_u32_e32 v7, 29, v9
	v_and_b32_e32 v6, 7, v6
	v_cndmask_b32_e32 v7, v8, v7, vcc
	v_cndmask_b32_e32 v2, v2, v6, vcc
	v_lshlrev_b32_e32 v6, 24, v10
	v_lshlrev_b32_e32 v2, 20, v2
	v_and_b32_e32 v6, 0x80000000, v6
	v_lshl_add_u32 v7, v7, 23, v59
	v_or3_b32 v2, v6, v7, v2
.LBB2_5438:                             ;   in Loop: Header=BB2_4766 Depth=2
	s_or_b64 exec, exec, s[78:79]
.LBB2_5439:                             ;   in Loop: Header=BB2_4766 Depth=2
	s_or_b64 exec, exec, s[76:77]
.LBB2_5440:                             ;   in Loop: Header=BB2_4766 Depth=2
	s_or_b64 exec, exec, s[20:21]
	v_mul_f32_e32 v10, v55, v2
	v_and_b32_e32 v32, 0x7f800000, v10
	v_cmp_ne_u64_e32 vcc, s[46:47], v[32:33]
                                        ; implicit-def: $vgpr39
	s_and_saveexec_b64 s[20:21], vcc
	s_xor_b64 s[76:77], exec, s[20:21]
	s_cbranch_execz .LBB2_5454
; %bb.5441:                             ;   in Loop: Header=BB2_4766 Depth=2
	v_and_b32_e32 v32, 0x7fffffff, v10
	v_cmp_gt_u64_e32 vcc, s[56:57], v[32:33]
	v_and_b32_sdwa v2, v10, s48 dst_sel:DWORD dst_unused:UNUSED_PAD src0_sel:BYTE_3 src1_sel:DWORD
                                        ; implicit-def: $vgpr39
	s_and_saveexec_b64 s[20:21], vcc
	s_xor_b64 s[78:79], exec, s[20:21]
	s_cbranch_execz .LBB2_5451
; %bb.5442:                             ;   in Loop: Header=BB2_4766 Depth=2
	v_mov_b32_e32 v39, 0
	v_cmp_ne_u32_e32 vcc, 0, v10
	s_and_saveexec_b64 s[88:89], vcc
	s_cbranch_execz .LBB2_5450
; %bb.5443:                             ;   in Loop: Header=BB2_4766 Depth=2
	v_bfe_u32 v45, v10, 23, 8
	v_cmp_gt_u32_e64 s[20:21], s49, v45
	v_sub_u32_e32 v6, 0x79, v45
	v_and_b32_e32 v7, 0x7fffff, v10
	v_cmp_eq_u32_e32 vcc, 0, v45
	v_cndmask_b32_e64 v6, 0, v6, s[20:21]
	v_or_b32_e32 v8, 0x800000, v7
	v_cndmask_b32_e32 v6, v6, v60, vcc
	v_cndmask_b32_e32 v32, v8, v7, vcc
	v_add_u32_e32 v7, 20, v6
	v_lshlrev_b64 v[7:8], v7, -1
	v_add_u32_e32 v9, 19, v6
	v_lshlrev_b64 v[9:10], v9, 1
	v_bfi_b32 v8, v8, 0, 0
	v_bfi_b32 v7, v7, 0, v32
	v_cmp_eq_u64_e64 s[20:21], v[7:8], v[9:10]
	v_lshrrev_b64 v[10:11], v6, v[32:33]
	v_mov_b32_e32 v40, v11
	v_mov_b32_e32 v39, v10
	s_and_saveexec_b64 s[90:91], s[20:21]
; %bb.5444:                             ;   in Loop: Header=BB2_4766 Depth=2
	v_bfe_u32 v7, v10, 20, 1
	v_add_co_u32_e64 v7, s[20:21], v10, v7
	v_add_co_u32_e64 v39, s[20:21], -1, v7
; %bb.5445:                             ;   in Loop: Header=BB2_4766 Depth=2
	s_or_b64 exec, exec, s[90:91]
	v_add_u32_e32 v7, 0xffffff81, v45
	v_cndmask_b32_e32 v7, v7, v61, vcc
	v_lshrrev_b32_e32 v8, 23, v10
	v_add3_u32 v8, v6, v7, v8
	v_add_u32_e32 v7, 6, v8
	v_and_b32_e32 v6, 0xfffff, v39
	v_add_u32_e32 v32, v6, v10
	v_cmp_ne_u32_e32 vcc, 0, v7
                                        ; implicit-def: $vgpr10_vgpr11
                                        ; implicit-def: $vgpr6
	s_and_saveexec_b64 s[20:21], vcc
	s_xor_b64 s[20:21], exec, s[20:21]
; %bb.5446:                             ;   in Loop: Header=BB2_4766 Depth=2
	v_cmp_lt_u64_e32 vcc, s[58:59], v[32:33]
	v_add_u32_e32 v6, 7, v8
	v_cndmask_b32_e32 v6, v7, v6, vcc
	v_cndmask_b32_e64 v7, 0, 1, vcc
	v_lshrrev_b64 v[10:11], v7, v[32:33]
; %bb.5447:                             ;   in Loop: Header=BB2_4766 Depth=2
	s_andn2_saveexec_b64 s[20:21], s[20:21]
; %bb.5448:                             ;   in Loop: Header=BB2_4766 Depth=2
	v_mov_b32_e32 v10, v32
	v_bfe_u32 v6, v32, 23, 1
	v_mov_b32_e32 v11, v33
; %bb.5449:                             ;   in Loop: Header=BB2_4766 Depth=2
	s_or_b64 exec, exec, s[20:21]
	v_lshrrev_b64 v[7:8], 20, v[10:11]
	v_cmp_gt_i32_e32 vcc, 16, v6
	v_cndmask_b32_e32 v8, 0, v8, vcc
	v_cndmask_b32_e32 v7, 7, v7, vcc
	v_cmp_eq_u32_e32 vcc, 0, v6
	v_min_i32_e32 v6, 15, v6
	v_cmp_eq_u64_e64 s[20:21], 0, v[7:8]
	v_lshlrev_b32_e32 v6, 3, v6
	v_and_b32_e32 v6, 0xf8, v6
	v_and_or_b32 v6, v7, 7, v6
	s_and_b64 s[20:21], vcc, s[20:21]
	v_cndmask_b32_e64 v6, v6, 0, s[20:21]
	v_or_b32_e32 v39, v6, v2
.LBB2_5450:                             ;   in Loop: Header=BB2_4766 Depth=2
	s_or_b64 exec, exec, s[88:89]
                                        ; implicit-def: $vgpr2
.LBB2_5451:                             ;   in Loop: Header=BB2_4766 Depth=2
	s_andn2_saveexec_b64 s[20:21], s[78:79]
; %bb.5452:                             ;   in Loop: Header=BB2_4766 Depth=2
	v_or_b32_e32 v39, 0x7e, v2
; %bb.5453:                             ;   in Loop: Header=BB2_4766 Depth=2
	s_or_b64 exec, exec, s[20:21]
                                        ; implicit-def: $vgpr10
.LBB2_5454:                             ;   in Loop: Header=BB2_4766 Depth=2
	s_andn2_saveexec_b64 s[20:21], s[76:77]
; %bb.5455:                             ;   in Loop: Header=BB2_4766 Depth=2
	v_or_b32_sdwa v39, v10, s39 dst_sel:DWORD dst_unused:UNUSED_PAD src0_sel:BYTE_3 src1_sel:DWORD
; %bb.5456:                             ;   in Loop: Header=BB2_4766 Depth=2
	s_or_b64 exec, exec, s[20:21]
	v_cmp_lt_u64_e32 vcc, s[60:61], v[12:13]
	v_mov_b32_e32 v2, 0
	s_and_saveexec_b64 s[20:21], vcc
	s_cbranch_execz .LBB2_5462
; %bb.5457:                             ;   in Loop: Header=BB2_4766 Depth=2
	v_lshrrev_b32_e32 v10, 24, v13
	v_cmp_ne_u32_e32 vcc, s48, v10
	v_bfrev_b32_e32 v2, 1
	s_and_saveexec_b64 s[76:77], vcc
	s_cbranch_execz .LBB2_5461
; %bb.5458:                             ;   in Loop: Header=BB2_4766 Depth=2
	v_bfe_u32 v6, v13, 24, 7
	v_cmp_ne_u32_e32 vcc, s39, v6
	v_mov_b32_e32 v2, 0x7f800001
	s_and_saveexec_b64 s[78:79], vcc
	s_cbranch_execz .LBB2_5460
; %bb.5459:                             ;   in Loop: Header=BB2_4766 Depth=2
	v_and_b32_e32 v2, 7, v10
	v_lshrrev_b32_e32 v8, 3, v6
	v_cmp_gt_u32_e32 vcc, 8, v6
	v_ffbh_u32_e32 v6, v2
	v_min_u32_e32 v9, 32, v6
	v_subrev_u32_e32 v6, 28, v9
	v_lshlrev_b64 v[6:7], v6, v[10:11]
	v_sub_u32_e32 v7, 29, v9
	v_and_b32_e32 v6, 7, v6
	v_cndmask_b32_e32 v7, v8, v7, vcc
	v_cndmask_b32_e32 v2, v2, v6, vcc
	v_lshlrev_b32_e32 v6, 24, v10
	v_lshlrev_b32_e32 v2, 20, v2
	v_and_b32_e32 v6, 0x80000000, v6
	v_lshl_add_u32 v7, v7, 23, v59
	v_or3_b32 v2, v6, v7, v2
.LBB2_5460:                             ;   in Loop: Header=BB2_4766 Depth=2
	s_or_b64 exec, exec, s[78:79]
.LBB2_5461:                             ;   in Loop: Header=BB2_4766 Depth=2
	s_or_b64 exec, exec, s[76:77]
.LBB2_5462:                             ;   in Loop: Header=BB2_4766 Depth=2
	s_or_b64 exec, exec, s[20:21]
	v_mul_f32_e32 v11, v55, v2
	v_and_b32_e32 v32, 0x7f800000, v11
	v_cmp_ne_u64_e32 vcc, s[46:47], v[32:33]
                                        ; implicit-def: $vgpr10
	s_and_saveexec_b64 s[20:21], vcc
	s_xor_b64 s[76:77], exec, s[20:21]
	s_cbranch_execz .LBB2_5476
; %bb.5463:                             ;   in Loop: Header=BB2_4766 Depth=2
	v_and_b32_e32 v32, 0x7fffffff, v11
	v_cmp_gt_u64_e32 vcc, s[56:57], v[32:33]
	v_and_b32_sdwa v2, v11, s48 dst_sel:DWORD dst_unused:UNUSED_PAD src0_sel:BYTE_3 src1_sel:DWORD
                                        ; implicit-def: $vgpr10
	s_and_saveexec_b64 s[20:21], vcc
	s_xor_b64 s[78:79], exec, s[20:21]
	s_cbranch_execz .LBB2_5473
; %bb.5464:                             ;   in Loop: Header=BB2_4766 Depth=2
	v_mov_b32_e32 v10, 0
	v_cmp_ne_u32_e32 vcc, 0, v11
	s_and_saveexec_b64 s[88:89], vcc
	s_cbranch_execz .LBB2_5472
; %bb.5465:                             ;   in Loop: Header=BB2_4766 Depth=2
	v_bfe_u32 v13, v11, 23, 8
	v_cmp_gt_u32_e64 s[20:21], s49, v13
	v_sub_u32_e32 v6, 0x79, v13
	v_and_b32_e32 v7, 0x7fffff, v11
	v_cmp_eq_u32_e32 vcc, 0, v13
	v_cndmask_b32_e64 v6, 0, v6, s[20:21]
	v_or_b32_e32 v8, 0x800000, v7
	v_cndmask_b32_e32 v6, v6, v60, vcc
	v_cndmask_b32_e32 v32, v8, v7, vcc
	v_add_u32_e32 v7, 20, v6
	v_lshlrev_b64 v[7:8], v7, -1
	v_add_u32_e32 v9, 19, v6
	v_lshlrev_b64 v[9:10], v9, 1
	v_bfi_b32 v8, v8, 0, 0
	v_bfi_b32 v7, v7, 0, v32
	v_cmp_eq_u64_e64 s[20:21], v[7:8], v[9:10]
	v_lshrrev_b64 v[10:11], v6, v[32:33]
	v_mov_b32_e32 v12, v11
	v_mov_b32_e32 v11, v10
	s_and_saveexec_b64 s[90:91], s[20:21]
; %bb.5466:                             ;   in Loop: Header=BB2_4766 Depth=2
	v_bfe_u32 v7, v10, 20, 1
	v_add_co_u32_e64 v7, s[20:21], v10, v7
	v_add_co_u32_e64 v11, s[20:21], -1, v7
; %bb.5467:                             ;   in Loop: Header=BB2_4766 Depth=2
	s_or_b64 exec, exec, s[90:91]
	v_add_u32_e32 v7, 0xffffff81, v13
	v_cndmask_b32_e32 v7, v7, v61, vcc
	v_lshrrev_b32_e32 v8, 23, v10
	v_add3_u32 v8, v6, v7, v8
	v_add_u32_e32 v7, 6, v8
	v_and_b32_e32 v6, 0xfffff, v11
	v_add_u32_e32 v32, v6, v10
	v_cmp_ne_u32_e32 vcc, 0, v7
                                        ; implicit-def: $vgpr10_vgpr11
                                        ; implicit-def: $vgpr6
	s_and_saveexec_b64 s[20:21], vcc
	s_xor_b64 s[20:21], exec, s[20:21]
; %bb.5468:                             ;   in Loop: Header=BB2_4766 Depth=2
	v_cmp_lt_u64_e32 vcc, s[58:59], v[32:33]
	v_add_u32_e32 v6, 7, v8
	v_cndmask_b32_e32 v6, v7, v6, vcc
	v_cndmask_b32_e64 v7, 0, 1, vcc
	v_lshrrev_b64 v[10:11], v7, v[32:33]
; %bb.5469:                             ;   in Loop: Header=BB2_4766 Depth=2
	s_andn2_saveexec_b64 s[20:21], s[20:21]
; %bb.5470:                             ;   in Loop: Header=BB2_4766 Depth=2
	v_mov_b32_e32 v10, v32
	v_bfe_u32 v6, v32, 23, 1
	v_mov_b32_e32 v11, v33
; %bb.5471:                             ;   in Loop: Header=BB2_4766 Depth=2
	s_or_b64 exec, exec, s[20:21]
	v_lshrrev_b64 v[7:8], 20, v[10:11]
	v_cmp_gt_i32_e32 vcc, 16, v6
	v_cndmask_b32_e32 v8, 0, v8, vcc
	v_cndmask_b32_e32 v7, 7, v7, vcc
	v_cmp_eq_u32_e32 vcc, 0, v6
	v_min_i32_e32 v6, 15, v6
	v_cmp_eq_u64_e64 s[20:21], 0, v[7:8]
	v_lshlrev_b32_e32 v6, 3, v6
	v_and_b32_e32 v6, 0xf8, v6
	v_and_or_b32 v6, v7, 7, v6
	s_and_b64 s[20:21], vcc, s[20:21]
	v_cndmask_b32_e64 v6, v6, 0, s[20:21]
	v_or_b32_e32 v10, v6, v2
.LBB2_5472:                             ;   in Loop: Header=BB2_4766 Depth=2
	s_or_b64 exec, exec, s[88:89]
                                        ; implicit-def: $vgpr2
.LBB2_5473:                             ;   in Loop: Header=BB2_4766 Depth=2
	s_andn2_saveexec_b64 s[20:21], s[78:79]
; %bb.5474:                             ;   in Loop: Header=BB2_4766 Depth=2
	v_or_b32_e32 v10, 0x7e, v2
; %bb.5475:                             ;   in Loop: Header=BB2_4766 Depth=2
	s_or_b64 exec, exec, s[20:21]
                                        ; implicit-def: $vgpr11
.LBB2_5476:                             ;   in Loop: Header=BB2_4766 Depth=2
	s_andn2_saveexec_b64 s[20:21], s[76:77]
	s_cbranch_execz .LBB2_4765
; %bb.5477:                             ;   in Loop: Header=BB2_4766 Depth=2
	v_or_b32_sdwa v10, v11, s39 dst_sel:DWORD dst_unused:UNUSED_PAD src0_sel:BYTE_3 src1_sel:DWORD
	s_branch .LBB2_4765
.LBB2_5478:                             ;   in Loop: Header=BB2_4691 Depth=1
	s_or_b64 exec, exec, s[74:75]
.LBB2_5479:                             ;   in Loop: Header=BB2_4691 Depth=1
	s_or_b64 exec, exec, s[22:23]
	buffer_load_dword v0, off, s[0:3], s33 offset:148 ; 4-byte Folded Reload
	s_mov_b64 s[20:21], 0
	v_mov_b32_e32 v14, 0
                                        ; implicit-def: $vgpr1
	s_waitcnt vmcnt(0)
	v_and_b32_e32 v2, 0x3ffff800, v0
	v_cmp_ne_u32_e32 vcc, v0, v2
                                        ; implicit-def: $vgpr0
	s_and_saveexec_b64 s[74:75], vcc
	s_cbranch_execz .LBB2_5845
; %bb.5480:                             ;   in Loop: Header=BB2_4691 Depth=1
	buffer_load_dword v6, off, s[0:3], s33 offset:148 ; 4-byte Folded Reload
	buffer_load_dword v3, off, s[0:3], s33 offset:204 ; 4-byte Folded Reload
	v_lshlrev_b32_e32 v0, 6, v16
	s_waitcnt vmcnt(1)
	v_and_b32_e32 v1, 0x7ff, v6
	s_waitcnt vmcnt(0)
	v_sub_u32_e32 v0, v3, v0
	v_ashrrev_i32_e32 v3, 31, v0
	v_lshrrev_b32_e32 v3, 26, v3
	v_add_u32_e32 v3, v0, v3
	v_ashrrev_i32_e32 v5, 6, v3
	v_and_b32_e32 v3, 0xffffffc0, v3
	v_sub_u32_e32 v0, v0, v3
	v_lshlrev_b32_e32 v3, 4, v0
	v_lshl_add_u32 v4, v5, 10, v3
	v_sub_u32_e32 v14, v1, v4
	v_and_b32_e32 v1, 0x3ff, v6
	v_bfe_u32 v3, v6, 10, 1
	v_cmp_lt_u32_e64 s[20:21], 15, v1
	v_addc_co_u32_e64 v3, vcc, 0, v3, s[20:21]
	v_sub_u32_e32 v3, v3, v5
	v_cmp_lt_i32_e32 vcc, 15, v14
	s_and_saveexec_b64 s[76:77], vcc
	s_cbranch_execz .LBB2_5844
; %bb.5481:                             ;   in Loop: Header=BB2_4691 Depth=1
	s_trap 2
	ds_read_b64 v[5:6], v0
	v_add_u32_e32 v15, v4, v2
	v_ashrrev_i32_e32 v16, 31, v15
	s_waitcnt lgkmcnt(0)
	v_readfirstlane_b32 s22, v5
	s_and_b32 s23, s22, 7
	s_flbit_i32_b32 s23, s23
	s_min_u32 s23, s23, 32
	s_and_b32 s78, s22, 0x7f
	s_bfe_u32 s79, s22, 0x40003
	s_sub_i32 s88, s23, 28
	s_sub_i32 s23, 29, s23
	s_cmp_lt_u32 s78, 8
	s_cselect_b32 s88, s88, 0
	s_cselect_b32 s23, s23, s79
	v_lshlrev_b64 v[4:5], s88, v[5:6]
	s_lshl_b32 s79, s22, 24
	s_lshl_b32 s23, s23, 23
	s_and_b32 s79, s79, 0x80000000
	s_add_i32 s23, s23, 0x3c000000
	v_lshlrev_b32_e32 v2, 20, v4
	s_or_b32 s23, s79, s23
	v_and_b32_e32 v2, 0x700000, v2
	s_cmpk_lg_i32 s78, 0x7f
	v_or_b32_e32 v2, s23, v2
	s_cselect_b64 vcc, -1, 0
	v_mov_b32_e32 v4, 0x7f800001
	v_cndmask_b32_e32 v17, v4, v2, vcc
	s_mov_b64 s[78:79], 0
	s_and_b32 s30, s22, 0xff
	s_branch .LBB2_5483
.LBB2_5482:                             ;   in Loop: Header=BB2_5483 Depth=2
	s_or_b64 exec, exec, s[22:23]
	v_lshl_or_b32 v6, v35, 8, v34
	v_lshlrev_b32_e32 v7, 16, v26
	v_lshlrev_b32_e32 v8, 24, v27
	v_or3_b32 v7, v6, v7, v8
	v_lshl_or_b32 v6, v28, 8, v21
	v_lshlrev_b32_e32 v8, 16, v29
	v_lshlrev_b32_e32 v9, 24, v31
	v_or3_b32 v6, v6, v8, v9
	;; [unrolled: 4-line block ×3, first 2 shown]
	v_lshlrev_b32_e32 v2, 24, v2
	v_lshlrev_b32_e32 v4, 16, v53
	v_lshl_or_b32 v5, v23, 8, v22
	v_or3_b32 v9, v5, v4, v2
	buffer_load_dword v4, off, s[0:3], s33 offset:144 ; 4-byte Folded Reload
	buffer_load_dword v2, off, s[0:3], s33 offset:84 ; 4-byte Folded Reload
	v_add_co_u32_e32 v10, vcc, v51, v15
	v_addc_co_u32_e32 v11, vcc, v52, v16, vcc
	global_store_dwordx4 v[10:11], v[6:9], off glc slc
	s_waitcnt vmcnt(2)
	v_sub_u32_e32 v14, v14, v4
	v_cmp_gt_i32_e32 vcc, 16, v14
	s_or_b64 s[78:79], vcc, s[78:79]
	v_add_co_u32_e32 v15, vcc, v15, v4
	s_waitcnt vmcnt(1)
	v_sub_u32_e32 v3, v3, v2
	v_addc_co_u32_e32 v16, vcc, 0, v16, vcc
	s_andn2_b64 exec, exec, s[78:79]
	s_cbranch_execz .LBB2_5843
.LBB2_5483:                             ;   Parent Loop BB2_4691 Depth=1
                                        ; =>  This Inner Loop Header: Depth=2
	s_cmpk_lt_i32 s30, 0x80
	s_cbranch_scc1 .LBB2_5487
; %bb.5484:                             ;   in Loop: Header=BB2_5483 Depth=2
	s_and_b32 s22, 0xffff, s30
	s_cmpk_eq_i32 s22, 0x80
	s_mov_b64 s[22:23], -1
	s_cbranch_scc0 .LBB2_5486
; %bb.5485:                             ;   in Loop: Header=BB2_5483 Depth=2
	s_mov_b64 s[22:23], 0
.LBB2_5486:                             ;   in Loop: Header=BB2_5483 Depth=2
	s_brev_b32 s90, 1
	s_branch .LBB2_5489
.LBB2_5487:                             ;   in Loop: Header=BB2_5483 Depth=2
	s_mov_b64 s[22:23], 0
	s_brev_b32 s90, 1
	s_cbranch_execz .LBB2_5489
; %bb.5488:                             ;   in Loop: Header=BB2_5483 Depth=2
	s_and_b32 s22, 0xffff, s30
	s_cmp_lg_u32 s22, 0
	s_mov_b32 s90, 0
	s_cselect_b64 s[22:23], -1, 0
.LBB2_5489:                             ;   in Loop: Header=BB2_5483 Depth=2
	s_andn2_b64 vcc, exec, s[22:23]
	v_mov_b32_e32 v20, s90
	s_cbranch_vccnz .LBB2_5491
; %bb.5490:                             ;   in Loop: Header=BB2_5483 Depth=2
	v_mov_b32_e32 v20, v17
.LBB2_5491:                             ;   in Loop: Header=BB2_5483 Depth=2
	v_add_co_u32_e32 v4, vcc, v49, v15
	v_addc_co_u32_e32 v5, vcc, v50, v16, vcc
	global_load_dwordx4 v[10:13], v[4:5], off glc slc
	v_mov_b32_e32 v2, 0
	s_waitcnt vmcnt(0)
	v_cmp_ne_u16_sdwa s[88:89], v10, v33 src0_sel:BYTE_0 src1_sel:DWORD
	s_and_saveexec_b64 s[22:23], s[88:89]
	s_cbranch_execz .LBB2_5497
; %bb.5492:                             ;   in Loop: Header=BB2_5483 Depth=2
	v_cmp_ne_u16_sdwa s[90:91], v10, s48 src0_sel:BYTE_0 src1_sel:DWORD
	v_bfrev_b32_e32 v2, 1
	s_and_saveexec_b64 s[88:89], s[90:91]
	s_cbranch_execz .LBB2_5496
; %bb.5493:                             ;   in Loop: Header=BB2_5483 Depth=2
	v_and_b32_e32 v4, 0x7f, v10
	v_cmp_ne_u32_e32 vcc, s39, v4
	v_mov_b32_e32 v2, 0x7f800001
	s_and_saveexec_b64 s[90:91], vcc
	s_cbranch_execz .LBB2_5495
; %bb.5494:                             ;   in Loop: Header=BB2_5483 Depth=2
	v_and_b32_e32 v2, 7, v10
	v_ffbh_u32_e32 v2, v2
	v_min_u32_e32 v2, 32, v2
	v_lshrrev_b32_e32 v5, 3, v4
	v_cmp_gt_u32_e32 vcc, 8, v4
	v_subrev_u32_e32 v4, 28, v2
	v_sub_u32_e32 v2, 29, v2
	v_cndmask_b32_e32 v4, 0, v4, vcc
	v_cndmask_b32_e32 v2, v5, v2, vcc
	v_lshlrev_b64 v[4:5], v4, v[10:11]
	v_lshlrev_b32_e32 v5, 24, v10
	v_lshlrev_b32_e32 v4, 20, v4
	v_and_b32_e32 v4, 0x700000, v4
	v_and_b32_e32 v5, 0x80000000, v5
	v_lshl_add_u32 v2, v2, 23, v59
	v_or3_b32 v2, v5, v2, v4
.LBB2_5495:                             ;   in Loop: Header=BB2_5483 Depth=2
	s_or_b64 exec, exec, s[90:91]
.LBB2_5496:                             ;   in Loop: Header=BB2_5483 Depth=2
	s_or_b64 exec, exec, s[88:89]
.LBB2_5497:                             ;   in Loop: Header=BB2_5483 Depth=2
	s_or_b64 exec, exec, s[22:23]
	v_mul_f32_e32 v2, v20, v2
	v_and_b32_e32 v32, 0x7f800000, v2
	v_cmp_ne_u64_e32 vcc, s[46:47], v[32:33]
                                        ; implicit-def: $vgpr21
	s_and_saveexec_b64 s[22:23], vcc
	s_xor_b64 s[88:89], exec, s[22:23]
	s_cbranch_execz .LBB2_5511
; %bb.5498:                             ;   in Loop: Header=BB2_5483 Depth=2
	v_and_b32_e32 v32, 0x7fffffff, v2
	v_cmp_gt_u64_e32 vcc, s[56:57], v[32:33]
	v_and_b32_sdwa v4, v2, s48 dst_sel:DWORD dst_unused:UNUSED_PAD src0_sel:BYTE_3 src1_sel:DWORD
                                        ; implicit-def: $vgpr21
	s_and_saveexec_b64 s[22:23], vcc
	s_xor_b64 s[90:91], exec, s[22:23]
	s_cbranch_execz .LBB2_5508
; %bb.5499:                             ;   in Loop: Header=BB2_5483 Depth=2
	v_mov_b32_e32 v21, 0
	v_cmp_ne_u32_e32 vcc, 0, v2
	s_and_saveexec_b64 s[92:93], vcc
	s_cbranch_execz .LBB2_5507
; %bb.5500:                             ;   in Loop: Header=BB2_5483 Depth=2
	v_and_b32_e32 v6, 0x7fffff, v2
	v_bfe_u32 v2, v2, 23, 8
	v_cmp_gt_u32_e64 s[22:23], s49, v2
	v_sub_u32_e32 v5, 0x79, v2
	v_cmp_eq_u32_e32 vcc, 0, v2
	v_cndmask_b32_e64 v5, 0, v5, s[22:23]
	v_or_b32_e32 v7, 0x800000, v6
	v_cndmask_b32_e32 v5, v5, v60, vcc
	v_cndmask_b32_e32 v32, v7, v6, vcc
	v_add_u32_e32 v6, 20, v5
	v_lshlrev_b64 v[6:7], v6, -1
	v_add_u32_e32 v8, 19, v5
	v_lshlrev_b64 v[8:9], v8, 1
	v_lshrrev_b64 v[53:54], v5, v[32:33]
	v_bfi_b32 v7, v7, 0, 0
	v_bfi_b32 v6, v6, 0, v32
	v_cmp_eq_u64_e64 s[22:23], v[6:7], v[8:9]
	v_mov_b32_e32 v55, v54
	v_mov_b32_e32 v54, v53
	s_and_saveexec_b64 s[94:95], s[22:23]
; %bb.5501:                             ;   in Loop: Header=BB2_5483 Depth=2
	v_bfe_u32 v6, v53, 20, 1
	v_add_co_u32_e64 v6, s[22:23], v53, v6
	v_add_co_u32_e64 v54, s[22:23], -1, v6
; %bb.5502:                             ;   in Loop: Header=BB2_5483 Depth=2
	s_or_b64 exec, exec, s[94:95]
	v_add_u32_e32 v2, 0xffffff81, v2
	v_cndmask_b32_e32 v2, v2, v61, vcc
	v_lshrrev_b32_e32 v6, 23, v53
	v_add3_u32 v6, v5, v2, v6
	v_add_u32_e32 v5, 6, v6
	v_and_b32_e32 v2, 0xfffff, v54
	v_add_u32_e32 v32, v2, v53
	v_cmp_ne_u32_e32 vcc, 0, v5
                                        ; implicit-def: $vgpr53_vgpr54
                                        ; implicit-def: $vgpr2
	s_and_saveexec_b64 s[22:23], vcc
	s_xor_b64 s[22:23], exec, s[22:23]
; %bb.5503:                             ;   in Loop: Header=BB2_5483 Depth=2
	v_cmp_lt_u64_e32 vcc, s[58:59], v[32:33]
	v_add_u32_e32 v2, 7, v6
	v_cndmask_b32_e32 v2, v5, v2, vcc
	v_cndmask_b32_e64 v5, 0, 1, vcc
	v_lshrrev_b64 v[53:54], v5, v[32:33]
; %bb.5504:                             ;   in Loop: Header=BB2_5483 Depth=2
	s_andn2_saveexec_b64 s[22:23], s[22:23]
; %bb.5505:                             ;   in Loop: Header=BB2_5483 Depth=2
	v_mov_b32_e32 v54, v33
	v_bfe_u32 v2, v32, 23, 1
	v_mov_b32_e32 v53, v32
; %bb.5506:                             ;   in Loop: Header=BB2_5483 Depth=2
	s_or_b64 exec, exec, s[22:23]
	v_lshrrev_b64 v[5:6], 20, v[53:54]
	v_cmp_gt_i32_e32 vcc, 16, v2
	v_cndmask_b32_e32 v6, 0, v6, vcc
	v_cndmask_b32_e32 v5, 7, v5, vcc
	v_cmp_eq_u32_e32 vcc, 0, v2
	v_min_i32_e32 v2, 15, v2
	v_cmp_eq_u64_e64 s[22:23], 0, v[5:6]
	v_lshlrev_b32_e32 v2, 3, v2
	v_and_b32_e32 v2, 0xf8, v2
	v_and_or_b32 v2, v5, 7, v2
	s_and_b64 s[22:23], vcc, s[22:23]
	v_cndmask_b32_e64 v2, v2, 0, s[22:23]
	v_or_b32_e32 v21, v2, v4
.LBB2_5507:                             ;   in Loop: Header=BB2_5483 Depth=2
	s_or_b64 exec, exec, s[92:93]
                                        ; implicit-def: $vgpr4
.LBB2_5508:                             ;   in Loop: Header=BB2_5483 Depth=2
	s_andn2_saveexec_b64 s[22:23], s[90:91]
; %bb.5509:                             ;   in Loop: Header=BB2_5483 Depth=2
	v_or_b32_e32 v21, 0x7e, v4
; %bb.5510:                             ;   in Loop: Header=BB2_5483 Depth=2
	s_or_b64 exec, exec, s[22:23]
                                        ; implicit-def: $vgpr2
.LBB2_5511:                             ;   in Loop: Header=BB2_5483 Depth=2
	s_andn2_saveexec_b64 s[22:23], s[88:89]
; %bb.5512:                             ;   in Loop: Header=BB2_5483 Depth=2
	v_or_b32_sdwa v21, v2, s39 dst_sel:DWORD dst_unused:UNUSED_PAD src0_sel:BYTE_3 src1_sel:DWORD
; %bb.5513:                             ;   in Loop: Header=BB2_5483 Depth=2
	s_or_b64 exec, exec, s[22:23]
	v_lshrrev_b16_e32 v30, 8, v10
	v_cmp_ne_u16_e32 vcc, 0, v30
	v_mov_b32_e32 v2, 0
	s_and_saveexec_b64 s[22:23], vcc
	s_cbranch_execz .LBB2_5519
; %bb.5514:                             ;   in Loop: Header=BB2_5483 Depth=2
	v_cmp_ne_u16_e32 vcc, s48, v30
	v_bfrev_b32_e32 v2, 1
	s_and_saveexec_b64 s[88:89], vcc
	s_cbranch_execz .LBB2_5518
; %bb.5515:                             ;   in Loop: Header=BB2_5483 Depth=2
	v_and_b32_e32 v4, 0x7f, v30
	v_cmp_ne_u32_e32 vcc, s39, v4
	v_mov_b32_e32 v2, 0x7f800001
	s_and_saveexec_b64 s[90:91], vcc
	s_cbranch_execz .LBB2_5517
; %bb.5516:                             ;   in Loop: Header=BB2_5483 Depth=2
	v_and_b32_e32 v2, 7, v30
	v_lshrrev_b32_e32 v6, 3, v4
	v_cmp_gt_u32_e32 vcc, 8, v4
	v_ffbh_u32_e32 v4, v2
	v_min_u32_e32 v7, 32, v4
	v_subrev_u32_e32 v4, 28, v7
	v_lshlrev_b64 v[4:5], v4, v[30:31]
	v_sub_u32_e32 v5, 29, v7
	v_and_b32_e32 v4, 7, v4
	v_cndmask_b32_e32 v5, v6, v5, vcc
	v_cndmask_b32_e32 v2, v2, v4, vcc
	v_lshlrev_b32_e32 v4, 16, v10
	v_lshlrev_b32_e32 v2, 20, v2
	v_and_b32_e32 v4, 0x80000000, v4
	v_lshl_add_u32 v5, v5, 23, v59
	v_or3_b32 v2, v4, v5, v2
.LBB2_5517:                             ;   in Loop: Header=BB2_5483 Depth=2
	s_or_b64 exec, exec, s[90:91]
.LBB2_5518:                             ;   in Loop: Header=BB2_5483 Depth=2
	s_or_b64 exec, exec, s[88:89]
.LBB2_5519:                             ;   in Loop: Header=BB2_5483 Depth=2
	s_or_b64 exec, exec, s[22:23]
	v_mul_f32_e32 v2, v20, v2
	v_and_b32_e32 v32, 0x7f800000, v2
	v_cmp_ne_u64_e32 vcc, s[46:47], v[32:33]
                                        ; implicit-def: $vgpr28
	s_and_saveexec_b64 s[22:23], vcc
	s_xor_b64 s[88:89], exec, s[22:23]
	s_cbranch_execz .LBB2_5533
; %bb.5520:                             ;   in Loop: Header=BB2_5483 Depth=2
	v_and_b32_e32 v32, 0x7fffffff, v2
	v_cmp_gt_u64_e32 vcc, s[56:57], v[32:33]
	v_and_b32_sdwa v4, v2, s48 dst_sel:DWORD dst_unused:UNUSED_PAD src0_sel:BYTE_3 src1_sel:DWORD
                                        ; implicit-def: $vgpr28
	s_and_saveexec_b64 s[22:23], vcc
	s_xor_b64 s[90:91], exec, s[22:23]
	s_cbranch_execz .LBB2_5530
; %bb.5521:                             ;   in Loop: Header=BB2_5483 Depth=2
	v_mov_b32_e32 v28, 0
	v_cmp_ne_u32_e32 vcc, 0, v2
	s_and_saveexec_b64 s[92:93], vcc
	s_cbranch_execz .LBB2_5529
; %bb.5522:                             ;   in Loop: Header=BB2_5483 Depth=2
	v_and_b32_e32 v6, 0x7fffff, v2
	v_bfe_u32 v2, v2, 23, 8
	v_cmp_gt_u32_e64 s[22:23], s49, v2
	v_sub_u32_e32 v5, 0x79, v2
	v_cmp_eq_u32_e32 vcc, 0, v2
	v_cndmask_b32_e64 v5, 0, v5, s[22:23]
	v_or_b32_e32 v7, 0x800000, v6
	v_cndmask_b32_e32 v5, v5, v60, vcc
	v_cndmask_b32_e32 v32, v7, v6, vcc
	v_add_u32_e32 v6, 20, v5
	v_lshlrev_b64 v[6:7], v6, -1
	v_add_u32_e32 v8, 19, v5
	v_lshlrev_b64 v[8:9], v8, 1
	v_lshrrev_b64 v[53:54], v5, v[32:33]
	v_bfi_b32 v7, v7, 0, 0
	v_bfi_b32 v6, v6, 0, v32
	v_cmp_eq_u64_e64 s[22:23], v[6:7], v[8:9]
	v_mov_b32_e32 v55, v54
	v_mov_b32_e32 v54, v53
	s_and_saveexec_b64 s[94:95], s[22:23]
; %bb.5523:                             ;   in Loop: Header=BB2_5483 Depth=2
	v_bfe_u32 v6, v53, 20, 1
	v_add_co_u32_e64 v6, s[22:23], v53, v6
	v_add_co_u32_e64 v54, s[22:23], -1, v6
; %bb.5524:                             ;   in Loop: Header=BB2_5483 Depth=2
	s_or_b64 exec, exec, s[94:95]
	v_add_u32_e32 v2, 0xffffff81, v2
	v_cndmask_b32_e32 v2, v2, v61, vcc
	v_lshrrev_b32_e32 v6, 23, v53
	v_add3_u32 v6, v5, v2, v6
	v_add_u32_e32 v5, 6, v6
	v_and_b32_e32 v2, 0xfffff, v54
	v_add_u32_e32 v32, v2, v53
	v_cmp_ne_u32_e32 vcc, 0, v5
                                        ; implicit-def: $vgpr53_vgpr54
                                        ; implicit-def: $vgpr2
	s_and_saveexec_b64 s[22:23], vcc
	s_xor_b64 s[22:23], exec, s[22:23]
; %bb.5525:                             ;   in Loop: Header=BB2_5483 Depth=2
	v_cmp_lt_u64_e32 vcc, s[58:59], v[32:33]
	v_add_u32_e32 v2, 7, v6
	v_cndmask_b32_e32 v2, v5, v2, vcc
	v_cndmask_b32_e64 v5, 0, 1, vcc
	v_lshrrev_b64 v[53:54], v5, v[32:33]
; %bb.5526:                             ;   in Loop: Header=BB2_5483 Depth=2
	s_andn2_saveexec_b64 s[22:23], s[22:23]
; %bb.5527:                             ;   in Loop: Header=BB2_5483 Depth=2
	v_mov_b32_e32 v54, v33
	v_bfe_u32 v2, v32, 23, 1
	v_mov_b32_e32 v53, v32
; %bb.5528:                             ;   in Loop: Header=BB2_5483 Depth=2
	s_or_b64 exec, exec, s[22:23]
	v_lshrrev_b64 v[5:6], 20, v[53:54]
	v_cmp_gt_i32_e32 vcc, 16, v2
	v_cndmask_b32_e32 v6, 0, v6, vcc
	v_cndmask_b32_e32 v5, 7, v5, vcc
	v_cmp_eq_u32_e32 vcc, 0, v2
	v_min_i32_e32 v2, 15, v2
	v_cmp_eq_u64_e64 s[22:23], 0, v[5:6]
	v_lshlrev_b32_e32 v2, 3, v2
	v_and_b32_e32 v2, 0xf8, v2
	v_and_or_b32 v2, v5, 7, v2
	s_and_b64 s[22:23], vcc, s[22:23]
	v_cndmask_b32_e64 v2, v2, 0, s[22:23]
	v_or_b32_e32 v28, v2, v4
.LBB2_5529:                             ;   in Loop: Header=BB2_5483 Depth=2
	s_or_b64 exec, exec, s[92:93]
                                        ; implicit-def: $vgpr4
.LBB2_5530:                             ;   in Loop: Header=BB2_5483 Depth=2
	s_andn2_saveexec_b64 s[22:23], s[90:91]
; %bb.5531:                             ;   in Loop: Header=BB2_5483 Depth=2
	v_or_b32_e32 v28, 0x7e, v4
; %bb.5532:                             ;   in Loop: Header=BB2_5483 Depth=2
	s_or_b64 exec, exec, s[22:23]
                                        ; implicit-def: $vgpr2
.LBB2_5533:                             ;   in Loop: Header=BB2_5483 Depth=2
	s_andn2_saveexec_b64 s[22:23], s[88:89]
; %bb.5534:                             ;   in Loop: Header=BB2_5483 Depth=2
	v_or_b32_sdwa v28, v2, s39 dst_sel:DWORD dst_unused:UNUSED_PAD src0_sel:BYTE_3 src1_sel:DWORD
; %bb.5535:                             ;   in Loop: Header=BB2_5483 Depth=2
	s_or_b64 exec, exec, s[22:23]
	v_lshrrev_b32_e32 v30, 16, v10
	v_cmp_ne_u16_sdwa s[88:89], v30, v33 src0_sel:BYTE_0 src1_sel:DWORD
	v_mov_b32_e32 v2, 0
	s_and_saveexec_b64 s[22:23], s[88:89]
	s_cbranch_execz .LBB2_5541
; %bb.5536:                             ;   in Loop: Header=BB2_5483 Depth=2
	v_cmp_ne_u16_sdwa s[90:91], v30, s48 src0_sel:BYTE_0 src1_sel:DWORD
	v_bfrev_b32_e32 v2, 1
	s_and_saveexec_b64 s[88:89], s[90:91]
	s_cbranch_execz .LBB2_5540
; %bb.5537:                             ;   in Loop: Header=BB2_5483 Depth=2
	v_bfe_u32 v4, v10, 16, 7
	v_cmp_ne_u32_e32 vcc, s39, v4
	v_mov_b32_e32 v2, 0x7f800001
	s_and_saveexec_b64 s[90:91], vcc
	s_cbranch_execz .LBB2_5539
; %bb.5538:                             ;   in Loop: Header=BB2_5483 Depth=2
	v_and_b32_e32 v2, 7, v30
	v_lshrrev_b32_e32 v6, 3, v4
	v_cmp_gt_u32_e32 vcc, 8, v4
	v_ffbh_u32_e32 v4, v2
	v_min_u32_e32 v7, 32, v4
	v_subrev_u32_e32 v4, 28, v7
	v_lshlrev_b64 v[4:5], v4, v[30:31]
	v_sub_u32_e32 v5, 29, v7
	v_and_b32_e32 v4, 7, v4
	v_cndmask_b32_e32 v5, v6, v5, vcc
	v_cndmask_b32_e32 v2, v2, v4, vcc
	v_lshlrev_b32_e32 v4, 24, v30
	v_lshlrev_b32_e32 v2, 20, v2
	v_and_b32_e32 v4, 0x80000000, v4
	v_lshl_add_u32 v5, v5, 23, v59
	v_or3_b32 v2, v4, v5, v2
.LBB2_5539:                             ;   in Loop: Header=BB2_5483 Depth=2
	s_or_b64 exec, exec, s[90:91]
.LBB2_5540:                             ;   in Loop: Header=BB2_5483 Depth=2
	s_or_b64 exec, exec, s[88:89]
.LBB2_5541:                             ;   in Loop: Header=BB2_5483 Depth=2
	s_or_b64 exec, exec, s[22:23]
	v_mul_f32_e32 v2, v20, v2
	v_and_b32_e32 v32, 0x7f800000, v2
	v_cmp_ne_u64_e32 vcc, s[46:47], v[32:33]
                                        ; implicit-def: $vgpr29
	s_and_saveexec_b64 s[22:23], vcc
	s_xor_b64 s[88:89], exec, s[22:23]
	s_cbranch_execz .LBB2_5555
; %bb.5542:                             ;   in Loop: Header=BB2_5483 Depth=2
	v_and_b32_e32 v32, 0x7fffffff, v2
	v_cmp_gt_u64_e32 vcc, s[56:57], v[32:33]
	v_and_b32_sdwa v4, v2, s48 dst_sel:DWORD dst_unused:UNUSED_PAD src0_sel:BYTE_3 src1_sel:DWORD
                                        ; implicit-def: $vgpr29
	s_and_saveexec_b64 s[22:23], vcc
	s_xor_b64 s[90:91], exec, s[22:23]
	s_cbranch_execz .LBB2_5552
; %bb.5543:                             ;   in Loop: Header=BB2_5483 Depth=2
	v_mov_b32_e32 v29, 0
	v_cmp_ne_u32_e32 vcc, 0, v2
	s_and_saveexec_b64 s[92:93], vcc
	s_cbranch_execz .LBB2_5551
; %bb.5544:                             ;   in Loop: Header=BB2_5483 Depth=2
	v_and_b32_e32 v6, 0x7fffff, v2
	v_bfe_u32 v2, v2, 23, 8
	v_cmp_gt_u32_e64 s[22:23], s49, v2
	v_sub_u32_e32 v5, 0x79, v2
	v_cmp_eq_u32_e32 vcc, 0, v2
	v_cndmask_b32_e64 v5, 0, v5, s[22:23]
	v_or_b32_e32 v7, 0x800000, v6
	v_cndmask_b32_e32 v5, v5, v60, vcc
	v_cndmask_b32_e32 v32, v7, v6, vcc
	v_add_u32_e32 v6, 20, v5
	v_lshlrev_b64 v[6:7], v6, -1
	v_add_u32_e32 v8, 19, v5
	v_lshlrev_b64 v[8:9], v8, 1
	v_lshrrev_b64 v[53:54], v5, v[32:33]
	v_bfi_b32 v7, v7, 0, 0
	v_bfi_b32 v6, v6, 0, v32
	v_cmp_eq_u64_e64 s[22:23], v[6:7], v[8:9]
	v_mov_b32_e32 v55, v54
	v_mov_b32_e32 v54, v53
	s_and_saveexec_b64 s[94:95], s[22:23]
; %bb.5545:                             ;   in Loop: Header=BB2_5483 Depth=2
	v_bfe_u32 v6, v53, 20, 1
	v_add_co_u32_e64 v6, s[22:23], v53, v6
	v_add_co_u32_e64 v54, s[22:23], -1, v6
; %bb.5546:                             ;   in Loop: Header=BB2_5483 Depth=2
	s_or_b64 exec, exec, s[94:95]
	v_add_u32_e32 v2, 0xffffff81, v2
	v_cndmask_b32_e32 v2, v2, v61, vcc
	v_lshrrev_b32_e32 v6, 23, v53
	v_add3_u32 v6, v5, v2, v6
	v_add_u32_e32 v5, 6, v6
	v_and_b32_e32 v2, 0xfffff, v54
	v_add_u32_e32 v32, v2, v53
	v_cmp_ne_u32_e32 vcc, 0, v5
                                        ; implicit-def: $vgpr53_vgpr54
                                        ; implicit-def: $vgpr2
	s_and_saveexec_b64 s[22:23], vcc
	s_xor_b64 s[22:23], exec, s[22:23]
; %bb.5547:                             ;   in Loop: Header=BB2_5483 Depth=2
	v_cmp_lt_u64_e32 vcc, s[58:59], v[32:33]
	v_add_u32_e32 v2, 7, v6
	v_cndmask_b32_e32 v2, v5, v2, vcc
	v_cndmask_b32_e64 v5, 0, 1, vcc
	v_lshrrev_b64 v[53:54], v5, v[32:33]
; %bb.5548:                             ;   in Loop: Header=BB2_5483 Depth=2
	s_andn2_saveexec_b64 s[22:23], s[22:23]
; %bb.5549:                             ;   in Loop: Header=BB2_5483 Depth=2
	v_mov_b32_e32 v54, v33
	v_bfe_u32 v2, v32, 23, 1
	v_mov_b32_e32 v53, v32
; %bb.5550:                             ;   in Loop: Header=BB2_5483 Depth=2
	s_or_b64 exec, exec, s[22:23]
	v_lshrrev_b64 v[5:6], 20, v[53:54]
	v_cmp_gt_i32_e32 vcc, 16, v2
	v_cndmask_b32_e32 v6, 0, v6, vcc
	v_cndmask_b32_e32 v5, 7, v5, vcc
	v_cmp_eq_u32_e32 vcc, 0, v2
	v_min_i32_e32 v2, 15, v2
	v_cmp_eq_u64_e64 s[22:23], 0, v[5:6]
	v_lshlrev_b32_e32 v2, 3, v2
	v_and_b32_e32 v2, 0xf8, v2
	v_and_or_b32 v2, v5, 7, v2
	s_and_b64 s[22:23], vcc, s[22:23]
	v_cndmask_b32_e64 v2, v2, 0, s[22:23]
	v_or_b32_e32 v29, v2, v4
.LBB2_5551:                             ;   in Loop: Header=BB2_5483 Depth=2
	s_or_b64 exec, exec, s[92:93]
                                        ; implicit-def: $vgpr4
.LBB2_5552:                             ;   in Loop: Header=BB2_5483 Depth=2
	s_andn2_saveexec_b64 s[22:23], s[90:91]
; %bb.5553:                             ;   in Loop: Header=BB2_5483 Depth=2
	v_or_b32_e32 v29, 0x7e, v4
; %bb.5554:                             ;   in Loop: Header=BB2_5483 Depth=2
	s_or_b64 exec, exec, s[22:23]
                                        ; implicit-def: $vgpr2
.LBB2_5555:                             ;   in Loop: Header=BB2_5483 Depth=2
	s_andn2_saveexec_b64 s[22:23], s[88:89]
; %bb.5556:                             ;   in Loop: Header=BB2_5483 Depth=2
	v_or_b32_sdwa v29, v2, s39 dst_sel:DWORD dst_unused:UNUSED_PAD src0_sel:BYTE_3 src1_sel:DWORD
; %bb.5557:                             ;   in Loop: Header=BB2_5483 Depth=2
	s_or_b64 exec, exec, s[22:23]
	v_cmp_lt_u32_e32 vcc, s61, v10
	v_mov_b32_e32 v2, 0
	s_and_saveexec_b64 s[22:23], vcc
	s_cbranch_execz .LBB2_5563
; %bb.5558:                             ;   in Loop: Header=BB2_5483 Depth=2
	v_lshrrev_b32_e32 v30, 24, v10
	v_cmp_ne_u32_e32 vcc, s48, v30
	v_bfrev_b32_e32 v2, 1
	s_and_saveexec_b64 s[88:89], vcc
	s_cbranch_execz .LBB2_5562
; %bb.5559:                             ;   in Loop: Header=BB2_5483 Depth=2
	v_bfe_u32 v4, v10, 24, 7
	v_cmp_ne_u32_e32 vcc, s39, v4
	v_mov_b32_e32 v2, 0x7f800001
	s_and_saveexec_b64 s[90:91], vcc
	s_cbranch_execz .LBB2_5561
; %bb.5560:                             ;   in Loop: Header=BB2_5483 Depth=2
	v_and_b32_e32 v2, 7, v30
	v_lshrrev_b32_e32 v6, 3, v4
	v_cmp_gt_u32_e32 vcc, 8, v4
	v_ffbh_u32_e32 v4, v2
	v_min_u32_e32 v7, 32, v4
	v_subrev_u32_e32 v4, 28, v7
	v_lshlrev_b64 v[4:5], v4, v[30:31]
	v_sub_u32_e32 v5, 29, v7
	v_and_b32_e32 v4, 7, v4
	v_cndmask_b32_e32 v5, v6, v5, vcc
	v_cndmask_b32_e32 v2, v2, v4, vcc
	v_lshlrev_b32_e32 v4, 24, v30
	v_lshlrev_b32_e32 v2, 20, v2
	v_and_b32_e32 v4, 0x80000000, v4
	v_lshl_add_u32 v5, v5, 23, v59
	v_or3_b32 v2, v4, v5, v2
.LBB2_5561:                             ;   in Loop: Header=BB2_5483 Depth=2
	s_or_b64 exec, exec, s[90:91]
.LBB2_5562:                             ;   in Loop: Header=BB2_5483 Depth=2
	s_or_b64 exec, exec, s[88:89]
.LBB2_5563:                             ;   in Loop: Header=BB2_5483 Depth=2
	s_or_b64 exec, exec, s[22:23]
	v_mul_f32_e32 v2, v20, v2
	v_and_b32_e32 v32, 0x7f800000, v2
	v_cmp_ne_u64_e32 vcc, s[46:47], v[32:33]
                                        ; implicit-def: $vgpr31
	s_and_saveexec_b64 s[22:23], vcc
	s_xor_b64 s[88:89], exec, s[22:23]
	s_cbranch_execz .LBB2_5577
; %bb.5564:                             ;   in Loop: Header=BB2_5483 Depth=2
	v_and_b32_e32 v32, 0x7fffffff, v2
	v_cmp_gt_u64_e32 vcc, s[56:57], v[32:33]
	v_and_b32_sdwa v4, v2, s48 dst_sel:DWORD dst_unused:UNUSED_PAD src0_sel:BYTE_3 src1_sel:DWORD
                                        ; implicit-def: $vgpr31
	s_and_saveexec_b64 s[22:23], vcc
	s_xor_b64 s[90:91], exec, s[22:23]
	s_cbranch_execz .LBB2_5574
; %bb.5565:                             ;   in Loop: Header=BB2_5483 Depth=2
	v_mov_b32_e32 v31, 0
	v_cmp_ne_u32_e32 vcc, 0, v2
	s_and_saveexec_b64 s[92:93], vcc
	s_cbranch_execz .LBB2_5573
; %bb.5566:                             ;   in Loop: Header=BB2_5483 Depth=2
	v_and_b32_e32 v6, 0x7fffff, v2
	v_bfe_u32 v2, v2, 23, 8
	v_cmp_gt_u32_e64 s[22:23], s49, v2
	v_sub_u32_e32 v5, 0x79, v2
	v_cmp_eq_u32_e32 vcc, 0, v2
	v_cndmask_b32_e64 v5, 0, v5, s[22:23]
	v_or_b32_e32 v7, 0x800000, v6
	v_cndmask_b32_e32 v5, v5, v60, vcc
	v_cndmask_b32_e32 v32, v7, v6, vcc
	v_add_u32_e32 v6, 20, v5
	v_lshlrev_b64 v[6:7], v6, -1
	v_add_u32_e32 v8, 19, v5
	v_lshlrev_b64 v[8:9], v8, 1
	v_lshrrev_b64 v[53:54], v5, v[32:33]
	v_bfi_b32 v7, v7, 0, 0
	v_bfi_b32 v6, v6, 0, v32
	v_cmp_eq_u64_e64 s[22:23], v[6:7], v[8:9]
	v_mov_b32_e32 v55, v54
	v_mov_b32_e32 v54, v53
	s_and_saveexec_b64 s[94:95], s[22:23]
; %bb.5567:                             ;   in Loop: Header=BB2_5483 Depth=2
	v_bfe_u32 v6, v53, 20, 1
	v_add_co_u32_e64 v6, s[22:23], v53, v6
	v_add_co_u32_e64 v54, s[22:23], -1, v6
; %bb.5568:                             ;   in Loop: Header=BB2_5483 Depth=2
	s_or_b64 exec, exec, s[94:95]
	v_add_u32_e32 v2, 0xffffff81, v2
	v_cndmask_b32_e32 v2, v2, v61, vcc
	v_lshrrev_b32_e32 v6, 23, v53
	v_add3_u32 v6, v5, v2, v6
	v_add_u32_e32 v5, 6, v6
	v_and_b32_e32 v2, 0xfffff, v54
	v_add_u32_e32 v32, v2, v53
	v_cmp_ne_u32_e32 vcc, 0, v5
                                        ; implicit-def: $vgpr53_vgpr54
                                        ; implicit-def: $vgpr2
	s_and_saveexec_b64 s[22:23], vcc
	s_xor_b64 s[22:23], exec, s[22:23]
; %bb.5569:                             ;   in Loop: Header=BB2_5483 Depth=2
	v_cmp_lt_u64_e32 vcc, s[58:59], v[32:33]
	v_add_u32_e32 v2, 7, v6
	v_cndmask_b32_e32 v2, v5, v2, vcc
	v_cndmask_b32_e64 v5, 0, 1, vcc
	v_lshrrev_b64 v[53:54], v5, v[32:33]
; %bb.5570:                             ;   in Loop: Header=BB2_5483 Depth=2
	s_andn2_saveexec_b64 s[22:23], s[22:23]
; %bb.5571:                             ;   in Loop: Header=BB2_5483 Depth=2
	v_mov_b32_e32 v54, v33
	v_bfe_u32 v2, v32, 23, 1
	v_mov_b32_e32 v53, v32
; %bb.5572:                             ;   in Loop: Header=BB2_5483 Depth=2
	s_or_b64 exec, exec, s[22:23]
	v_lshrrev_b64 v[5:6], 20, v[53:54]
	v_cmp_gt_i32_e32 vcc, 16, v2
	v_cndmask_b32_e32 v6, 0, v6, vcc
	v_cndmask_b32_e32 v5, 7, v5, vcc
	v_cmp_eq_u32_e32 vcc, 0, v2
	v_min_i32_e32 v2, 15, v2
	v_cmp_eq_u64_e64 s[22:23], 0, v[5:6]
	v_lshlrev_b32_e32 v2, 3, v2
	v_and_b32_e32 v2, 0xf8, v2
	v_and_or_b32 v2, v5, 7, v2
	s_and_b64 s[22:23], vcc, s[22:23]
	v_cndmask_b32_e64 v2, v2, 0, s[22:23]
	v_or_b32_e32 v31, v2, v4
.LBB2_5573:                             ;   in Loop: Header=BB2_5483 Depth=2
	s_or_b64 exec, exec, s[92:93]
                                        ; implicit-def: $vgpr4
.LBB2_5574:                             ;   in Loop: Header=BB2_5483 Depth=2
	s_andn2_saveexec_b64 s[22:23], s[90:91]
; %bb.5575:                             ;   in Loop: Header=BB2_5483 Depth=2
	v_or_b32_e32 v31, 0x7e, v4
; %bb.5576:                             ;   in Loop: Header=BB2_5483 Depth=2
	s_or_b64 exec, exec, s[22:23]
                                        ; implicit-def: $vgpr2
.LBB2_5577:                             ;   in Loop: Header=BB2_5483 Depth=2
	s_andn2_saveexec_b64 s[22:23], s[88:89]
; %bb.5578:                             ;   in Loop: Header=BB2_5483 Depth=2
	v_or_b32_sdwa v31, v2, s39 dst_sel:DWORD dst_unused:UNUSED_PAD src0_sel:BYTE_3 src1_sel:DWORD
; %bb.5579:                             ;   in Loop: Header=BB2_5483 Depth=2
	s_or_b64 exec, exec, s[22:23]
	v_mov_b32_e32 v32, v11
	v_cmp_ne_u16_sdwa s[88:89], v11, v33 src0_sel:BYTE_0 src1_sel:DWORD
	v_mov_b32_e32 v2, 0
	s_and_saveexec_b64 s[22:23], s[88:89]
	s_cbranch_execz .LBB2_5585
; %bb.5580:                             ;   in Loop: Header=BB2_5483 Depth=2
	v_cmp_ne_u16_sdwa s[90:91], v11, s48 src0_sel:BYTE_0 src1_sel:DWORD
	v_bfrev_b32_e32 v2, 1
	s_and_saveexec_b64 s[88:89], s[90:91]
	s_cbranch_execz .LBB2_5584
; %bb.5581:                             ;   in Loop: Header=BB2_5483 Depth=2
	v_and_b32_e32 v4, 0x7f, v11
	v_cmp_ne_u32_e32 vcc, s39, v4
	v_mov_b32_e32 v2, 0x7f800001
	s_and_saveexec_b64 s[90:91], vcc
	s_cbranch_execz .LBB2_5583
; %bb.5582:                             ;   in Loop: Header=BB2_5483 Depth=2
	v_and_b32_e32 v2, 7, v11
	v_ffbh_u32_e32 v2, v2
	v_min_u32_e32 v2, 32, v2
	v_lshrrev_b32_e32 v5, 3, v4
	v_cmp_gt_u32_e32 vcc, 8, v4
	v_subrev_u32_e32 v4, 28, v2
	v_sub_u32_e32 v2, 29, v2
	v_cndmask_b32_e32 v4, 0, v4, vcc
	v_cndmask_b32_e32 v2, v5, v2, vcc
	v_lshlrev_b64 v[4:5], v4, v[32:33]
	v_lshlrev_b32_e32 v5, 24, v32
	v_lshlrev_b32_e32 v4, 20, v4
	v_and_b32_e32 v4, 0x700000, v4
	v_and_b32_e32 v5, 0x80000000, v5
	v_lshl_add_u32 v2, v2, 23, v59
	v_or3_b32 v2, v5, v2, v4
.LBB2_5583:                             ;   in Loop: Header=BB2_5483 Depth=2
	s_or_b64 exec, exec, s[90:91]
.LBB2_5584:                             ;   in Loop: Header=BB2_5483 Depth=2
	s_or_b64 exec, exec, s[88:89]
.LBB2_5585:                             ;   in Loop: Header=BB2_5483 Depth=2
	s_or_b64 exec, exec, s[22:23]
	v_mul_f32_e32 v2, v20, v2
	v_and_b32_e32 v4, 0x7f800000, v2
	v_mov_b32_e32 v5, v33
	v_cmp_ne_u64_e32 vcc, s[46:47], v[4:5]
                                        ; implicit-def: $vgpr34
	s_and_saveexec_b64 s[22:23], vcc
	s_xor_b64 s[88:89], exec, s[22:23]
	s_cbranch_execz .LBB2_5599
; %bb.5586:                             ;   in Loop: Header=BB2_5483 Depth=2
	v_and_b32_e32 v4, 0x7fffffff, v2
	v_mov_b32_e32 v5, v33
	v_cmp_gt_u64_e32 vcc, s[56:57], v[4:5]
	v_and_b32_sdwa v4, v2, s48 dst_sel:DWORD dst_unused:UNUSED_PAD src0_sel:BYTE_3 src1_sel:DWORD
                                        ; implicit-def: $vgpr34
	s_and_saveexec_b64 s[22:23], vcc
	s_xor_b64 s[90:91], exec, s[22:23]
	s_cbranch_execz .LBB2_5596
; %bb.5587:                             ;   in Loop: Header=BB2_5483 Depth=2
	v_mov_b32_e32 v34, 0
	v_cmp_ne_u32_e32 vcc, 0, v2
	s_and_saveexec_b64 s[92:93], vcc
	s_cbranch_execz .LBB2_5595
; %bb.5588:                             ;   in Loop: Header=BB2_5483 Depth=2
	v_and_b32_e32 v6, 0x7fffff, v2
	v_bfe_u32 v2, v2, 23, 8
	v_cmp_gt_u32_e64 s[22:23], s49, v2
	v_sub_u32_e32 v5, 0x79, v2
	v_cmp_eq_u32_e32 vcc, 0, v2
	v_cndmask_b32_e64 v5, 0, v5, s[22:23]
	v_cndmask_b32_e32 v5, v5, v60, vcc
	v_or_b32_e32 v7, 0x800000, v6
	v_add_u32_e32 v8, 20, v5
	v_cndmask_b32_e32 v6, v7, v6, vcc
	v_mov_b32_e32 v7, v33
	v_lshlrev_b64 v[8:9], v8, -1
	v_add_u32_e32 v22, 19, v5
	v_lshlrev_b64 v[22:23], v22, 1
	v_lshrrev_b64 v[53:54], v5, v[6:7]
	v_bfi_b32 v9, v9, 0, 0
	v_bfi_b32 v8, v8, 0, v6
	v_cmp_eq_u64_e64 s[22:23], v[8:9], v[22:23]
	v_mov_b32_e32 v55, v54
	v_mov_b32_e32 v54, v53
	s_and_saveexec_b64 s[94:95], s[22:23]
; %bb.5589:                             ;   in Loop: Header=BB2_5483 Depth=2
	v_bfe_u32 v6, v53, 20, 1
	v_add_co_u32_e64 v6, s[22:23], v53, v6
	v_add_co_u32_e64 v54, s[22:23], -1, v6
; %bb.5590:                             ;   in Loop: Header=BB2_5483 Depth=2
	s_or_b64 exec, exec, s[94:95]
	v_add_u32_e32 v2, 0xffffff81, v2
	v_cndmask_b32_e32 v2, v2, v61, vcc
	v_lshrrev_b32_e32 v6, 23, v53
	v_add3_u32 v6, v5, v2, v6
	v_add_u32_e32 v5, 6, v6
	v_and_b32_e32 v2, 0xfffff, v54
	v_add_u32_e32 v53, v2, v53
	v_mov_b32_e32 v54, v33
	v_cmp_ne_u32_e32 vcc, 0, v5
                                        ; implicit-def: $vgpr2
	s_and_saveexec_b64 s[22:23], vcc
	s_xor_b64 s[22:23], exec, s[22:23]
; %bb.5591:                             ;   in Loop: Header=BB2_5483 Depth=2
	v_cmp_lt_u64_e32 vcc, s[58:59], v[53:54]
	v_add_u32_e32 v2, 7, v6
	v_cndmask_b32_e32 v2, v5, v2, vcc
	v_cndmask_b32_e64 v5, 0, 1, vcc
	v_lshrrev_b64 v[53:54], v5, v[53:54]
; %bb.5592:                             ;   in Loop: Header=BB2_5483 Depth=2
	s_andn2_saveexec_b64 s[22:23], s[22:23]
; %bb.5593:                             ;   in Loop: Header=BB2_5483 Depth=2
	v_bfe_u32 v2, v53, 23, 1
; %bb.5594:                             ;   in Loop: Header=BB2_5483 Depth=2
	s_or_b64 exec, exec, s[22:23]
	v_lshrrev_b64 v[5:6], 20, v[53:54]
	v_cmp_gt_i32_e32 vcc, 16, v2
	v_cndmask_b32_e32 v6, 0, v6, vcc
	v_cndmask_b32_e32 v5, 7, v5, vcc
	v_cmp_eq_u32_e32 vcc, 0, v2
	v_min_i32_e32 v2, 15, v2
	v_cmp_eq_u64_e64 s[22:23], 0, v[5:6]
	v_lshlrev_b32_e32 v2, 3, v2
	v_and_b32_e32 v2, 0xf8, v2
	v_and_or_b32 v2, v5, 7, v2
	s_and_b64 s[22:23], vcc, s[22:23]
	v_cndmask_b32_e64 v2, v2, 0, s[22:23]
	v_or_b32_e32 v34, v2, v4
.LBB2_5595:                             ;   in Loop: Header=BB2_5483 Depth=2
	s_or_b64 exec, exec, s[92:93]
                                        ; implicit-def: $vgpr4
.LBB2_5596:                             ;   in Loop: Header=BB2_5483 Depth=2
	s_andn2_saveexec_b64 s[22:23], s[90:91]
; %bb.5597:                             ;   in Loop: Header=BB2_5483 Depth=2
	v_or_b32_e32 v34, 0x7e, v4
; %bb.5598:                             ;   in Loop: Header=BB2_5483 Depth=2
	s_or_b64 exec, exec, s[22:23]
                                        ; implicit-def: $vgpr2
.LBB2_5599:                             ;   in Loop: Header=BB2_5483 Depth=2
	s_andn2_saveexec_b64 s[22:23], s[88:89]
; %bb.5600:                             ;   in Loop: Header=BB2_5483 Depth=2
	v_or_b32_sdwa v34, v2, s39 dst_sel:DWORD dst_unused:UNUSED_PAD src0_sel:BYTE_3 src1_sel:DWORD
; %bb.5601:                             ;   in Loop: Header=BB2_5483 Depth=2
	s_or_b64 exec, exec, s[22:23]
	v_lshrrev_b16_e32 v30, 8, v32
	v_cmp_ne_u16_e32 vcc, 0, v30
	v_mov_b32_e32 v2, 0
	s_and_saveexec_b64 s[22:23], vcc
	s_cbranch_execz .LBB2_5607
; %bb.5602:                             ;   in Loop: Header=BB2_5483 Depth=2
	v_cmp_ne_u16_e32 vcc, s48, v30
	v_bfrev_b32_e32 v2, 1
	s_and_saveexec_b64 s[88:89], vcc
	s_cbranch_execz .LBB2_5606
; %bb.5603:                             ;   in Loop: Header=BB2_5483 Depth=2
	v_and_b32_e32 v4, 0x7f, v30
	v_cmp_ne_u32_e32 vcc, s39, v4
	v_mov_b32_e32 v2, 0x7f800001
	s_and_saveexec_b64 s[90:91], vcc
	s_cbranch_execz .LBB2_5605
; %bb.5604:                             ;   in Loop: Header=BB2_5483 Depth=2
	v_and_b32_e32 v2, 7, v30
	v_lshrrev_b32_e32 v6, 3, v4
	v_cmp_gt_u32_e32 vcc, 8, v4
	v_ffbh_u32_e32 v4, v2
	v_min_u32_e32 v7, 32, v4
	v_subrev_u32_e32 v4, 28, v7
	v_lshlrev_b64 v[4:5], v4, v[30:31]
	v_sub_u32_e32 v5, 29, v7
	v_and_b32_e32 v4, 7, v4
	v_cndmask_b32_e32 v5, v6, v5, vcc
	v_cndmask_b32_e32 v2, v2, v4, vcc
	v_lshlrev_b32_e32 v4, 16, v32
	v_lshlrev_b32_e32 v2, 20, v2
	v_and_b32_e32 v4, 0x80000000, v4
	v_lshl_add_u32 v5, v5, 23, v59
	v_or3_b32 v2, v4, v5, v2
.LBB2_5605:                             ;   in Loop: Header=BB2_5483 Depth=2
	s_or_b64 exec, exec, s[90:91]
.LBB2_5606:                             ;   in Loop: Header=BB2_5483 Depth=2
	s_or_b64 exec, exec, s[88:89]
.LBB2_5607:                             ;   in Loop: Header=BB2_5483 Depth=2
	s_or_b64 exec, exec, s[22:23]
	v_mul_f32_e32 v2, v20, v2
	v_and_b32_e32 v32, 0x7f800000, v2
	v_cmp_ne_u64_e32 vcc, s[46:47], v[32:33]
                                        ; implicit-def: $vgpr35
	s_and_saveexec_b64 s[22:23], vcc
	s_xor_b64 s[88:89], exec, s[22:23]
	s_cbranch_execz .LBB2_5621
; %bb.5608:                             ;   in Loop: Header=BB2_5483 Depth=2
	v_and_b32_e32 v32, 0x7fffffff, v2
	v_cmp_gt_u64_e32 vcc, s[56:57], v[32:33]
	v_and_b32_sdwa v4, v2, s48 dst_sel:DWORD dst_unused:UNUSED_PAD src0_sel:BYTE_3 src1_sel:DWORD
                                        ; implicit-def: $vgpr35
	s_and_saveexec_b64 s[22:23], vcc
	s_xor_b64 s[90:91], exec, s[22:23]
	s_cbranch_execz .LBB2_5618
; %bb.5609:                             ;   in Loop: Header=BB2_5483 Depth=2
	v_mov_b32_e32 v35, 0
	v_cmp_ne_u32_e32 vcc, 0, v2
	s_and_saveexec_b64 s[92:93], vcc
	s_cbranch_execz .LBB2_5617
; %bb.5610:                             ;   in Loop: Header=BB2_5483 Depth=2
	v_and_b32_e32 v6, 0x7fffff, v2
	v_bfe_u32 v2, v2, 23, 8
	v_cmp_gt_u32_e64 s[22:23], s49, v2
	v_sub_u32_e32 v5, 0x79, v2
	v_cmp_eq_u32_e32 vcc, 0, v2
	v_cndmask_b32_e64 v5, 0, v5, s[22:23]
	v_or_b32_e32 v7, 0x800000, v6
	v_cndmask_b32_e32 v5, v5, v60, vcc
	v_cndmask_b32_e32 v32, v7, v6, vcc
	v_add_u32_e32 v6, 20, v5
	v_lshlrev_b64 v[6:7], v6, -1
	v_add_u32_e32 v8, 19, v5
	v_lshlrev_b64 v[8:9], v8, 1
	v_lshrrev_b64 v[53:54], v5, v[32:33]
	v_bfi_b32 v7, v7, 0, 0
	v_bfi_b32 v6, v6, 0, v32
	v_cmp_eq_u64_e64 s[22:23], v[6:7], v[8:9]
	v_mov_b32_e32 v55, v54
	v_mov_b32_e32 v54, v53
	s_and_saveexec_b64 s[94:95], s[22:23]
; %bb.5611:                             ;   in Loop: Header=BB2_5483 Depth=2
	v_bfe_u32 v6, v53, 20, 1
	v_add_co_u32_e64 v6, s[22:23], v53, v6
	v_add_co_u32_e64 v54, s[22:23], -1, v6
; %bb.5612:                             ;   in Loop: Header=BB2_5483 Depth=2
	s_or_b64 exec, exec, s[94:95]
	v_add_u32_e32 v2, 0xffffff81, v2
	v_cndmask_b32_e32 v2, v2, v61, vcc
	v_lshrrev_b32_e32 v6, 23, v53
	v_add3_u32 v6, v5, v2, v6
	v_add_u32_e32 v5, 6, v6
	v_and_b32_e32 v2, 0xfffff, v54
	v_add_u32_e32 v32, v2, v53
	v_cmp_ne_u32_e32 vcc, 0, v5
                                        ; implicit-def: $vgpr53_vgpr54
                                        ; implicit-def: $vgpr2
	s_and_saveexec_b64 s[22:23], vcc
	s_xor_b64 s[22:23], exec, s[22:23]
; %bb.5613:                             ;   in Loop: Header=BB2_5483 Depth=2
	v_cmp_lt_u64_e32 vcc, s[58:59], v[32:33]
	v_add_u32_e32 v2, 7, v6
	v_cndmask_b32_e32 v2, v5, v2, vcc
	v_cndmask_b32_e64 v5, 0, 1, vcc
	v_lshrrev_b64 v[53:54], v5, v[32:33]
; %bb.5614:                             ;   in Loop: Header=BB2_5483 Depth=2
	s_andn2_saveexec_b64 s[22:23], s[22:23]
; %bb.5615:                             ;   in Loop: Header=BB2_5483 Depth=2
	v_mov_b32_e32 v54, v33
	v_bfe_u32 v2, v32, 23, 1
	v_mov_b32_e32 v53, v32
; %bb.5616:                             ;   in Loop: Header=BB2_5483 Depth=2
	s_or_b64 exec, exec, s[22:23]
	v_lshrrev_b64 v[5:6], 20, v[53:54]
	v_cmp_gt_i32_e32 vcc, 16, v2
	v_cndmask_b32_e32 v6, 0, v6, vcc
	v_cndmask_b32_e32 v5, 7, v5, vcc
	v_cmp_eq_u32_e32 vcc, 0, v2
	v_min_i32_e32 v2, 15, v2
	v_cmp_eq_u64_e64 s[22:23], 0, v[5:6]
	v_lshlrev_b32_e32 v2, 3, v2
	v_and_b32_e32 v2, 0xf8, v2
	v_and_or_b32 v2, v5, 7, v2
	s_and_b64 s[22:23], vcc, s[22:23]
	v_cndmask_b32_e64 v2, v2, 0, s[22:23]
	v_or_b32_e32 v35, v2, v4
.LBB2_5617:                             ;   in Loop: Header=BB2_5483 Depth=2
	s_or_b64 exec, exec, s[92:93]
                                        ; implicit-def: $vgpr4
.LBB2_5618:                             ;   in Loop: Header=BB2_5483 Depth=2
	s_andn2_saveexec_b64 s[22:23], s[90:91]
; %bb.5619:                             ;   in Loop: Header=BB2_5483 Depth=2
	v_or_b32_e32 v35, 0x7e, v4
; %bb.5620:                             ;   in Loop: Header=BB2_5483 Depth=2
	s_or_b64 exec, exec, s[22:23]
                                        ; implicit-def: $vgpr2
.LBB2_5621:                             ;   in Loop: Header=BB2_5483 Depth=2
	s_andn2_saveexec_b64 s[22:23], s[88:89]
; %bb.5622:                             ;   in Loop: Header=BB2_5483 Depth=2
	v_or_b32_sdwa v35, v2, s39 dst_sel:DWORD dst_unused:UNUSED_PAD src0_sel:BYTE_3 src1_sel:DWORD
; %bb.5623:                             ;   in Loop: Header=BB2_5483 Depth=2
	s_or_b64 exec, exec, s[22:23]
	v_lshrrev_b32_e32 v30, 16, v11
	v_cmp_ne_u16_sdwa s[88:89], v30, v33 src0_sel:BYTE_0 src1_sel:DWORD
	v_mov_b32_e32 v2, 0
	s_and_saveexec_b64 s[22:23], s[88:89]
	s_cbranch_execz .LBB2_5629
; %bb.5624:                             ;   in Loop: Header=BB2_5483 Depth=2
	v_cmp_ne_u16_sdwa s[90:91], v30, s48 src0_sel:BYTE_0 src1_sel:DWORD
	v_bfrev_b32_e32 v2, 1
	s_and_saveexec_b64 s[88:89], s[90:91]
	s_cbranch_execz .LBB2_5628
; %bb.5625:                             ;   in Loop: Header=BB2_5483 Depth=2
	v_bfe_u32 v4, v11, 16, 7
	v_cmp_ne_u32_e32 vcc, s39, v4
	v_mov_b32_e32 v2, 0x7f800001
	s_and_saveexec_b64 s[90:91], vcc
	s_cbranch_execz .LBB2_5627
; %bb.5626:                             ;   in Loop: Header=BB2_5483 Depth=2
	v_and_b32_e32 v2, 7, v30
	v_lshrrev_b32_e32 v6, 3, v4
	v_cmp_gt_u32_e32 vcc, 8, v4
	v_ffbh_u32_e32 v4, v2
	v_min_u32_e32 v7, 32, v4
	v_subrev_u32_e32 v4, 28, v7
	v_lshlrev_b64 v[4:5], v4, v[30:31]
	v_sub_u32_e32 v5, 29, v7
	v_and_b32_e32 v4, 7, v4
	v_cndmask_b32_e32 v5, v6, v5, vcc
	v_cndmask_b32_e32 v2, v2, v4, vcc
	v_lshlrev_b32_e32 v4, 24, v30
	v_lshlrev_b32_e32 v2, 20, v2
	v_and_b32_e32 v4, 0x80000000, v4
	v_lshl_add_u32 v5, v5, 23, v59
	v_or3_b32 v2, v4, v5, v2
.LBB2_5627:                             ;   in Loop: Header=BB2_5483 Depth=2
	s_or_b64 exec, exec, s[90:91]
.LBB2_5628:                             ;   in Loop: Header=BB2_5483 Depth=2
	s_or_b64 exec, exec, s[88:89]
.LBB2_5629:                             ;   in Loop: Header=BB2_5483 Depth=2
	s_or_b64 exec, exec, s[22:23]
	v_mul_f32_e32 v2, v20, v2
	v_and_b32_e32 v32, 0x7f800000, v2
	v_cmp_ne_u64_e32 vcc, s[46:47], v[32:33]
                                        ; implicit-def: $vgpr26
	s_and_saveexec_b64 s[22:23], vcc
	s_xor_b64 s[88:89], exec, s[22:23]
	s_cbranch_execz .LBB2_5643
; %bb.5630:                             ;   in Loop: Header=BB2_5483 Depth=2
	v_and_b32_e32 v32, 0x7fffffff, v2
	v_cmp_gt_u64_e32 vcc, s[56:57], v[32:33]
	v_and_b32_sdwa v4, v2, s48 dst_sel:DWORD dst_unused:UNUSED_PAD src0_sel:BYTE_3 src1_sel:DWORD
                                        ; implicit-def: $vgpr26
	s_and_saveexec_b64 s[22:23], vcc
	s_xor_b64 s[90:91], exec, s[22:23]
	s_cbranch_execz .LBB2_5640
; %bb.5631:                             ;   in Loop: Header=BB2_5483 Depth=2
	v_mov_b32_e32 v26, 0
	v_cmp_ne_u32_e32 vcc, 0, v2
	s_and_saveexec_b64 s[92:93], vcc
	s_cbranch_execz .LBB2_5639
; %bb.5632:                             ;   in Loop: Header=BB2_5483 Depth=2
	v_and_b32_e32 v6, 0x7fffff, v2
	v_bfe_u32 v2, v2, 23, 8
	v_cmp_gt_u32_e64 s[22:23], s49, v2
	v_sub_u32_e32 v5, 0x79, v2
	v_cmp_eq_u32_e32 vcc, 0, v2
	v_cndmask_b32_e64 v5, 0, v5, s[22:23]
	v_or_b32_e32 v7, 0x800000, v6
	v_cndmask_b32_e32 v5, v5, v60, vcc
	v_cndmask_b32_e32 v32, v7, v6, vcc
	v_add_u32_e32 v6, 20, v5
	v_lshlrev_b64 v[6:7], v6, -1
	v_add_u32_e32 v8, 19, v5
	v_lshlrev_b64 v[8:9], v8, 1
	v_lshrrev_b64 v[53:54], v5, v[32:33]
	v_bfi_b32 v7, v7, 0, 0
	v_bfi_b32 v6, v6, 0, v32
	v_cmp_eq_u64_e64 s[22:23], v[6:7], v[8:9]
	v_mov_b32_e32 v55, v54
	v_mov_b32_e32 v54, v53
	s_and_saveexec_b64 s[94:95], s[22:23]
; %bb.5633:                             ;   in Loop: Header=BB2_5483 Depth=2
	v_bfe_u32 v6, v53, 20, 1
	v_add_co_u32_e64 v6, s[22:23], v53, v6
	v_add_co_u32_e64 v54, s[22:23], -1, v6
; %bb.5634:                             ;   in Loop: Header=BB2_5483 Depth=2
	s_or_b64 exec, exec, s[94:95]
	v_add_u32_e32 v2, 0xffffff81, v2
	v_cndmask_b32_e32 v2, v2, v61, vcc
	v_lshrrev_b32_e32 v6, 23, v53
	v_add3_u32 v6, v5, v2, v6
	v_add_u32_e32 v5, 6, v6
	v_and_b32_e32 v2, 0xfffff, v54
	v_add_u32_e32 v32, v2, v53
	v_cmp_ne_u32_e32 vcc, 0, v5
                                        ; implicit-def: $vgpr53_vgpr54
                                        ; implicit-def: $vgpr2
	s_and_saveexec_b64 s[22:23], vcc
	s_xor_b64 s[22:23], exec, s[22:23]
; %bb.5635:                             ;   in Loop: Header=BB2_5483 Depth=2
	v_cmp_lt_u64_e32 vcc, s[58:59], v[32:33]
	v_add_u32_e32 v2, 7, v6
	v_cndmask_b32_e32 v2, v5, v2, vcc
	v_cndmask_b32_e64 v5, 0, 1, vcc
	v_lshrrev_b64 v[53:54], v5, v[32:33]
; %bb.5636:                             ;   in Loop: Header=BB2_5483 Depth=2
	s_andn2_saveexec_b64 s[22:23], s[22:23]
; %bb.5637:                             ;   in Loop: Header=BB2_5483 Depth=2
	v_mov_b32_e32 v54, v33
	v_bfe_u32 v2, v32, 23, 1
	v_mov_b32_e32 v53, v32
; %bb.5638:                             ;   in Loop: Header=BB2_5483 Depth=2
	s_or_b64 exec, exec, s[22:23]
	v_lshrrev_b64 v[5:6], 20, v[53:54]
	v_cmp_gt_i32_e32 vcc, 16, v2
	v_cndmask_b32_e32 v6, 0, v6, vcc
	v_cndmask_b32_e32 v5, 7, v5, vcc
	v_cmp_eq_u32_e32 vcc, 0, v2
	v_min_i32_e32 v2, 15, v2
	v_cmp_eq_u64_e64 s[22:23], 0, v[5:6]
	v_lshlrev_b32_e32 v2, 3, v2
	v_and_b32_e32 v2, 0xf8, v2
	v_and_or_b32 v2, v5, 7, v2
	s_and_b64 s[22:23], vcc, s[22:23]
	v_cndmask_b32_e64 v2, v2, 0, s[22:23]
	v_or_b32_e32 v26, v2, v4
.LBB2_5639:                             ;   in Loop: Header=BB2_5483 Depth=2
	s_or_b64 exec, exec, s[92:93]
                                        ; implicit-def: $vgpr4
.LBB2_5640:                             ;   in Loop: Header=BB2_5483 Depth=2
	s_andn2_saveexec_b64 s[22:23], s[90:91]
; %bb.5641:                             ;   in Loop: Header=BB2_5483 Depth=2
	v_or_b32_e32 v26, 0x7e, v4
; %bb.5642:                             ;   in Loop: Header=BB2_5483 Depth=2
	s_or_b64 exec, exec, s[22:23]
                                        ; implicit-def: $vgpr2
.LBB2_5643:                             ;   in Loop: Header=BB2_5483 Depth=2
	s_andn2_saveexec_b64 s[22:23], s[88:89]
; %bb.5644:                             ;   in Loop: Header=BB2_5483 Depth=2
	v_or_b32_sdwa v26, v2, s39 dst_sel:DWORD dst_unused:UNUSED_PAD src0_sel:BYTE_3 src1_sel:DWORD
; %bb.5645:                             ;   in Loop: Header=BB2_5483 Depth=2
	s_or_b64 exec, exec, s[22:23]
	v_cmp_lt_u64_e32 vcc, s[60:61], v[10:11]
	v_mov_b32_e32 v2, 0
	s_and_saveexec_b64 s[22:23], vcc
	s_cbranch_execz .LBB2_5651
; %bb.5646:                             ;   in Loop: Header=BB2_5483 Depth=2
	v_lshrrev_b32_e32 v10, 24, v11
	v_cmp_ne_u32_e32 vcc, s48, v10
	v_bfrev_b32_e32 v2, 1
	s_and_saveexec_b64 s[88:89], vcc
	s_cbranch_execz .LBB2_5650
; %bb.5647:                             ;   in Loop: Header=BB2_5483 Depth=2
	v_bfe_u32 v4, v11, 24, 7
	v_cmp_ne_u32_e32 vcc, s39, v4
	v_mov_b32_e32 v2, 0x7f800001
	s_and_saveexec_b64 s[90:91], vcc
	s_cbranch_execz .LBB2_5649
; %bb.5648:                             ;   in Loop: Header=BB2_5483 Depth=2
	v_and_b32_e32 v2, 7, v10
	v_lshrrev_b32_e32 v6, 3, v4
	v_cmp_gt_u32_e32 vcc, 8, v4
	v_ffbh_u32_e32 v4, v2
	v_min_u32_e32 v7, 32, v4
	v_subrev_u32_e32 v4, 28, v7
	v_lshlrev_b64 v[4:5], v4, v[10:11]
	v_sub_u32_e32 v5, 29, v7
	v_and_b32_e32 v4, 7, v4
	v_cndmask_b32_e32 v5, v6, v5, vcc
	v_cndmask_b32_e32 v2, v2, v4, vcc
	v_lshlrev_b32_e32 v4, 24, v10
	v_lshlrev_b32_e32 v2, 20, v2
	v_and_b32_e32 v4, 0x80000000, v4
	v_lshl_add_u32 v5, v5, 23, v59
	v_or3_b32 v2, v4, v5, v2
.LBB2_5649:                             ;   in Loop: Header=BB2_5483 Depth=2
	s_or_b64 exec, exec, s[90:91]
.LBB2_5650:                             ;   in Loop: Header=BB2_5483 Depth=2
	s_or_b64 exec, exec, s[88:89]
.LBB2_5651:                             ;   in Loop: Header=BB2_5483 Depth=2
	s_or_b64 exec, exec, s[22:23]
	v_mul_f32_e32 v2, v20, v2
	v_and_b32_e32 v32, 0x7f800000, v2
	v_cmp_ne_u64_e32 vcc, s[46:47], v[32:33]
                                        ; implicit-def: $vgpr27
	s_and_saveexec_b64 s[22:23], vcc
	s_xor_b64 s[88:89], exec, s[22:23]
	s_cbranch_execz .LBB2_5665
; %bb.5652:                             ;   in Loop: Header=BB2_5483 Depth=2
	v_and_b32_e32 v32, 0x7fffffff, v2
	v_cmp_gt_u64_e32 vcc, s[56:57], v[32:33]
	v_and_b32_sdwa v4, v2, s48 dst_sel:DWORD dst_unused:UNUSED_PAD src0_sel:BYTE_3 src1_sel:DWORD
                                        ; implicit-def: $vgpr27
	s_and_saveexec_b64 s[22:23], vcc
	s_xor_b64 s[90:91], exec, s[22:23]
	s_cbranch_execz .LBB2_5662
; %bb.5653:                             ;   in Loop: Header=BB2_5483 Depth=2
	v_mov_b32_e32 v27, 0
	v_cmp_ne_u32_e32 vcc, 0, v2
	s_and_saveexec_b64 s[92:93], vcc
	s_cbranch_execz .LBB2_5661
; %bb.5654:                             ;   in Loop: Header=BB2_5483 Depth=2
	v_and_b32_e32 v6, 0x7fffff, v2
	v_bfe_u32 v2, v2, 23, 8
	v_cmp_gt_u32_e64 s[22:23], s49, v2
	v_sub_u32_e32 v5, 0x79, v2
	v_cmp_eq_u32_e32 vcc, 0, v2
	v_cndmask_b32_e64 v5, 0, v5, s[22:23]
	v_or_b32_e32 v7, 0x800000, v6
	v_cndmask_b32_e32 v5, v5, v60, vcc
	v_cndmask_b32_e32 v32, v7, v6, vcc
	v_add_u32_e32 v6, 20, v5
	v_lshlrev_b64 v[6:7], v6, -1
	v_add_u32_e32 v8, 19, v5
	v_lshlrev_b64 v[8:9], v8, 1
	v_lshrrev_b64 v[10:11], v5, v[32:33]
	v_bfi_b32 v7, v7, 0, 0
	v_bfi_b32 v6, v6, 0, v32
	v_cmp_eq_u64_e64 s[22:23], v[6:7], v[8:9]
	v_mov_b32_e32 v54, v11
	v_mov_b32_e32 v53, v10
	s_and_saveexec_b64 s[94:95], s[22:23]
; %bb.5655:                             ;   in Loop: Header=BB2_5483 Depth=2
	v_bfe_u32 v6, v10, 20, 1
	v_add_co_u32_e64 v6, s[22:23], v10, v6
	v_add_co_u32_e64 v53, s[22:23], -1, v6
; %bb.5656:                             ;   in Loop: Header=BB2_5483 Depth=2
	s_or_b64 exec, exec, s[94:95]
	v_add_u32_e32 v2, 0xffffff81, v2
	v_cndmask_b32_e32 v2, v2, v61, vcc
	v_lshrrev_b32_e32 v6, 23, v10
	v_add3_u32 v6, v5, v2, v6
	v_add_u32_e32 v5, 6, v6
	v_and_b32_e32 v2, 0xfffff, v53
	v_add_u32_e32 v32, v2, v10
	v_cmp_ne_u32_e32 vcc, 0, v5
                                        ; implicit-def: $vgpr10_vgpr11
                                        ; implicit-def: $vgpr2
	s_and_saveexec_b64 s[22:23], vcc
	s_xor_b64 s[22:23], exec, s[22:23]
; %bb.5657:                             ;   in Loop: Header=BB2_5483 Depth=2
	v_cmp_lt_u64_e32 vcc, s[58:59], v[32:33]
	v_add_u32_e32 v2, 7, v6
	v_cndmask_b32_e32 v2, v5, v2, vcc
	v_cndmask_b32_e64 v5, 0, 1, vcc
	v_lshrrev_b64 v[10:11], v5, v[32:33]
; %bb.5658:                             ;   in Loop: Header=BB2_5483 Depth=2
	s_andn2_saveexec_b64 s[22:23], s[22:23]
; %bb.5659:                             ;   in Loop: Header=BB2_5483 Depth=2
	v_mov_b32_e32 v10, v32
	v_bfe_u32 v2, v32, 23, 1
	v_mov_b32_e32 v11, v33
; %bb.5660:                             ;   in Loop: Header=BB2_5483 Depth=2
	s_or_b64 exec, exec, s[22:23]
	v_lshrrev_b64 v[5:6], 20, v[10:11]
	v_cmp_gt_i32_e32 vcc, 16, v2
	v_cndmask_b32_e32 v6, 0, v6, vcc
	v_cndmask_b32_e32 v5, 7, v5, vcc
	v_cmp_eq_u32_e32 vcc, 0, v2
	v_min_i32_e32 v2, 15, v2
	v_cmp_eq_u64_e64 s[22:23], 0, v[5:6]
	v_lshlrev_b32_e32 v2, 3, v2
	v_and_b32_e32 v2, 0xf8, v2
	v_and_or_b32 v2, v5, 7, v2
	s_and_b64 s[22:23], vcc, s[22:23]
	v_cndmask_b32_e64 v2, v2, 0, s[22:23]
	v_or_b32_e32 v27, v2, v4
.LBB2_5661:                             ;   in Loop: Header=BB2_5483 Depth=2
	s_or_b64 exec, exec, s[92:93]
                                        ; implicit-def: $vgpr4
.LBB2_5662:                             ;   in Loop: Header=BB2_5483 Depth=2
	s_andn2_saveexec_b64 s[22:23], s[90:91]
; %bb.5663:                             ;   in Loop: Header=BB2_5483 Depth=2
	v_or_b32_e32 v27, 0x7e, v4
; %bb.5664:                             ;   in Loop: Header=BB2_5483 Depth=2
	s_or_b64 exec, exec, s[22:23]
                                        ; implicit-def: $vgpr2
.LBB2_5665:                             ;   in Loop: Header=BB2_5483 Depth=2
	s_andn2_saveexec_b64 s[22:23], s[88:89]
; %bb.5666:                             ;   in Loop: Header=BB2_5483 Depth=2
	v_or_b32_sdwa v27, v2, s39 dst_sel:DWORD dst_unused:UNUSED_PAD src0_sel:BYTE_3 src1_sel:DWORD
; %bb.5667:                             ;   in Loop: Header=BB2_5483 Depth=2
	s_or_b64 exec, exec, s[22:23]
	v_cmp_ne_u16_sdwa s[88:89], v12, v33 src0_sel:BYTE_0 src1_sel:DWORD
	v_mov_b32_e32 v2, 0
	s_and_saveexec_b64 s[22:23], s[88:89]
	s_cbranch_execz .LBB2_5673
; %bb.5668:                             ;   in Loop: Header=BB2_5483 Depth=2
	v_cmp_ne_u16_sdwa s[90:91], v12, s48 src0_sel:BYTE_0 src1_sel:DWORD
	v_bfrev_b32_e32 v2, 1
	s_and_saveexec_b64 s[88:89], s[90:91]
	s_cbranch_execz .LBB2_5672
; %bb.5669:                             ;   in Loop: Header=BB2_5483 Depth=2
	v_and_b32_e32 v4, 0x7f, v12
	v_cmp_ne_u32_e32 vcc, s39, v4
	v_mov_b32_e32 v2, 0x7f800001
	s_and_saveexec_b64 s[90:91], vcc
	s_cbranch_execz .LBB2_5671
; %bb.5670:                             ;   in Loop: Header=BB2_5483 Depth=2
	v_and_b32_e32 v2, 7, v12
	v_ffbh_u32_e32 v2, v2
	v_min_u32_e32 v2, 32, v2
	v_lshrrev_b32_e32 v5, 3, v4
	v_cmp_gt_u32_e32 vcc, 8, v4
	v_subrev_u32_e32 v4, 28, v2
	v_sub_u32_e32 v2, 29, v2
	v_cndmask_b32_e32 v4, 0, v4, vcc
	v_cndmask_b32_e32 v2, v5, v2, vcc
	v_lshlrev_b64 v[4:5], v4, v[12:13]
	v_lshlrev_b32_e32 v5, 24, v12
	v_lshlrev_b32_e32 v4, 20, v4
	v_and_b32_e32 v4, 0x700000, v4
	v_and_b32_e32 v5, 0x80000000, v5
	v_lshl_add_u32 v2, v2, 23, v59
	v_or3_b32 v2, v5, v2, v4
.LBB2_5671:                             ;   in Loop: Header=BB2_5483 Depth=2
	s_or_b64 exec, exec, s[90:91]
.LBB2_5672:                             ;   in Loop: Header=BB2_5483 Depth=2
	s_or_b64 exec, exec, s[88:89]
.LBB2_5673:                             ;   in Loop: Header=BB2_5483 Depth=2
	s_or_b64 exec, exec, s[22:23]
	v_mul_f32_e32 v2, v20, v2
	v_and_b32_e32 v32, 0x7f800000, v2
	v_cmp_ne_u64_e32 vcc, s[46:47], v[32:33]
                                        ; implicit-def: $vgpr30
	s_and_saveexec_b64 s[22:23], vcc
	s_xor_b64 s[88:89], exec, s[22:23]
	s_cbranch_execz .LBB2_5687
; %bb.5674:                             ;   in Loop: Header=BB2_5483 Depth=2
	v_and_b32_e32 v32, 0x7fffffff, v2
	v_cmp_gt_u64_e32 vcc, s[56:57], v[32:33]
	v_and_b32_sdwa v4, v2, s48 dst_sel:DWORD dst_unused:UNUSED_PAD src0_sel:BYTE_3 src1_sel:DWORD
                                        ; implicit-def: $vgpr30
	s_and_saveexec_b64 s[22:23], vcc
	s_xor_b64 s[90:91], exec, s[22:23]
	s_cbranch_execz .LBB2_5684
; %bb.5675:                             ;   in Loop: Header=BB2_5483 Depth=2
	v_mov_b32_e32 v30, 0
	v_cmp_ne_u32_e32 vcc, 0, v2
	s_and_saveexec_b64 s[92:93], vcc
	s_cbranch_execz .LBB2_5683
; %bb.5676:                             ;   in Loop: Header=BB2_5483 Depth=2
	v_and_b32_e32 v6, 0x7fffff, v2
	v_bfe_u32 v2, v2, 23, 8
	v_cmp_gt_u32_e64 s[22:23], s49, v2
	v_sub_u32_e32 v5, 0x79, v2
	v_cmp_eq_u32_e32 vcc, 0, v2
	v_cndmask_b32_e64 v5, 0, v5, s[22:23]
	v_or_b32_e32 v7, 0x800000, v6
	v_cndmask_b32_e32 v5, v5, v60, vcc
	v_cndmask_b32_e32 v32, v7, v6, vcc
	v_add_u32_e32 v6, 20, v5
	v_lshlrev_b64 v[6:7], v6, -1
	v_add_u32_e32 v8, 19, v5
	v_lshlrev_b64 v[8:9], v8, 1
	v_lshrrev_b64 v[10:11], v5, v[32:33]
	v_bfi_b32 v7, v7, 0, 0
	v_bfi_b32 v6, v6, 0, v32
	v_cmp_eq_u64_e64 s[22:23], v[6:7], v[8:9]
	v_mov_b32_e32 v54, v11
	v_mov_b32_e32 v53, v10
	s_and_saveexec_b64 s[94:95], s[22:23]
; %bb.5677:                             ;   in Loop: Header=BB2_5483 Depth=2
	v_bfe_u32 v6, v10, 20, 1
	v_add_co_u32_e64 v6, s[22:23], v10, v6
	v_add_co_u32_e64 v53, s[22:23], -1, v6
; %bb.5678:                             ;   in Loop: Header=BB2_5483 Depth=2
	s_or_b64 exec, exec, s[94:95]
	v_add_u32_e32 v2, 0xffffff81, v2
	v_cndmask_b32_e32 v2, v2, v61, vcc
	v_lshrrev_b32_e32 v6, 23, v10
	v_add3_u32 v6, v5, v2, v6
	v_add_u32_e32 v5, 6, v6
	v_and_b32_e32 v2, 0xfffff, v53
	v_add_u32_e32 v32, v2, v10
	v_cmp_ne_u32_e32 vcc, 0, v5
                                        ; implicit-def: $vgpr10_vgpr11
                                        ; implicit-def: $vgpr2
	s_and_saveexec_b64 s[22:23], vcc
	s_xor_b64 s[22:23], exec, s[22:23]
; %bb.5679:                             ;   in Loop: Header=BB2_5483 Depth=2
	v_cmp_lt_u64_e32 vcc, s[58:59], v[32:33]
	v_add_u32_e32 v2, 7, v6
	v_cndmask_b32_e32 v2, v5, v2, vcc
	v_cndmask_b32_e64 v5, 0, 1, vcc
	v_lshrrev_b64 v[10:11], v5, v[32:33]
; %bb.5680:                             ;   in Loop: Header=BB2_5483 Depth=2
	s_andn2_saveexec_b64 s[22:23], s[22:23]
; %bb.5681:                             ;   in Loop: Header=BB2_5483 Depth=2
	v_mov_b32_e32 v10, v32
	v_bfe_u32 v2, v32, 23, 1
	v_mov_b32_e32 v11, v33
; %bb.5682:                             ;   in Loop: Header=BB2_5483 Depth=2
	s_or_b64 exec, exec, s[22:23]
	v_lshrrev_b64 v[5:6], 20, v[10:11]
	v_cmp_gt_i32_e32 vcc, 16, v2
	v_cndmask_b32_e32 v6, 0, v6, vcc
	v_cndmask_b32_e32 v5, 7, v5, vcc
	v_cmp_eq_u32_e32 vcc, 0, v2
	v_min_i32_e32 v2, 15, v2
	v_cmp_eq_u64_e64 s[22:23], 0, v[5:6]
	v_lshlrev_b32_e32 v2, 3, v2
	v_and_b32_e32 v2, 0xf8, v2
	v_and_or_b32 v2, v5, 7, v2
	s_and_b64 s[22:23], vcc, s[22:23]
	v_cndmask_b32_e64 v2, v2, 0, s[22:23]
	v_or_b32_e32 v30, v2, v4
.LBB2_5683:                             ;   in Loop: Header=BB2_5483 Depth=2
	s_or_b64 exec, exec, s[92:93]
                                        ; implicit-def: $vgpr4
.LBB2_5684:                             ;   in Loop: Header=BB2_5483 Depth=2
	s_andn2_saveexec_b64 s[22:23], s[90:91]
; %bb.5685:                             ;   in Loop: Header=BB2_5483 Depth=2
	v_or_b32_e32 v30, 0x7e, v4
; %bb.5686:                             ;   in Loop: Header=BB2_5483 Depth=2
	s_or_b64 exec, exec, s[22:23]
                                        ; implicit-def: $vgpr2
.LBB2_5687:                             ;   in Loop: Header=BB2_5483 Depth=2
	s_andn2_saveexec_b64 s[22:23], s[88:89]
; %bb.5688:                             ;   in Loop: Header=BB2_5483 Depth=2
	v_or_b32_sdwa v30, v2, s39 dst_sel:DWORD dst_unused:UNUSED_PAD src0_sel:BYTE_3 src1_sel:DWORD
; %bb.5689:                             ;   in Loop: Header=BB2_5483 Depth=2
	s_or_b64 exec, exec, s[22:23]
	v_lshrrev_b16_e32 v10, 8, v12
	v_cmp_ne_u16_e32 vcc, 0, v10
	v_mov_b32_e32 v2, 0
	s_and_saveexec_b64 s[22:23], vcc
	s_cbranch_execz .LBB2_5695
; %bb.5690:                             ;   in Loop: Header=BB2_5483 Depth=2
	v_cmp_ne_u16_e32 vcc, s48, v10
	v_bfrev_b32_e32 v2, 1
	s_and_saveexec_b64 s[88:89], vcc
	s_cbranch_execz .LBB2_5694
; %bb.5691:                             ;   in Loop: Header=BB2_5483 Depth=2
	v_and_b32_e32 v4, 0x7f, v10
	v_cmp_ne_u32_e32 vcc, s39, v4
	v_mov_b32_e32 v2, 0x7f800001
	s_and_saveexec_b64 s[90:91], vcc
	s_cbranch_execz .LBB2_5693
; %bb.5692:                             ;   in Loop: Header=BB2_5483 Depth=2
	v_and_b32_e32 v2, 7, v10
	v_lshrrev_b32_e32 v6, 3, v4
	v_cmp_gt_u32_e32 vcc, 8, v4
	v_ffbh_u32_e32 v4, v2
	v_min_u32_e32 v7, 32, v4
	v_subrev_u32_e32 v4, 28, v7
	v_lshlrev_b64 v[4:5], v4, v[10:11]
	v_sub_u32_e32 v5, 29, v7
	v_and_b32_e32 v4, 7, v4
	v_cndmask_b32_e32 v5, v6, v5, vcc
	v_cndmask_b32_e32 v2, v2, v4, vcc
	v_lshlrev_b32_e32 v4, 16, v12
	v_lshlrev_b32_e32 v2, 20, v2
	v_and_b32_e32 v4, 0x80000000, v4
	v_lshl_add_u32 v5, v5, 23, v59
	v_or3_b32 v2, v4, v5, v2
.LBB2_5693:                             ;   in Loop: Header=BB2_5483 Depth=2
	s_or_b64 exec, exec, s[90:91]
.LBB2_5694:                             ;   in Loop: Header=BB2_5483 Depth=2
	s_or_b64 exec, exec, s[88:89]
.LBB2_5695:                             ;   in Loop: Header=BB2_5483 Depth=2
	s_or_b64 exec, exec, s[22:23]
	v_mul_f32_e32 v2, v20, v2
	v_and_b32_e32 v32, 0x7f800000, v2
	v_cmp_ne_u64_e32 vcc, s[46:47], v[32:33]
                                        ; implicit-def: $vgpr4
	s_and_saveexec_b64 s[22:23], vcc
	s_xor_b64 s[88:89], exec, s[22:23]
	s_cbranch_execz .LBB2_5709
; %bb.5696:                             ;   in Loop: Header=BB2_5483 Depth=2
	v_and_b32_e32 v32, 0x7fffffff, v2
	v_cmp_gt_u64_e32 vcc, s[56:57], v[32:33]
	v_and_b32_sdwa v5, v2, s48 dst_sel:DWORD dst_unused:UNUSED_PAD src0_sel:BYTE_3 src1_sel:DWORD
                                        ; implicit-def: $vgpr4
	s_and_saveexec_b64 s[22:23], vcc
	s_xor_b64 s[90:91], exec, s[22:23]
	s_cbranch_execz .LBB2_5706
; %bb.5697:                             ;   in Loop: Header=BB2_5483 Depth=2
	v_mov_b32_e32 v4, 0
	v_cmp_ne_u32_e32 vcc, 0, v2
	s_and_saveexec_b64 s[92:93], vcc
	s_cbranch_execz .LBB2_5705
; %bb.5698:                             ;   in Loop: Header=BB2_5483 Depth=2
	v_and_b32_e32 v6, 0x7fffff, v2
	v_bfe_u32 v2, v2, 23, 8
	v_cmp_gt_u32_e64 s[22:23], s49, v2
	v_sub_u32_e32 v4, 0x79, v2
	v_cmp_eq_u32_e32 vcc, 0, v2
	v_cndmask_b32_e64 v4, 0, v4, s[22:23]
	v_or_b32_e32 v7, 0x800000, v6
	v_cndmask_b32_e32 v4, v4, v60, vcc
	v_cndmask_b32_e32 v32, v7, v6, vcc
	v_add_u32_e32 v6, 20, v4
	v_lshlrev_b64 v[6:7], v6, -1
	v_add_u32_e32 v8, 19, v4
	v_lshlrev_b64 v[8:9], v8, 1
	v_lshrrev_b64 v[10:11], v4, v[32:33]
	v_bfi_b32 v7, v7, 0, 0
	v_bfi_b32 v6, v6, 0, v32
	v_cmp_eq_u64_e64 s[22:23], v[6:7], v[8:9]
	v_mov_b32_e32 v54, v11
	v_mov_b32_e32 v53, v10
	s_and_saveexec_b64 s[94:95], s[22:23]
; %bb.5699:                             ;   in Loop: Header=BB2_5483 Depth=2
	v_bfe_u32 v6, v10, 20, 1
	v_add_co_u32_e64 v6, s[22:23], v10, v6
	v_add_co_u32_e64 v53, s[22:23], -1, v6
; %bb.5700:                             ;   in Loop: Header=BB2_5483 Depth=2
	s_or_b64 exec, exec, s[94:95]
	v_add_u32_e32 v2, 0xffffff81, v2
	v_cndmask_b32_e32 v2, v2, v61, vcc
	v_lshrrev_b32_e32 v6, 23, v10
	v_add3_u32 v6, v4, v2, v6
	v_add_u32_e32 v4, 6, v6
	v_and_b32_e32 v2, 0xfffff, v53
	v_add_u32_e32 v32, v2, v10
	v_cmp_ne_u32_e32 vcc, 0, v4
                                        ; implicit-def: $vgpr10_vgpr11
                                        ; implicit-def: $vgpr2
	s_and_saveexec_b64 s[22:23], vcc
	s_xor_b64 s[22:23], exec, s[22:23]
; %bb.5701:                             ;   in Loop: Header=BB2_5483 Depth=2
	v_cmp_lt_u64_e32 vcc, s[58:59], v[32:33]
	v_add_u32_e32 v2, 7, v6
	v_cndmask_b32_e32 v2, v4, v2, vcc
	v_cndmask_b32_e64 v4, 0, 1, vcc
	v_lshrrev_b64 v[10:11], v4, v[32:33]
; %bb.5702:                             ;   in Loop: Header=BB2_5483 Depth=2
	s_andn2_saveexec_b64 s[22:23], s[22:23]
; %bb.5703:                             ;   in Loop: Header=BB2_5483 Depth=2
	v_mov_b32_e32 v10, v32
	v_bfe_u32 v2, v32, 23, 1
	v_mov_b32_e32 v11, v33
; %bb.5704:                             ;   in Loop: Header=BB2_5483 Depth=2
	s_or_b64 exec, exec, s[22:23]
	v_lshrrev_b64 v[6:7], 20, v[10:11]
	v_cmp_gt_i32_e32 vcc, 16, v2
	v_cndmask_b32_e32 v7, 0, v7, vcc
	v_cndmask_b32_e32 v6, 7, v6, vcc
	v_cmp_eq_u32_e32 vcc, 0, v2
	v_min_i32_e32 v2, 15, v2
	v_cmp_eq_u64_e64 s[22:23], 0, v[6:7]
	v_lshlrev_b32_e32 v2, 3, v2
	v_and_b32_e32 v2, 0xf8, v2
	v_and_or_b32 v2, v6, 7, v2
	s_and_b64 s[22:23], vcc, s[22:23]
	v_cndmask_b32_e64 v2, v2, 0, s[22:23]
	v_or_b32_e32 v4, v2, v5
.LBB2_5705:                             ;   in Loop: Header=BB2_5483 Depth=2
	s_or_b64 exec, exec, s[92:93]
                                        ; implicit-def: $vgpr5
.LBB2_5706:                             ;   in Loop: Header=BB2_5483 Depth=2
	s_andn2_saveexec_b64 s[22:23], s[90:91]
; %bb.5707:                             ;   in Loop: Header=BB2_5483 Depth=2
	v_or_b32_e32 v4, 0x7e, v5
; %bb.5708:                             ;   in Loop: Header=BB2_5483 Depth=2
	s_or_b64 exec, exec, s[22:23]
                                        ; implicit-def: $vgpr2
.LBB2_5709:                             ;   in Loop: Header=BB2_5483 Depth=2
	s_andn2_saveexec_b64 s[22:23], s[88:89]
; %bb.5710:                             ;   in Loop: Header=BB2_5483 Depth=2
	v_or_b32_sdwa v4, v2, s39 dst_sel:DWORD dst_unused:UNUSED_PAD src0_sel:BYTE_3 src1_sel:DWORD
; %bb.5711:                             ;   in Loop: Header=BB2_5483 Depth=2
	s_or_b64 exec, exec, s[22:23]
	v_lshrrev_b32_e32 v10, 16, v12
	v_cmp_ne_u16_sdwa s[88:89], v10, v33 src0_sel:BYTE_0 src1_sel:DWORD
	v_mov_b32_e32 v2, 0
	s_and_saveexec_b64 s[22:23], s[88:89]
	s_cbranch_execz .LBB2_5717
; %bb.5712:                             ;   in Loop: Header=BB2_5483 Depth=2
	v_cmp_ne_u16_sdwa s[90:91], v10, s48 src0_sel:BYTE_0 src1_sel:DWORD
	v_bfrev_b32_e32 v2, 1
	s_and_saveexec_b64 s[88:89], s[90:91]
	s_cbranch_execz .LBB2_5716
; %bb.5713:                             ;   in Loop: Header=BB2_5483 Depth=2
	v_bfe_u32 v5, v12, 16, 7
	v_cmp_ne_u32_e32 vcc, s39, v5
	v_mov_b32_e32 v2, 0x7f800001
	s_and_saveexec_b64 s[90:91], vcc
	s_cbranch_execz .LBB2_5715
; %bb.5714:                             ;   in Loop: Header=BB2_5483 Depth=2
	v_and_b32_e32 v2, 7, v10
	v_lshrrev_b32_e32 v7, 3, v5
	v_cmp_gt_u32_e32 vcc, 8, v5
	v_ffbh_u32_e32 v5, v2
	v_min_u32_e32 v8, 32, v5
	v_subrev_u32_e32 v5, 28, v8
	v_lshlrev_b64 v[5:6], v5, v[10:11]
	v_sub_u32_e32 v6, 29, v8
	v_and_b32_e32 v5, 7, v5
	v_cndmask_b32_e32 v6, v7, v6, vcc
	v_cndmask_b32_e32 v2, v2, v5, vcc
	v_lshlrev_b32_e32 v5, 24, v10
	v_lshlrev_b32_e32 v2, 20, v2
	v_and_b32_e32 v5, 0x80000000, v5
	v_lshl_add_u32 v6, v6, 23, v59
	v_or3_b32 v2, v5, v6, v2
.LBB2_5715:                             ;   in Loop: Header=BB2_5483 Depth=2
	s_or_b64 exec, exec, s[90:91]
.LBB2_5716:                             ;   in Loop: Header=BB2_5483 Depth=2
	s_or_b64 exec, exec, s[88:89]
.LBB2_5717:                             ;   in Loop: Header=BB2_5483 Depth=2
	s_or_b64 exec, exec, s[22:23]
	v_mul_f32_e32 v2, v20, v2
	v_and_b32_e32 v32, 0x7f800000, v2
	v_cmp_ne_u64_e32 vcc, s[46:47], v[32:33]
                                        ; implicit-def: $vgpr5
	s_and_saveexec_b64 s[22:23], vcc
	s_xor_b64 s[88:89], exec, s[22:23]
	s_cbranch_execz .LBB2_5731
; %bb.5718:                             ;   in Loop: Header=BB2_5483 Depth=2
	v_and_b32_e32 v32, 0x7fffffff, v2
	v_cmp_gt_u64_e32 vcc, s[56:57], v[32:33]
	v_and_b32_sdwa v22, v2, s48 dst_sel:DWORD dst_unused:UNUSED_PAD src0_sel:BYTE_3 src1_sel:DWORD
                                        ; implicit-def: $vgpr5
	s_and_saveexec_b64 s[22:23], vcc
	s_xor_b64 s[90:91], exec, s[22:23]
	s_cbranch_execz .LBB2_5728
; %bb.5719:                             ;   in Loop: Header=BB2_5483 Depth=2
	v_mov_b32_e32 v5, 0
	v_cmp_ne_u32_e32 vcc, 0, v2
	s_and_saveexec_b64 s[92:93], vcc
	s_cbranch_execz .LBB2_5727
; %bb.5720:                             ;   in Loop: Header=BB2_5483 Depth=2
	v_and_b32_e32 v6, 0x7fffff, v2
	v_bfe_u32 v2, v2, 23, 8
	v_cmp_gt_u32_e64 s[22:23], s49, v2
	v_sub_u32_e32 v5, 0x79, v2
	v_cmp_eq_u32_e32 vcc, 0, v2
	v_cndmask_b32_e64 v5, 0, v5, s[22:23]
	v_or_b32_e32 v7, 0x800000, v6
	v_cndmask_b32_e32 v5, v5, v60, vcc
	v_cndmask_b32_e32 v32, v7, v6, vcc
	v_add_u32_e32 v6, 20, v5
	v_lshlrev_b64 v[6:7], v6, -1
	v_add_u32_e32 v8, 19, v5
	v_lshlrev_b64 v[8:9], v8, 1
	v_lshrrev_b64 v[10:11], v5, v[32:33]
	v_bfi_b32 v7, v7, 0, 0
	v_bfi_b32 v6, v6, 0, v32
	v_cmp_eq_u64_e64 s[22:23], v[6:7], v[8:9]
	v_mov_b32_e32 v54, v11
	v_mov_b32_e32 v53, v10
	s_and_saveexec_b64 s[94:95], s[22:23]
; %bb.5721:                             ;   in Loop: Header=BB2_5483 Depth=2
	v_bfe_u32 v6, v10, 20, 1
	v_add_co_u32_e64 v6, s[22:23], v10, v6
	v_add_co_u32_e64 v53, s[22:23], -1, v6
; %bb.5722:                             ;   in Loop: Header=BB2_5483 Depth=2
	s_or_b64 exec, exec, s[94:95]
	v_add_u32_e32 v2, 0xffffff81, v2
	v_cndmask_b32_e32 v2, v2, v61, vcc
	v_lshrrev_b32_e32 v6, 23, v10
	v_add3_u32 v6, v5, v2, v6
	v_add_u32_e32 v5, 6, v6
	v_and_b32_e32 v2, 0xfffff, v53
	v_add_u32_e32 v32, v2, v10
	v_cmp_ne_u32_e32 vcc, 0, v5
                                        ; implicit-def: $vgpr10_vgpr11
                                        ; implicit-def: $vgpr2
	s_and_saveexec_b64 s[22:23], vcc
	s_xor_b64 s[22:23], exec, s[22:23]
; %bb.5723:                             ;   in Loop: Header=BB2_5483 Depth=2
	v_cmp_lt_u64_e32 vcc, s[58:59], v[32:33]
	v_add_u32_e32 v2, 7, v6
	v_cndmask_b32_e32 v2, v5, v2, vcc
	v_cndmask_b32_e64 v5, 0, 1, vcc
	v_lshrrev_b64 v[10:11], v5, v[32:33]
; %bb.5724:                             ;   in Loop: Header=BB2_5483 Depth=2
	s_andn2_saveexec_b64 s[22:23], s[22:23]
; %bb.5725:                             ;   in Loop: Header=BB2_5483 Depth=2
	v_mov_b32_e32 v10, v32
	v_bfe_u32 v2, v32, 23, 1
	v_mov_b32_e32 v11, v33
; %bb.5726:                             ;   in Loop: Header=BB2_5483 Depth=2
	s_or_b64 exec, exec, s[22:23]
	v_lshrrev_b64 v[5:6], 20, v[10:11]
	v_cmp_gt_i32_e32 vcc, 16, v2
	v_cndmask_b32_e32 v6, 0, v6, vcc
	v_cndmask_b32_e32 v5, 7, v5, vcc
	v_cmp_eq_u32_e32 vcc, 0, v2
	v_min_i32_e32 v2, 15, v2
	v_cmp_eq_u64_e64 s[22:23], 0, v[5:6]
	v_lshlrev_b32_e32 v2, 3, v2
	v_and_b32_e32 v2, 0xf8, v2
	v_and_or_b32 v2, v5, 7, v2
	s_and_b64 s[22:23], vcc, s[22:23]
	v_cndmask_b32_e64 v2, v2, 0, s[22:23]
	v_or_b32_e32 v5, v2, v22
.LBB2_5727:                             ;   in Loop: Header=BB2_5483 Depth=2
	s_or_b64 exec, exec, s[92:93]
                                        ; implicit-def: $vgpr22
.LBB2_5728:                             ;   in Loop: Header=BB2_5483 Depth=2
	s_andn2_saveexec_b64 s[22:23], s[90:91]
; %bb.5729:                             ;   in Loop: Header=BB2_5483 Depth=2
	v_or_b32_e32 v5, 0x7e, v22
; %bb.5730:                             ;   in Loop: Header=BB2_5483 Depth=2
	s_or_b64 exec, exec, s[22:23]
                                        ; implicit-def: $vgpr2
.LBB2_5731:                             ;   in Loop: Header=BB2_5483 Depth=2
	s_andn2_saveexec_b64 s[22:23], s[88:89]
; %bb.5732:                             ;   in Loop: Header=BB2_5483 Depth=2
	v_or_b32_sdwa v5, v2, s39 dst_sel:DWORD dst_unused:UNUSED_PAD src0_sel:BYTE_3 src1_sel:DWORD
; %bb.5733:                             ;   in Loop: Header=BB2_5483 Depth=2
	s_or_b64 exec, exec, s[22:23]
	v_cmp_lt_u32_e32 vcc, s61, v12
	v_mov_b32_e32 v2, 0
	s_and_saveexec_b64 s[22:23], vcc
	s_cbranch_execz .LBB2_5739
; %bb.5734:                             ;   in Loop: Header=BB2_5483 Depth=2
	v_lshrrev_b32_e32 v10, 24, v12
	v_cmp_ne_u32_e32 vcc, s48, v10
	v_bfrev_b32_e32 v2, 1
	s_and_saveexec_b64 s[88:89], vcc
	s_cbranch_execz .LBB2_5738
; %bb.5735:                             ;   in Loop: Header=BB2_5483 Depth=2
	v_bfe_u32 v6, v12, 24, 7
	v_cmp_ne_u32_e32 vcc, s39, v6
	v_mov_b32_e32 v2, 0x7f800001
	s_and_saveexec_b64 s[90:91], vcc
	s_cbranch_execz .LBB2_5737
; %bb.5736:                             ;   in Loop: Header=BB2_5483 Depth=2
	v_and_b32_e32 v2, 7, v10
	v_lshrrev_b32_e32 v8, 3, v6
	v_cmp_gt_u32_e32 vcc, 8, v6
	v_ffbh_u32_e32 v6, v2
	v_min_u32_e32 v9, 32, v6
	v_subrev_u32_e32 v6, 28, v9
	v_lshlrev_b64 v[6:7], v6, v[10:11]
	v_sub_u32_e32 v7, 29, v9
	v_and_b32_e32 v6, 7, v6
	v_cndmask_b32_e32 v7, v8, v7, vcc
	v_cndmask_b32_e32 v2, v2, v6, vcc
	v_lshlrev_b32_e32 v6, 24, v10
	v_lshlrev_b32_e32 v2, 20, v2
	v_and_b32_e32 v6, 0x80000000, v6
	v_lshl_add_u32 v7, v7, 23, v59
	v_or3_b32 v2, v6, v7, v2
.LBB2_5737:                             ;   in Loop: Header=BB2_5483 Depth=2
	s_or_b64 exec, exec, s[90:91]
.LBB2_5738:                             ;   in Loop: Header=BB2_5483 Depth=2
	s_or_b64 exec, exec, s[88:89]
.LBB2_5739:                             ;   in Loop: Header=BB2_5483 Depth=2
	s_or_b64 exec, exec, s[22:23]
	v_mul_f32_e32 v2, v20, v2
	v_and_b32_e32 v32, 0x7f800000, v2
	v_cmp_ne_u64_e32 vcc, s[46:47], v[32:33]
                                        ; implicit-def: $vgpr39
	s_and_saveexec_b64 s[22:23], vcc
	s_xor_b64 s[88:89], exec, s[22:23]
	s_cbranch_execz .LBB2_5753
; %bb.5740:                             ;   in Loop: Header=BB2_5483 Depth=2
	v_and_b32_e32 v32, 0x7fffffff, v2
	v_cmp_gt_u64_e32 vcc, s[56:57], v[32:33]
	v_and_b32_sdwa v22, v2, s48 dst_sel:DWORD dst_unused:UNUSED_PAD src0_sel:BYTE_3 src1_sel:DWORD
                                        ; implicit-def: $vgpr39
	s_and_saveexec_b64 s[22:23], vcc
	s_xor_b64 s[90:91], exec, s[22:23]
	s_cbranch_execz .LBB2_5750
; %bb.5741:                             ;   in Loop: Header=BB2_5483 Depth=2
	v_mov_b32_e32 v39, 0
	v_cmp_ne_u32_e32 vcc, 0, v2
	s_and_saveexec_b64 s[92:93], vcc
	s_cbranch_execz .LBB2_5749
; %bb.5742:                             ;   in Loop: Header=BB2_5483 Depth=2
	v_and_b32_e32 v7, 0x7fffff, v2
	v_bfe_u32 v2, v2, 23, 8
	v_cmp_gt_u32_e64 s[22:23], s49, v2
	v_sub_u32_e32 v6, 0x79, v2
	v_cmp_eq_u32_e32 vcc, 0, v2
	v_cndmask_b32_e64 v6, 0, v6, s[22:23]
	v_or_b32_e32 v8, 0x800000, v7
	v_cndmask_b32_e32 v6, v6, v60, vcc
	v_cndmask_b32_e32 v32, v8, v7, vcc
	v_add_u32_e32 v7, 20, v6
	v_lshlrev_b64 v[7:8], v7, -1
	v_add_u32_e32 v9, 19, v6
	v_lshlrev_b64 v[9:10], v9, 1
	v_bfi_b32 v8, v8, 0, 0
	v_bfi_b32 v7, v7, 0, v32
	v_cmp_eq_u64_e64 s[22:23], v[7:8], v[9:10]
	v_lshrrev_b64 v[10:11], v6, v[32:33]
	v_mov_b32_e32 v54, v11
	v_mov_b32_e32 v53, v10
	s_and_saveexec_b64 s[94:95], s[22:23]
; %bb.5743:                             ;   in Loop: Header=BB2_5483 Depth=2
	v_bfe_u32 v7, v10, 20, 1
	v_add_co_u32_e64 v7, s[22:23], v10, v7
	v_add_co_u32_e64 v53, s[22:23], -1, v7
; %bb.5744:                             ;   in Loop: Header=BB2_5483 Depth=2
	s_or_b64 exec, exec, s[94:95]
	v_add_u32_e32 v2, 0xffffff81, v2
	v_cndmask_b32_e32 v2, v2, v61, vcc
	v_lshrrev_b32_e32 v7, 23, v10
	v_add3_u32 v7, v6, v2, v7
	v_add_u32_e32 v6, 6, v7
	v_and_b32_e32 v2, 0xfffff, v53
	v_add_u32_e32 v32, v2, v10
	v_cmp_ne_u32_e32 vcc, 0, v6
                                        ; implicit-def: $vgpr10_vgpr11
                                        ; implicit-def: $vgpr2
	s_and_saveexec_b64 s[22:23], vcc
	s_xor_b64 s[22:23], exec, s[22:23]
; %bb.5745:                             ;   in Loop: Header=BB2_5483 Depth=2
	v_cmp_lt_u64_e32 vcc, s[58:59], v[32:33]
	v_add_u32_e32 v2, 7, v7
	v_cndmask_b32_e32 v2, v6, v2, vcc
	v_cndmask_b32_e64 v6, 0, 1, vcc
	v_lshrrev_b64 v[10:11], v6, v[32:33]
; %bb.5746:                             ;   in Loop: Header=BB2_5483 Depth=2
	s_andn2_saveexec_b64 s[22:23], s[22:23]
; %bb.5747:                             ;   in Loop: Header=BB2_5483 Depth=2
	v_mov_b32_e32 v10, v32
	v_bfe_u32 v2, v32, 23, 1
	v_mov_b32_e32 v11, v33
; %bb.5748:                             ;   in Loop: Header=BB2_5483 Depth=2
	s_or_b64 exec, exec, s[22:23]
	v_lshrrev_b64 v[6:7], 20, v[10:11]
	v_cmp_gt_i32_e32 vcc, 16, v2
	v_cndmask_b32_e32 v7, 0, v7, vcc
	v_cndmask_b32_e32 v6, 7, v6, vcc
	v_cmp_eq_u32_e32 vcc, 0, v2
	v_min_i32_e32 v2, 15, v2
	v_cmp_eq_u64_e64 s[22:23], 0, v[6:7]
	v_lshlrev_b32_e32 v2, 3, v2
	v_and_b32_e32 v2, 0xf8, v2
	v_and_or_b32 v2, v6, 7, v2
	s_and_b64 s[22:23], vcc, s[22:23]
	v_cndmask_b32_e64 v2, v2, 0, s[22:23]
	v_or_b32_e32 v39, v2, v22
.LBB2_5749:                             ;   in Loop: Header=BB2_5483 Depth=2
	s_or_b64 exec, exec, s[92:93]
                                        ; implicit-def: $vgpr22
.LBB2_5750:                             ;   in Loop: Header=BB2_5483 Depth=2
	s_andn2_saveexec_b64 s[22:23], s[90:91]
; %bb.5751:                             ;   in Loop: Header=BB2_5483 Depth=2
	v_or_b32_e32 v39, 0x7e, v22
; %bb.5752:                             ;   in Loop: Header=BB2_5483 Depth=2
	s_or_b64 exec, exec, s[22:23]
                                        ; implicit-def: $vgpr2
.LBB2_5753:                             ;   in Loop: Header=BB2_5483 Depth=2
	s_andn2_saveexec_b64 s[22:23], s[88:89]
; %bb.5754:                             ;   in Loop: Header=BB2_5483 Depth=2
	v_or_b32_sdwa v39, v2, s39 dst_sel:DWORD dst_unused:UNUSED_PAD src0_sel:BYTE_3 src1_sel:DWORD
; %bb.5755:                             ;   in Loop: Header=BB2_5483 Depth=2
	s_or_b64 exec, exec, s[22:23]
	v_mov_b32_e32 v32, v13
	v_cmp_ne_u16_sdwa s[88:89], v13, v33 src0_sel:BYTE_0 src1_sel:DWORD
	v_mov_b32_e32 v2, 0
	s_and_saveexec_b64 s[22:23], s[88:89]
	s_cbranch_execz .LBB2_5761
; %bb.5756:                             ;   in Loop: Header=BB2_5483 Depth=2
	v_cmp_ne_u16_sdwa s[90:91], v13, s48 src0_sel:BYTE_0 src1_sel:DWORD
	v_bfrev_b32_e32 v2, 1
	s_and_saveexec_b64 s[88:89], s[90:91]
	s_cbranch_execz .LBB2_5760
; %bb.5757:                             ;   in Loop: Header=BB2_5483 Depth=2
	v_and_b32_e32 v6, 0x7f, v13
	v_cmp_ne_u32_e32 vcc, s39, v6
	v_mov_b32_e32 v2, 0x7f800001
	s_and_saveexec_b64 s[90:91], vcc
	s_cbranch_execz .LBB2_5759
; %bb.5758:                             ;   in Loop: Header=BB2_5483 Depth=2
	v_and_b32_e32 v2, 7, v13
	v_ffbh_u32_e32 v2, v2
	v_min_u32_e32 v2, 32, v2
	v_lshrrev_b32_e32 v7, 3, v6
	v_cmp_gt_u32_e32 vcc, 8, v6
	v_subrev_u32_e32 v6, 28, v2
	v_sub_u32_e32 v2, 29, v2
	v_cndmask_b32_e32 v6, 0, v6, vcc
	v_cndmask_b32_e32 v2, v7, v2, vcc
	v_lshlrev_b64 v[6:7], v6, v[32:33]
	v_lshlrev_b32_e32 v7, 24, v32
	v_lshlrev_b32_e32 v6, 20, v6
	v_and_b32_e32 v6, 0x700000, v6
	v_and_b32_e32 v7, 0x80000000, v7
	v_lshl_add_u32 v2, v2, 23, v59
	v_or3_b32 v2, v7, v2, v6
.LBB2_5759:                             ;   in Loop: Header=BB2_5483 Depth=2
	s_or_b64 exec, exec, s[90:91]
.LBB2_5760:                             ;   in Loop: Header=BB2_5483 Depth=2
	s_or_b64 exec, exec, s[88:89]
.LBB2_5761:                             ;   in Loop: Header=BB2_5483 Depth=2
	s_or_b64 exec, exec, s[22:23]
	v_mul_f32_e32 v2, v20, v2
	v_and_b32_e32 v6, 0x7f800000, v2
	v_mov_b32_e32 v7, v33
	v_cmp_ne_u64_e32 vcc, s[46:47], v[6:7]
                                        ; implicit-def: $vgpr22
	s_and_saveexec_b64 s[22:23], vcc
	s_xor_b64 s[88:89], exec, s[22:23]
	s_cbranch_execz .LBB2_5775
; %bb.5762:                             ;   in Loop: Header=BB2_5483 Depth=2
	v_and_b32_e32 v6, 0x7fffffff, v2
	v_mov_b32_e32 v7, v33
	v_cmp_gt_u64_e32 vcc, s[56:57], v[6:7]
	v_and_b32_sdwa v23, v2, s48 dst_sel:DWORD dst_unused:UNUSED_PAD src0_sel:BYTE_3 src1_sel:DWORD
                                        ; implicit-def: $vgpr22
	s_and_saveexec_b64 s[22:23], vcc
	s_xor_b64 s[90:91], exec, s[22:23]
	s_cbranch_execz .LBB2_5772
; %bb.5763:                             ;   in Loop: Header=BB2_5483 Depth=2
	v_mov_b32_e32 v22, 0
	v_cmp_ne_u32_e32 vcc, 0, v2
	s_and_saveexec_b64 s[92:93], vcc
	s_cbranch_execz .LBB2_5771
; %bb.5764:                             ;   in Loop: Header=BB2_5483 Depth=2
	v_and_b32_e32 v7, 0x7fffff, v2
	v_bfe_u32 v2, v2, 23, 8
	v_cmp_gt_u32_e64 s[22:23], s49, v2
	v_sub_u32_e32 v6, 0x79, v2
	v_cmp_eq_u32_e32 vcc, 0, v2
	v_cndmask_b32_e64 v6, 0, v6, s[22:23]
	v_cndmask_b32_e32 v6, v6, v60, vcc
	v_add_u32_e32 v9, 20, v6
	v_or_b32_e32 v8, 0x800000, v7
	v_lshlrev_b64 v[9:10], v9, -1
	v_add_u32_e32 v11, 19, v6
	v_cndmask_b32_e32 v7, v8, v7, vcc
	v_lshlrev_b64 v[53:54], v11, 1
	v_mov_b32_e32 v8, v33
	v_bfi_b32 v10, v10, 0, 0
	v_bfi_b32 v9, v9, 0, v7
	v_cmp_eq_u64_e64 s[22:23], v[9:10], v[53:54]
	v_lshrrev_b64 v[10:11], v6, v[7:8]
	v_mov_b32_e32 v54, v11
	v_mov_b32_e32 v53, v10
	s_and_saveexec_b64 s[94:95], s[22:23]
; %bb.5765:                             ;   in Loop: Header=BB2_5483 Depth=2
	v_bfe_u32 v7, v10, 20, 1
	v_add_co_u32_e64 v7, s[22:23], v10, v7
	v_add_co_u32_e64 v53, s[22:23], -1, v7
; %bb.5766:                             ;   in Loop: Header=BB2_5483 Depth=2
	s_or_b64 exec, exec, s[94:95]
	v_add_u32_e32 v2, 0xffffff81, v2
	v_cndmask_b32_e32 v2, v2, v61, vcc
	v_lshrrev_b32_e32 v7, 23, v10
	v_add3_u32 v7, v6, v2, v7
	v_add_u32_e32 v6, 6, v7
	v_and_b32_e32 v2, 0xfffff, v53
	v_add_u32_e32 v10, v2, v10
	v_mov_b32_e32 v11, v33
	v_cmp_ne_u32_e32 vcc, 0, v6
                                        ; implicit-def: $vgpr2
	s_and_saveexec_b64 s[22:23], vcc
	s_xor_b64 s[22:23], exec, s[22:23]
; %bb.5767:                             ;   in Loop: Header=BB2_5483 Depth=2
	v_cmp_lt_u64_e32 vcc, s[58:59], v[10:11]
	v_add_u32_e32 v2, 7, v7
	v_cndmask_b32_e32 v2, v6, v2, vcc
	v_cndmask_b32_e64 v6, 0, 1, vcc
	v_lshrrev_b64 v[10:11], v6, v[10:11]
; %bb.5768:                             ;   in Loop: Header=BB2_5483 Depth=2
	s_andn2_saveexec_b64 s[22:23], s[22:23]
; %bb.5769:                             ;   in Loop: Header=BB2_5483 Depth=2
	v_bfe_u32 v2, v10, 23, 1
; %bb.5770:                             ;   in Loop: Header=BB2_5483 Depth=2
	s_or_b64 exec, exec, s[22:23]
	v_lshrrev_b64 v[6:7], 20, v[10:11]
	v_cmp_gt_i32_e32 vcc, 16, v2
	v_cndmask_b32_e32 v7, 0, v7, vcc
	v_cndmask_b32_e32 v6, 7, v6, vcc
	v_cmp_eq_u32_e32 vcc, 0, v2
	v_min_i32_e32 v2, 15, v2
	v_cmp_eq_u64_e64 s[22:23], 0, v[6:7]
	v_lshlrev_b32_e32 v2, 3, v2
	v_and_b32_e32 v2, 0xf8, v2
	v_and_or_b32 v2, v6, 7, v2
	s_and_b64 s[22:23], vcc, s[22:23]
	v_cndmask_b32_e64 v2, v2, 0, s[22:23]
	v_or_b32_e32 v22, v2, v23
.LBB2_5771:                             ;   in Loop: Header=BB2_5483 Depth=2
	s_or_b64 exec, exec, s[92:93]
                                        ; implicit-def: $vgpr23
.LBB2_5772:                             ;   in Loop: Header=BB2_5483 Depth=2
	s_andn2_saveexec_b64 s[22:23], s[90:91]
; %bb.5773:                             ;   in Loop: Header=BB2_5483 Depth=2
	v_or_b32_e32 v22, 0x7e, v23
; %bb.5774:                             ;   in Loop: Header=BB2_5483 Depth=2
	s_or_b64 exec, exec, s[22:23]
                                        ; implicit-def: $vgpr2
.LBB2_5775:                             ;   in Loop: Header=BB2_5483 Depth=2
	s_andn2_saveexec_b64 s[22:23], s[88:89]
; %bb.5776:                             ;   in Loop: Header=BB2_5483 Depth=2
	v_or_b32_sdwa v22, v2, s39 dst_sel:DWORD dst_unused:UNUSED_PAD src0_sel:BYTE_3 src1_sel:DWORD
; %bb.5777:                             ;   in Loop: Header=BB2_5483 Depth=2
	s_or_b64 exec, exec, s[22:23]
	v_lshrrev_b16_e32 v10, 8, v32
	v_cmp_ne_u16_e32 vcc, 0, v10
	v_mov_b32_e32 v2, 0
	s_and_saveexec_b64 s[22:23], vcc
	s_cbranch_execz .LBB2_5783
; %bb.5778:                             ;   in Loop: Header=BB2_5483 Depth=2
	v_cmp_ne_u16_e32 vcc, s48, v10
	v_bfrev_b32_e32 v2, 1
	s_and_saveexec_b64 s[88:89], vcc
	s_cbranch_execz .LBB2_5782
; %bb.5779:                             ;   in Loop: Header=BB2_5483 Depth=2
	v_and_b32_e32 v6, 0x7f, v10
	v_cmp_ne_u32_e32 vcc, s39, v6
	v_mov_b32_e32 v2, 0x7f800001
	s_and_saveexec_b64 s[90:91], vcc
	s_cbranch_execz .LBB2_5781
; %bb.5780:                             ;   in Loop: Header=BB2_5483 Depth=2
	v_and_b32_e32 v2, 7, v10
	v_lshrrev_b32_e32 v8, 3, v6
	v_cmp_gt_u32_e32 vcc, 8, v6
	v_ffbh_u32_e32 v6, v2
	v_min_u32_e32 v9, 32, v6
	v_subrev_u32_e32 v6, 28, v9
	v_lshlrev_b64 v[6:7], v6, v[10:11]
	v_sub_u32_e32 v7, 29, v9
	v_and_b32_e32 v6, 7, v6
	v_cndmask_b32_e32 v7, v8, v7, vcc
	v_cndmask_b32_e32 v2, v2, v6, vcc
	v_lshlrev_b32_e32 v6, 16, v32
	v_lshlrev_b32_e32 v2, 20, v2
	v_and_b32_e32 v6, 0x80000000, v6
	v_lshl_add_u32 v7, v7, 23, v59
	v_or3_b32 v2, v6, v7, v2
.LBB2_5781:                             ;   in Loop: Header=BB2_5483 Depth=2
	s_or_b64 exec, exec, s[90:91]
.LBB2_5782:                             ;   in Loop: Header=BB2_5483 Depth=2
	s_or_b64 exec, exec, s[88:89]
.LBB2_5783:                             ;   in Loop: Header=BB2_5483 Depth=2
	s_or_b64 exec, exec, s[22:23]
	v_mul_f32_e32 v2, v20, v2
	v_and_b32_e32 v32, 0x7f800000, v2
	v_cmp_ne_u64_e32 vcc, s[46:47], v[32:33]
                                        ; implicit-def: $vgpr23
	s_and_saveexec_b64 s[22:23], vcc
	s_xor_b64 s[88:89], exec, s[22:23]
	s_cbranch_execz .LBB2_5797
; %bb.5784:                             ;   in Loop: Header=BB2_5483 Depth=2
	v_and_b32_e32 v32, 0x7fffffff, v2
	v_cmp_gt_u64_e32 vcc, s[56:57], v[32:33]
	v_and_b32_sdwa v55, v2, s48 dst_sel:DWORD dst_unused:UNUSED_PAD src0_sel:BYTE_3 src1_sel:DWORD
                                        ; implicit-def: $vgpr23
	s_and_saveexec_b64 s[22:23], vcc
	s_xor_b64 s[90:91], exec, s[22:23]
	s_cbranch_execz .LBB2_5794
; %bb.5785:                             ;   in Loop: Header=BB2_5483 Depth=2
	v_mov_b32_e32 v23, 0
	v_cmp_ne_u32_e32 vcc, 0, v2
	s_and_saveexec_b64 s[92:93], vcc
	s_cbranch_execz .LBB2_5793
; %bb.5786:                             ;   in Loop: Header=BB2_5483 Depth=2
	v_and_b32_e32 v7, 0x7fffff, v2
	v_bfe_u32 v2, v2, 23, 8
	v_cmp_gt_u32_e64 s[22:23], s49, v2
	v_sub_u32_e32 v6, 0x79, v2
	v_cmp_eq_u32_e32 vcc, 0, v2
	v_cndmask_b32_e64 v6, 0, v6, s[22:23]
	v_or_b32_e32 v8, 0x800000, v7
	v_cndmask_b32_e32 v6, v6, v60, vcc
	v_cndmask_b32_e32 v32, v8, v7, vcc
	v_add_u32_e32 v7, 20, v6
	v_lshlrev_b64 v[7:8], v7, -1
	v_add_u32_e32 v9, 19, v6
	v_lshlrev_b64 v[9:10], v9, 1
	v_bfi_b32 v8, v8, 0, 0
	v_bfi_b32 v7, v7, 0, v32
	v_cmp_eq_u64_e64 s[22:23], v[7:8], v[9:10]
	v_lshrrev_b64 v[10:11], v6, v[32:33]
	v_mov_b32_e32 v54, v11
	v_mov_b32_e32 v53, v10
	s_and_saveexec_b64 s[94:95], s[22:23]
; %bb.5787:                             ;   in Loop: Header=BB2_5483 Depth=2
	v_bfe_u32 v7, v10, 20, 1
	v_add_co_u32_e64 v7, s[22:23], v10, v7
	v_add_co_u32_e64 v53, s[22:23], -1, v7
; %bb.5788:                             ;   in Loop: Header=BB2_5483 Depth=2
	s_or_b64 exec, exec, s[94:95]
	v_add_u32_e32 v2, 0xffffff81, v2
	v_cndmask_b32_e32 v2, v2, v61, vcc
	v_lshrrev_b32_e32 v7, 23, v10
	v_add3_u32 v7, v6, v2, v7
	v_add_u32_e32 v6, 6, v7
	v_and_b32_e32 v2, 0xfffff, v53
	v_add_u32_e32 v32, v2, v10
	v_cmp_ne_u32_e32 vcc, 0, v6
                                        ; implicit-def: $vgpr10_vgpr11
                                        ; implicit-def: $vgpr2
	s_and_saveexec_b64 s[22:23], vcc
	s_xor_b64 s[22:23], exec, s[22:23]
; %bb.5789:                             ;   in Loop: Header=BB2_5483 Depth=2
	v_cmp_lt_u64_e32 vcc, s[58:59], v[32:33]
	v_add_u32_e32 v2, 7, v7
	v_cndmask_b32_e32 v2, v6, v2, vcc
	v_cndmask_b32_e64 v6, 0, 1, vcc
	v_lshrrev_b64 v[10:11], v6, v[32:33]
; %bb.5790:                             ;   in Loop: Header=BB2_5483 Depth=2
	s_andn2_saveexec_b64 s[22:23], s[22:23]
; %bb.5791:                             ;   in Loop: Header=BB2_5483 Depth=2
	v_mov_b32_e32 v10, v32
	v_bfe_u32 v2, v32, 23, 1
	v_mov_b32_e32 v11, v33
; %bb.5792:                             ;   in Loop: Header=BB2_5483 Depth=2
	s_or_b64 exec, exec, s[22:23]
	v_lshrrev_b64 v[6:7], 20, v[10:11]
	v_cmp_gt_i32_e32 vcc, 16, v2
	v_cndmask_b32_e32 v7, 0, v7, vcc
	v_cndmask_b32_e32 v6, 7, v6, vcc
	v_cmp_eq_u32_e32 vcc, 0, v2
	v_min_i32_e32 v2, 15, v2
	v_cmp_eq_u64_e64 s[22:23], 0, v[6:7]
	v_lshlrev_b32_e32 v2, 3, v2
	v_and_b32_e32 v2, 0xf8, v2
	v_and_or_b32 v2, v6, 7, v2
	s_and_b64 s[22:23], vcc, s[22:23]
	v_cndmask_b32_e64 v2, v2, 0, s[22:23]
	v_or_b32_e32 v23, v2, v55
.LBB2_5793:                             ;   in Loop: Header=BB2_5483 Depth=2
	s_or_b64 exec, exec, s[92:93]
                                        ; implicit-def: $vgpr55
.LBB2_5794:                             ;   in Loop: Header=BB2_5483 Depth=2
	s_andn2_saveexec_b64 s[22:23], s[90:91]
; %bb.5795:                             ;   in Loop: Header=BB2_5483 Depth=2
	v_or_b32_e32 v23, 0x7e, v55
; %bb.5796:                             ;   in Loop: Header=BB2_5483 Depth=2
	s_or_b64 exec, exec, s[22:23]
                                        ; implicit-def: $vgpr2
.LBB2_5797:                             ;   in Loop: Header=BB2_5483 Depth=2
	s_andn2_saveexec_b64 s[22:23], s[88:89]
; %bb.5798:                             ;   in Loop: Header=BB2_5483 Depth=2
	v_or_b32_sdwa v23, v2, s39 dst_sel:DWORD dst_unused:UNUSED_PAD src0_sel:BYTE_3 src1_sel:DWORD
; %bb.5799:                             ;   in Loop: Header=BB2_5483 Depth=2
	s_or_b64 exec, exec, s[22:23]
	v_lshrrev_b32_e32 v10, 16, v13
	v_cmp_ne_u16_sdwa s[88:89], v10, v33 src0_sel:BYTE_0 src1_sel:DWORD
	v_mov_b32_e32 v2, 0
	s_and_saveexec_b64 s[22:23], s[88:89]
	s_cbranch_execz .LBB2_5805
; %bb.5800:                             ;   in Loop: Header=BB2_5483 Depth=2
	v_cmp_ne_u16_sdwa s[90:91], v10, s48 src0_sel:BYTE_0 src1_sel:DWORD
	v_bfrev_b32_e32 v2, 1
	s_and_saveexec_b64 s[88:89], s[90:91]
	s_cbranch_execz .LBB2_5804
; %bb.5801:                             ;   in Loop: Header=BB2_5483 Depth=2
	v_bfe_u32 v6, v13, 16, 7
	v_cmp_ne_u32_e32 vcc, s39, v6
	v_mov_b32_e32 v2, 0x7f800001
	s_and_saveexec_b64 s[90:91], vcc
	s_cbranch_execz .LBB2_5803
; %bb.5802:                             ;   in Loop: Header=BB2_5483 Depth=2
	v_and_b32_e32 v2, 7, v10
	v_lshrrev_b32_e32 v8, 3, v6
	v_cmp_gt_u32_e32 vcc, 8, v6
	v_ffbh_u32_e32 v6, v2
	v_min_u32_e32 v9, 32, v6
	v_subrev_u32_e32 v6, 28, v9
	v_lshlrev_b64 v[6:7], v6, v[10:11]
	v_sub_u32_e32 v7, 29, v9
	v_and_b32_e32 v6, 7, v6
	v_cndmask_b32_e32 v7, v8, v7, vcc
	v_cndmask_b32_e32 v2, v2, v6, vcc
	v_lshlrev_b32_e32 v6, 24, v10
	v_lshlrev_b32_e32 v2, 20, v2
	v_and_b32_e32 v6, 0x80000000, v6
	v_lshl_add_u32 v7, v7, 23, v59
	v_or3_b32 v2, v6, v7, v2
.LBB2_5803:                             ;   in Loop: Header=BB2_5483 Depth=2
	s_or_b64 exec, exec, s[90:91]
.LBB2_5804:                             ;   in Loop: Header=BB2_5483 Depth=2
	s_or_b64 exec, exec, s[88:89]
.LBB2_5805:                             ;   in Loop: Header=BB2_5483 Depth=2
	s_or_b64 exec, exec, s[22:23]
	v_mul_f32_e32 v2, v20, v2
	v_and_b32_e32 v32, 0x7f800000, v2
	v_cmp_ne_u64_e32 vcc, s[46:47], v[32:33]
                                        ; implicit-def: $vgpr53
	s_and_saveexec_b64 s[22:23], vcc
	s_xor_b64 s[88:89], exec, s[22:23]
	s_cbranch_execz .LBB2_5819
; %bb.5806:                             ;   in Loop: Header=BB2_5483 Depth=2
	v_and_b32_e32 v32, 0x7fffffff, v2
	v_cmp_gt_u64_e32 vcc, s[56:57], v[32:33]
	v_and_b32_sdwa v55, v2, s48 dst_sel:DWORD dst_unused:UNUSED_PAD src0_sel:BYTE_3 src1_sel:DWORD
                                        ; implicit-def: $vgpr53
	s_and_saveexec_b64 s[22:23], vcc
	s_xor_b64 s[90:91], exec, s[22:23]
	s_cbranch_execz .LBB2_5816
; %bb.5807:                             ;   in Loop: Header=BB2_5483 Depth=2
	v_mov_b32_e32 v53, 0
	v_cmp_ne_u32_e32 vcc, 0, v2
	s_and_saveexec_b64 s[92:93], vcc
	s_cbranch_execz .LBB2_5815
; %bb.5808:                             ;   in Loop: Header=BB2_5483 Depth=2
	v_and_b32_e32 v7, 0x7fffff, v2
	v_bfe_u32 v2, v2, 23, 8
	v_cmp_gt_u32_e64 s[22:23], s49, v2
	v_sub_u32_e32 v6, 0x79, v2
	v_cmp_eq_u32_e32 vcc, 0, v2
	v_cndmask_b32_e64 v6, 0, v6, s[22:23]
	v_or_b32_e32 v8, 0x800000, v7
	v_cndmask_b32_e32 v6, v6, v60, vcc
	v_cndmask_b32_e32 v32, v8, v7, vcc
	v_add_u32_e32 v7, 20, v6
	v_lshlrev_b64 v[7:8], v7, -1
	v_add_u32_e32 v9, 19, v6
	v_lshlrev_b64 v[9:10], v9, 1
	v_bfi_b32 v8, v8, 0, 0
	v_bfi_b32 v7, v7, 0, v32
	v_cmp_eq_u64_e64 s[22:23], v[7:8], v[9:10]
	v_lshrrev_b64 v[10:11], v6, v[32:33]
	v_mov_b32_e32 v54, v11
	v_mov_b32_e32 v53, v10
	s_and_saveexec_b64 s[94:95], s[22:23]
; %bb.5809:                             ;   in Loop: Header=BB2_5483 Depth=2
	v_bfe_u32 v7, v10, 20, 1
	v_add_co_u32_e64 v7, s[22:23], v10, v7
	v_add_co_u32_e64 v53, s[22:23], -1, v7
; %bb.5810:                             ;   in Loop: Header=BB2_5483 Depth=2
	s_or_b64 exec, exec, s[94:95]
	v_add_u32_e32 v2, 0xffffff81, v2
	v_cndmask_b32_e32 v2, v2, v61, vcc
	v_lshrrev_b32_e32 v7, 23, v10
	v_add3_u32 v7, v6, v2, v7
	v_add_u32_e32 v6, 6, v7
	v_and_b32_e32 v2, 0xfffff, v53
	v_add_u32_e32 v32, v2, v10
	v_cmp_ne_u32_e32 vcc, 0, v6
                                        ; implicit-def: $vgpr10_vgpr11
                                        ; implicit-def: $vgpr2
	s_and_saveexec_b64 s[22:23], vcc
	s_xor_b64 s[22:23], exec, s[22:23]
; %bb.5811:                             ;   in Loop: Header=BB2_5483 Depth=2
	v_cmp_lt_u64_e32 vcc, s[58:59], v[32:33]
	v_add_u32_e32 v2, 7, v7
	v_cndmask_b32_e32 v2, v6, v2, vcc
	v_cndmask_b32_e64 v6, 0, 1, vcc
	v_lshrrev_b64 v[10:11], v6, v[32:33]
; %bb.5812:                             ;   in Loop: Header=BB2_5483 Depth=2
	s_andn2_saveexec_b64 s[22:23], s[22:23]
; %bb.5813:                             ;   in Loop: Header=BB2_5483 Depth=2
	v_mov_b32_e32 v10, v32
	v_bfe_u32 v2, v32, 23, 1
	v_mov_b32_e32 v11, v33
; %bb.5814:                             ;   in Loop: Header=BB2_5483 Depth=2
	s_or_b64 exec, exec, s[22:23]
	v_lshrrev_b64 v[6:7], 20, v[10:11]
	v_cmp_gt_i32_e32 vcc, 16, v2
	v_cndmask_b32_e32 v7, 0, v7, vcc
	v_cndmask_b32_e32 v6, 7, v6, vcc
	v_cmp_eq_u32_e32 vcc, 0, v2
	v_min_i32_e32 v2, 15, v2
	v_cmp_eq_u64_e64 s[22:23], 0, v[6:7]
	v_lshlrev_b32_e32 v2, 3, v2
	v_and_b32_e32 v2, 0xf8, v2
	v_and_or_b32 v2, v6, 7, v2
	s_and_b64 s[22:23], vcc, s[22:23]
	v_cndmask_b32_e64 v2, v2, 0, s[22:23]
	v_or_b32_e32 v53, v2, v55
.LBB2_5815:                             ;   in Loop: Header=BB2_5483 Depth=2
	s_or_b64 exec, exec, s[92:93]
                                        ; implicit-def: $vgpr55
.LBB2_5816:                             ;   in Loop: Header=BB2_5483 Depth=2
	s_andn2_saveexec_b64 s[22:23], s[90:91]
; %bb.5817:                             ;   in Loop: Header=BB2_5483 Depth=2
	v_or_b32_e32 v53, 0x7e, v55
; %bb.5818:                             ;   in Loop: Header=BB2_5483 Depth=2
	s_or_b64 exec, exec, s[22:23]
                                        ; implicit-def: $vgpr2
.LBB2_5819:                             ;   in Loop: Header=BB2_5483 Depth=2
	s_andn2_saveexec_b64 s[22:23], s[88:89]
; %bb.5820:                             ;   in Loop: Header=BB2_5483 Depth=2
	v_or_b32_sdwa v53, v2, s39 dst_sel:DWORD dst_unused:UNUSED_PAD src0_sel:BYTE_3 src1_sel:DWORD
; %bb.5821:                             ;   in Loop: Header=BB2_5483 Depth=2
	s_or_b64 exec, exec, s[22:23]
	v_cmp_lt_u64_e32 vcc, s[60:61], v[12:13]
	v_mov_b32_e32 v2, 0
	s_and_saveexec_b64 s[22:23], vcc
	s_cbranch_execz .LBB2_5827
; %bb.5822:                             ;   in Loop: Header=BB2_5483 Depth=2
	v_lshrrev_b32_e32 v10, 24, v13
	v_cmp_ne_u32_e32 vcc, s48, v10
	v_bfrev_b32_e32 v2, 1
	s_and_saveexec_b64 s[88:89], vcc
	s_cbranch_execz .LBB2_5826
; %bb.5823:                             ;   in Loop: Header=BB2_5483 Depth=2
	v_bfe_u32 v6, v13, 24, 7
	v_cmp_ne_u32_e32 vcc, s39, v6
	v_mov_b32_e32 v2, 0x7f800001
	s_and_saveexec_b64 s[90:91], vcc
	s_cbranch_execz .LBB2_5825
; %bb.5824:                             ;   in Loop: Header=BB2_5483 Depth=2
	v_and_b32_e32 v2, 7, v10
	v_lshrrev_b32_e32 v8, 3, v6
	v_cmp_gt_u32_e32 vcc, 8, v6
	v_ffbh_u32_e32 v6, v2
	v_min_u32_e32 v9, 32, v6
	v_subrev_u32_e32 v6, 28, v9
	v_lshlrev_b64 v[6:7], v6, v[10:11]
	v_sub_u32_e32 v7, 29, v9
	v_and_b32_e32 v6, 7, v6
	v_cndmask_b32_e32 v7, v8, v7, vcc
	v_cndmask_b32_e32 v2, v2, v6, vcc
	v_lshlrev_b32_e32 v6, 24, v10
	v_lshlrev_b32_e32 v2, 20, v2
	v_and_b32_e32 v6, 0x80000000, v6
	v_lshl_add_u32 v7, v7, 23, v59
	v_or3_b32 v2, v6, v7, v2
.LBB2_5825:                             ;   in Loop: Header=BB2_5483 Depth=2
	s_or_b64 exec, exec, s[90:91]
.LBB2_5826:                             ;   in Loop: Header=BB2_5483 Depth=2
	s_or_b64 exec, exec, s[88:89]
.LBB2_5827:                             ;   in Loop: Header=BB2_5483 Depth=2
	s_or_b64 exec, exec, s[22:23]
	v_mul_f32_e32 v10, v20, v2
	v_and_b32_e32 v32, 0x7f800000, v10
	v_cmp_ne_u64_e32 vcc, s[46:47], v[32:33]
                                        ; implicit-def: $vgpr2
	s_and_saveexec_b64 s[22:23], vcc
	s_xor_b64 s[88:89], exec, s[22:23]
	s_cbranch_execz .LBB2_5841
; %bb.5828:                             ;   in Loop: Header=BB2_5483 Depth=2
	v_and_b32_e32 v32, 0x7fffffff, v10
	v_cmp_gt_u64_e32 vcc, s[56:57], v[32:33]
	v_and_b32_sdwa v13, v10, s48 dst_sel:DWORD dst_unused:UNUSED_PAD src0_sel:BYTE_3 src1_sel:DWORD
                                        ; implicit-def: $vgpr2
	s_and_saveexec_b64 s[22:23], vcc
	s_xor_b64 s[90:91], exec, s[22:23]
	s_cbranch_execz .LBB2_5838
; %bb.5829:                             ;   in Loop: Header=BB2_5483 Depth=2
	v_mov_b32_e32 v2, 0
	v_cmp_ne_u32_e32 vcc, 0, v10
	s_and_saveexec_b64 s[92:93], vcc
	s_cbranch_execz .LBB2_5837
; %bb.5830:                             ;   in Loop: Header=BB2_5483 Depth=2
	v_bfe_u32 v2, v10, 23, 8
	v_cmp_gt_u32_e64 s[22:23], s49, v2
	v_sub_u32_e32 v6, 0x79, v2
	v_and_b32_e32 v7, 0x7fffff, v10
	v_cmp_eq_u32_e32 vcc, 0, v2
	v_cndmask_b32_e64 v6, 0, v6, s[22:23]
	v_or_b32_e32 v8, 0x800000, v7
	v_cndmask_b32_e32 v6, v6, v60, vcc
	v_cndmask_b32_e32 v32, v8, v7, vcc
	v_add_u32_e32 v7, 20, v6
	v_lshlrev_b64 v[7:8], v7, -1
	v_add_u32_e32 v9, 19, v6
	v_lshlrev_b64 v[9:10], v9, 1
	v_bfi_b32 v8, v8, 0, 0
	v_bfi_b32 v7, v7, 0, v32
	v_cmp_eq_u64_e64 s[22:23], v[7:8], v[9:10]
	v_lshrrev_b64 v[10:11], v6, v[32:33]
	v_mov_b32_e32 v12, v11
	v_mov_b32_e32 v11, v10
	s_and_saveexec_b64 s[94:95], s[22:23]
; %bb.5831:                             ;   in Loop: Header=BB2_5483 Depth=2
	v_bfe_u32 v7, v10, 20, 1
	v_add_co_u32_e64 v7, s[22:23], v10, v7
	v_add_co_u32_e64 v11, s[22:23], -1, v7
; %bb.5832:                             ;   in Loop: Header=BB2_5483 Depth=2
	s_or_b64 exec, exec, s[94:95]
	v_add_u32_e32 v2, 0xffffff81, v2
	v_cndmask_b32_e32 v2, v2, v61, vcc
	v_lshrrev_b32_e32 v7, 23, v10
	v_add3_u32 v7, v6, v2, v7
	v_add_u32_e32 v6, 6, v7
	v_and_b32_e32 v2, 0xfffff, v11
	v_add_u32_e32 v32, v2, v10
	v_cmp_ne_u32_e32 vcc, 0, v6
                                        ; implicit-def: $vgpr10_vgpr11
                                        ; implicit-def: $vgpr2
	s_and_saveexec_b64 s[22:23], vcc
	s_xor_b64 s[22:23], exec, s[22:23]
; %bb.5833:                             ;   in Loop: Header=BB2_5483 Depth=2
	v_cmp_lt_u64_e32 vcc, s[58:59], v[32:33]
	v_add_u32_e32 v2, 7, v7
	v_cndmask_b32_e32 v2, v6, v2, vcc
	v_cndmask_b32_e64 v6, 0, 1, vcc
	v_lshrrev_b64 v[10:11], v6, v[32:33]
; %bb.5834:                             ;   in Loop: Header=BB2_5483 Depth=2
	s_andn2_saveexec_b64 s[22:23], s[22:23]
; %bb.5835:                             ;   in Loop: Header=BB2_5483 Depth=2
	v_mov_b32_e32 v10, v32
	v_bfe_u32 v2, v32, 23, 1
	v_mov_b32_e32 v11, v33
; %bb.5836:                             ;   in Loop: Header=BB2_5483 Depth=2
	s_or_b64 exec, exec, s[22:23]
	v_lshrrev_b64 v[6:7], 20, v[10:11]
	v_cmp_gt_i32_e32 vcc, 16, v2
	v_cndmask_b32_e32 v7, 0, v7, vcc
	v_cndmask_b32_e32 v6, 7, v6, vcc
	v_cmp_eq_u32_e32 vcc, 0, v2
	v_min_i32_e32 v2, 15, v2
	v_cmp_eq_u64_e64 s[22:23], 0, v[6:7]
	v_lshlrev_b32_e32 v2, 3, v2
	v_and_b32_e32 v2, 0xf8, v2
	v_and_or_b32 v2, v6, 7, v2
	s_and_b64 s[22:23], vcc, s[22:23]
	v_cndmask_b32_e64 v2, v2, 0, s[22:23]
	v_or_b32_e32 v2, v2, v13
.LBB2_5837:                             ;   in Loop: Header=BB2_5483 Depth=2
	s_or_b64 exec, exec, s[92:93]
                                        ; implicit-def: $vgpr13
.LBB2_5838:                             ;   in Loop: Header=BB2_5483 Depth=2
	s_andn2_saveexec_b64 s[22:23], s[90:91]
; %bb.5839:                             ;   in Loop: Header=BB2_5483 Depth=2
	v_or_b32_e32 v2, 0x7e, v13
; %bb.5840:                             ;   in Loop: Header=BB2_5483 Depth=2
	s_or_b64 exec, exec, s[22:23]
                                        ; implicit-def: $vgpr10
.LBB2_5841:                             ;   in Loop: Header=BB2_5483 Depth=2
	s_andn2_saveexec_b64 s[22:23], s[88:89]
	s_cbranch_execz .LBB2_5482
; %bb.5842:                             ;   in Loop: Header=BB2_5483 Depth=2
	v_or_b32_sdwa v2, v10, s39 dst_sel:DWORD dst_unused:UNUSED_PAD src0_sel:BYTE_3 src1_sel:DWORD
	s_branch .LBB2_5482
.LBB2_5843:                             ;   in Loop: Header=BB2_4691 Depth=1
	s_or_b64 exec, exec, s[78:79]
.LBB2_5844:                             ;   in Loop: Header=BB2_4691 Depth=1
	s_or_b64 exec, exec, s[76:77]
	buffer_load_dword v5, off, s[0:3], s33 offset:148 ; 4-byte Folded Reload
	v_cmp_lt_i32_e32 vcc, 0, v3
	s_waitcnt vmcnt(0)
	v_and_b32_e32 v2, 15, v5
	v_cndmask_b32_e64 v1, v1, v2, s[20:21]
	buffer_load_dword v2, off, s[0:3], s33 offset:84 ; 4-byte Folded Reload
	v_and_b32_e32 v4, 0x3f0, v5
	v_cndmask_b32_e64 v4, 0, v4, s[20:21]
	v_and_or_b32 v14, v5, s50, v4
	s_waitcnt vmcnt(0)
	v_cndmask_b32_e32 v2, 0, v2, vcc
	v_sub_u32_e32 v2, v2, v3
	v_cmp_ne_u32_e32 vcc, 0, v1
	v_lshl_add_u32 v0, v2, 6, v0
	s_and_b64 s[20:21], vcc, exec
.LBB2_5845:                             ;   in Loop: Header=BB2_4691 Depth=1
	s_or_b64 exec, exec, s[74:75]
	buffer_load_dword v45, off, s[0:3], s33 offset:176 ; 4-byte Folded Reload
	buffer_load_dword v16, off, s[0:3], s33 offset:168 ; 4-byte Folded Reload
	;; [unrolled: 1-line block ×3, first 2 shown]
	s_and_saveexec_b64 s[22:23], s[20:21]
	s_cbranch_execz .LBB2_6098
.LBB2_5846:                             ;   in Loop: Header=BB2_4691 Depth=1
	s_waitcnt vmcnt(1)
	v_ashrrev_i32_e32 v2, 31, v0
	v_lshrrev_b32_e32 v2, 26, v2
	v_add_u32_e32 v2, v0, v2
	v_ashrrev_i32_e32 v3, 6, v2
	v_lshrrev_b32_e32 v4, 9, v1
	v_sub_u32_e32 v15, v4, v3
	v_cmp_lt_i32_e32 vcc, 0, v15
	s_and_saveexec_b64 s[74:75], vcc
	s_cbranch_execz .LBB2_6063
; %bb.5847:                             ;   in Loop: Header=BB2_4691 Depth=1
	v_and_b32_e32 v2, 0xffffffc0, v2
	v_sub_u32_e32 v2, v0, v2
	v_lshlrev_b32_e32 v4, 9, v3
	v_add3_u32 v16, v14, v2, v4
	s_waitcnt vmcnt(0)
	v_ashrrev_i32_e32 v17, 31, v16
	s_mov_b64 s[76:77], 0
	s_branch .LBB2_5849
.LBB2_5848:                             ;   in Loop: Header=BB2_5849 Depth=2
	s_or_b64 exec, exec, s[20:21]
	v_add_co_u32_e32 v6, vcc, v16, v51
	v_addc_co_u32_e32 v7, vcc, v17, v52, vcc
	flat_store_byte v[6:7], v20 glc slc
	flat_store_byte v[6:7], v21 offset:64 glc slc
	flat_store_byte v[6:7], v4 offset:128 glc slc
	;; [unrolled: 1-line block ×7, first 2 shown]
	buffer_load_dword v2, off, s[0:3], s33 offset:84 ; 4-byte Folded Reload
	s_waitcnt vmcnt(0)
	v_sub_u32_e32 v15, v15, v2
	buffer_load_dword v2, off, s[0:3], s33 offset:112 ; 4-byte Folded Reload
	s_waitcnt vmcnt(0)
	v_add_co_u32_e32 v49, vcc, v49, v2
	v_addc_co_u32_e32 v50, vcc, 0, v50, vcc
	v_cmp_gt_i32_e32 vcc, 1, v15
	s_or_b64 s[76:77], vcc, s[76:77]
	v_add_co_u32_e32 v51, vcc, v51, v2
	v_addc_co_u32_e32 v52, vcc, 0, v52, vcc
	s_andn2_b64 exec, exec, s[76:77]
	s_cbranch_execz .LBB2_6062
.LBB2_5849:                             ;   Parent Loop BB2_4691 Depth=1
                                        ; =>  This Inner Loop Header: Depth=2
	s_trap 2
	ds_read_b64 v[10:11], v0
	s_waitcnt lgkmcnt(0)
	v_cmp_eq_u32_sdwa s[78:79], v10, v33 src0_sel:BYTE_0 src1_sel:DWORD
	v_readfirstlane_b32 s20, v10
	s_and_b64 vcc, exec, s[78:79]
	v_readfirstlane_b32 s21, v11
	s_cbranch_vccnz .LBB2_5853
; %bb.5850:                             ;   in Loop: Header=BB2_5849 Depth=2
	v_cmp_eq_u32_sdwa s[78:79], v10, s48 src0_sel:BYTE_0 src1_sel:DWORD
	s_and_b64 vcc, exec, s[78:79]
	s_brev_b32 s94, 1
	s_cbranch_vccnz .LBB2_5854
; %bb.5851:                             ;   in Loop: Header=BB2_5849 Depth=2
	s_and_b32 s78, s20, 0x7f
	s_cmpk_eq_i32 s78, 0x7f
	s_mov_b32 s94, 0x7f800001
	s_cbranch_scc1 .LBB2_5854
; %bb.5852:                             ;   in Loop: Header=BB2_5849 Depth=2
	s_and_b32 s79, s20, 7
	s_flbit_i32_b32 s79, s79
	s_min_u32 s79, s79, 32
	s_lshr_b32 s88, s78, 3
	s_sub_i32 s89, s79, 28
	s_sub_i32 s79, 29, s79
	s_cmp_lt_u32 s78, 8
	s_cselect_b32 s78, s89, 0
	s_cselect_b32 s88, s79, s88
	s_lshl_b64 s[78:79], s[20:21], s78
	s_lshl_b32 s21, s78, 20
	s_lshl_b32 s20, s20, 24
	;; [unrolled: 1-line block ×3, first 2 shown]
	s_and_b32 s20, s20, 0x80000000
	s_add_i32 s78, s78, 0x3c000000
	s_and_b32 s21, s21, 0x700000
	s_or_b32 s20, s20, s78
	s_or_b32 s94, s20, s21
	s_branch .LBB2_5854
.LBB2_5853:                             ;   in Loop: Header=BB2_5849 Depth=2
	s_mov_b32 s94, 0
.LBB2_5854:                             ;   in Loop: Header=BB2_5849 Depth=2
	v_add_co_u32_e32 v10, vcc, v16, v49
	v_addc_co_u32_e32 v11, vcc, v17, v50, vcc
	flat_load_ubyte v2, v[10:11] glc slc
	v_mov_b32_e32 v4, 0
	s_waitcnt vmcnt(0) lgkmcnt(0)
	v_cmp_ne_u16_e32 vcc, 0, v2
	s_and_saveexec_b64 s[20:21], vcc
	s_cbranch_execz .LBB2_5860
; %bb.5855:                             ;   in Loop: Header=BB2_5849 Depth=2
	v_cmp_ne_u16_e32 vcc, s48, v2
	v_bfrev_b32_e32 v4, 1
	s_and_saveexec_b64 s[78:79], vcc
	s_cbranch_execz .LBB2_5859
; %bb.5856:                             ;   in Loop: Header=BB2_5849 Depth=2
	v_and_b32_e32 v12, 0xffff, v2
	v_and_b32_e32 v5, 0x7f, v12
	v_cmp_ne_u32_e32 vcc, s39, v5
	v_mov_b32_e32 v4, 0x7f800001
	s_and_saveexec_b64 s[88:89], vcc
	s_cbranch_execz .LBB2_5858
; %bb.5857:                             ;   in Loop: Header=BB2_5849 Depth=2
	v_and_b32_e32 v6, 7, v12
	v_ffbh_u32_e32 v4, v6
	v_min_u32_e32 v8, 32, v4
	v_subrev_u32_e32 v4, 28, v8
	v_lshrrev_b32_e32 v7, 3, v5
	v_cmp_gt_u32_e32 vcc, 8, v5
	v_lshlrev_b64 v[4:5], v4, v[12:13]
	v_sub_u32_e32 v5, 29, v8
	v_and_b32_e32 v4, 7, v4
	v_cndmask_b32_e32 v5, v7, v5, vcc
	v_cndmask_b32_e32 v4, v6, v4, vcc
	v_lshlrev_b32_e32 v2, 24, v2
	v_lshlrev_b32_e32 v4, 20, v4
	v_and_b32_e32 v2, 0x80000000, v2
	v_lshl_add_u32 v5, v5, 23, v59
	v_or3_b32 v4, v2, v5, v4
.LBB2_5858:                             ;   in Loop: Header=BB2_5849 Depth=2
	s_or_b64 exec, exec, s[88:89]
.LBB2_5859:                             ;   in Loop: Header=BB2_5849 Depth=2
	s_or_b64 exec, exec, s[78:79]
.LBB2_5860:                             ;   in Loop: Header=BB2_5849 Depth=2
	s_or_b64 exec, exec, s[20:21]
	v_mul_f32_e32 v2, s94, v4
	v_and_b32_e32 v32, 0x7f800000, v2
	v_cmp_ne_u64_e32 vcc, s[46:47], v[32:33]
                                        ; implicit-def: $vgpr20
	s_and_saveexec_b64 s[20:21], vcc
	s_xor_b64 s[78:79], exec, s[20:21]
	s_cbranch_execz .LBB2_5878
; %bb.5861:                             ;   in Loop: Header=BB2_5849 Depth=2
	v_and_b32_e32 v32, 0x7fffffff, v2
	v_cmp_gt_u64_e32 vcc, s[56:57], v[32:33]
	v_and_b32_sdwa v4, v2, s48 dst_sel:DWORD dst_unused:UNUSED_PAD src0_sel:BYTE_3 src1_sel:DWORD
                                        ; implicit-def: $vgpr20
	s_and_saveexec_b64 s[20:21], vcc
	s_xor_b64 s[88:89], exec, s[20:21]
	s_cbranch_execz .LBB2_5875
; %bb.5862:                             ;   in Loop: Header=BB2_5849 Depth=2
	v_cmp_ne_u32_e32 vcc, 0, v2
	v_mov_b32_e32 v20, 0
	s_and_saveexec_b64 s[90:91], vcc
	s_cbranch_execz .LBB2_5874
; %bb.5863:                             ;   in Loop: Header=BB2_5849 Depth=2
	v_and_b32_e32 v6, 0x7fffff, v2
	v_bfe_u32 v2, v2, 23, 8
	v_cmp_gt_u32_e64 s[20:21], s49, v2
	v_sub_u32_e32 v5, 0x79, v2
	v_cmp_eq_u32_e32 vcc, 0, v2
	v_cndmask_b32_e64 v5, 0, v5, s[20:21]
	v_or_b32_e32 v7, 0x800000, v6
	v_cndmask_b32_e32 v5, v5, v60, vcc
	v_cndmask_b32_e32 v32, v7, v6, vcc
	v_add_u32_e32 v6, 20, v5
	v_lshlrev_b64 v[6:7], v6, -1
	v_add_u32_e32 v8, 19, v5
	v_lshlrev_b64 v[8:9], v8, 1
	v_lshrrev_b64 v[12:13], v5, v[32:33]
	v_bfi_b32 v7, v7, 0, 0
	v_bfi_b32 v6, v6, 0, v32
	v_cmp_eq_u64_e64 s[20:21], v[6:7], v[8:9]
	v_mov_b32_e32 v54, v13
	v_mov_b32_e32 v53, v12
	s_and_saveexec_b64 s[92:93], s[20:21]
; %bb.5864:                             ;   in Loop: Header=BB2_5849 Depth=2
	v_bfe_u32 v6, v12, 20, 1
	v_add_co_u32_e64 v6, s[20:21], v12, v6
	v_add_co_u32_e64 v53, s[20:21], -1, v6
; %bb.5865:                             ;   in Loop: Header=BB2_5849 Depth=2
	s_or_b64 exec, exec, s[92:93]
	v_add_u32_e32 v2, 0xffffff81, v2
	v_cndmask_b32_e32 v2, v2, v61, vcc
	v_lshrrev_b32_e32 v6, 23, v12
	v_add3_u32 v6, v5, v2, v6
	v_add_u32_e32 v5, 6, v6
	v_and_b32_e32 v2, 0xfffff, v53
	v_add_u32_e32 v32, v2, v12
	v_cmp_ne_u32_e32 vcc, 0, v5
                                        ; implicit-def: $vgpr12_vgpr13
                                        ; implicit-def: $vgpr2
	s_and_saveexec_b64 s[20:21], vcc
	s_xor_b64 s[20:21], exec, s[20:21]
; %bb.5866:                             ;   in Loop: Header=BB2_5849 Depth=2
	v_cmp_lt_u64_e32 vcc, s[58:59], v[32:33]
	v_add_u32_e32 v2, 7, v6
	v_cndmask_b32_e32 v2, v5, v2, vcc
	v_cndmask_b32_e64 v5, 0, 1, vcc
	v_lshrrev_b64 v[12:13], v5, v[32:33]
; %bb.5867:                             ;   in Loop: Header=BB2_5849 Depth=2
	s_andn2_saveexec_b64 s[20:21], s[20:21]
; %bb.5868:                             ;   in Loop: Header=BB2_5849 Depth=2
	v_mov_b32_e32 v12, v32
	v_bfe_u32 v2, v32, 23, 1
	v_mov_b32_e32 v13, v33
; %bb.5869:                             ;   in Loop: Header=BB2_5849 Depth=2
	s_or_b64 exec, exec, s[20:21]
	v_lshrrev_b64 v[5:6], 20, v[12:13]
	v_cmp_gt_i32_e32 vcc, 16, v2
	v_cndmask_b32_e32 v13, 0, v6, vcc
	v_cndmask_b32_e32 v12, 7, v5, vcc
	v_cmp_ne_u64_e32 vcc, 0, v[12:13]
	v_cmp_ne_u32_e64 s[20:21], 0, v2
	s_or_b64 s[20:21], s[20:21], vcc
                                        ; implicit-def: $vgpr20
	s_and_saveexec_b64 s[92:93], s[20:21]
	s_xor_b64 s[20:21], exec, s[92:93]
; %bb.5870:                             ;   in Loop: Header=BB2_5849 Depth=2
	v_min_i32_e32 v2, 15, v2
	v_lshl_or_b32 v2, v2, 3, v4
	v_and_or_b32 v20, v12, 7, v2
                                        ; implicit-def: $vgpr4
; %bb.5871:                             ;   in Loop: Header=BB2_5849 Depth=2
	s_andn2_saveexec_b64 s[20:21], s[20:21]
; %bb.5872:                             ;   in Loop: Header=BB2_5849 Depth=2
	v_mov_b32_e32 v20, v4
; %bb.5873:                             ;   in Loop: Header=BB2_5849 Depth=2
	s_or_b64 exec, exec, s[20:21]
.LBB2_5874:                             ;   in Loop: Header=BB2_5849 Depth=2
	s_or_b64 exec, exec, s[90:91]
                                        ; implicit-def: $vgpr4
.LBB2_5875:                             ;   in Loop: Header=BB2_5849 Depth=2
	s_andn2_saveexec_b64 s[20:21], s[88:89]
; %bb.5876:                             ;   in Loop: Header=BB2_5849 Depth=2
	v_or_b32_e32 v20, 0x7e, v4
; %bb.5877:                             ;   in Loop: Header=BB2_5849 Depth=2
	s_or_b64 exec, exec, s[20:21]
                                        ; implicit-def: $vgpr2
.LBB2_5878:                             ;   in Loop: Header=BB2_5849 Depth=2
	s_andn2_saveexec_b64 s[20:21], s[78:79]
; %bb.5879:                             ;   in Loop: Header=BB2_5849 Depth=2
	v_or_b32_sdwa v20, v2, s39 dst_sel:DWORD dst_unused:UNUSED_PAD src0_sel:BYTE_3 src1_sel:DWORD
; %bb.5880:                             ;   in Loop: Header=BB2_5849 Depth=2
	s_or_b64 exec, exec, s[20:21]
	flat_load_ubyte v2, v[10:11] offset:64 glc slc
	v_mov_b32_e32 v4, 0
	s_waitcnt vmcnt(0) lgkmcnt(0)
	v_cmp_ne_u16_e32 vcc, 0, v2
	s_and_saveexec_b64 s[20:21], vcc
	s_cbranch_execz .LBB2_5886
; %bb.5881:                             ;   in Loop: Header=BB2_5849 Depth=2
	v_cmp_ne_u16_e32 vcc, s48, v2
	v_bfrev_b32_e32 v4, 1
	s_and_saveexec_b64 s[78:79], vcc
	s_cbranch_execz .LBB2_5885
; %bb.5882:                             ;   in Loop: Header=BB2_5849 Depth=2
	v_and_b32_e32 v12, 0xffff, v2
	v_and_b32_e32 v5, 0x7f, v12
	v_cmp_ne_u32_e32 vcc, s39, v5
	v_mov_b32_e32 v4, 0x7f800001
	s_and_saveexec_b64 s[88:89], vcc
	s_cbranch_execz .LBB2_5884
; %bb.5883:                             ;   in Loop: Header=BB2_5849 Depth=2
	v_and_b32_e32 v6, 7, v12
	v_ffbh_u32_e32 v4, v6
	v_min_u32_e32 v8, 32, v4
	v_subrev_u32_e32 v4, 28, v8
	v_lshrrev_b32_e32 v7, 3, v5
	v_cmp_gt_u32_e32 vcc, 8, v5
	v_lshlrev_b64 v[4:5], v4, v[12:13]
	v_sub_u32_e32 v5, 29, v8
	v_and_b32_e32 v4, 7, v4
	v_cndmask_b32_e32 v5, v7, v5, vcc
	v_cndmask_b32_e32 v4, v6, v4, vcc
	v_lshlrev_b32_e32 v2, 24, v2
	v_lshlrev_b32_e32 v4, 20, v4
	v_and_b32_e32 v2, 0x80000000, v2
	v_lshl_add_u32 v5, v5, 23, v59
	v_or3_b32 v4, v2, v5, v4
.LBB2_5884:                             ;   in Loop: Header=BB2_5849 Depth=2
	s_or_b64 exec, exec, s[88:89]
.LBB2_5885:                             ;   in Loop: Header=BB2_5849 Depth=2
	s_or_b64 exec, exec, s[78:79]
.LBB2_5886:                             ;   in Loop: Header=BB2_5849 Depth=2
	s_or_b64 exec, exec, s[20:21]
	v_mul_f32_e32 v2, s94, v4
	v_and_b32_e32 v32, 0x7f800000, v2
	v_cmp_ne_u64_e32 vcc, s[46:47], v[32:33]
                                        ; implicit-def: $vgpr21
	s_and_saveexec_b64 s[20:21], vcc
	s_xor_b64 s[78:79], exec, s[20:21]
	s_cbranch_execz .LBB2_5904
; %bb.5887:                             ;   in Loop: Header=BB2_5849 Depth=2
	v_and_b32_e32 v32, 0x7fffffff, v2
	v_cmp_gt_u64_e32 vcc, s[56:57], v[32:33]
	v_and_b32_sdwa v4, v2, s48 dst_sel:DWORD dst_unused:UNUSED_PAD src0_sel:BYTE_3 src1_sel:DWORD
                                        ; implicit-def: $vgpr21
	s_and_saveexec_b64 s[20:21], vcc
	s_xor_b64 s[88:89], exec, s[20:21]
	s_cbranch_execz .LBB2_5901
; %bb.5888:                             ;   in Loop: Header=BB2_5849 Depth=2
	v_cmp_ne_u32_e32 vcc, 0, v2
	v_mov_b32_e32 v21, 0
	s_and_saveexec_b64 s[90:91], vcc
	s_cbranch_execz .LBB2_5900
; %bb.5889:                             ;   in Loop: Header=BB2_5849 Depth=2
	v_and_b32_e32 v6, 0x7fffff, v2
	v_bfe_u32 v2, v2, 23, 8
	v_cmp_gt_u32_e64 s[20:21], s49, v2
	v_sub_u32_e32 v5, 0x79, v2
	v_cmp_eq_u32_e32 vcc, 0, v2
	v_cndmask_b32_e64 v5, 0, v5, s[20:21]
	v_or_b32_e32 v7, 0x800000, v6
	v_cndmask_b32_e32 v5, v5, v60, vcc
	v_cndmask_b32_e32 v32, v7, v6, vcc
	v_add_u32_e32 v6, 20, v5
	v_lshlrev_b64 v[6:7], v6, -1
	v_add_u32_e32 v8, 19, v5
	v_lshlrev_b64 v[8:9], v8, 1
	v_lshrrev_b64 v[12:13], v5, v[32:33]
	v_bfi_b32 v7, v7, 0, 0
	v_bfi_b32 v6, v6, 0, v32
	v_cmp_eq_u64_e64 s[20:21], v[6:7], v[8:9]
	v_mov_b32_e32 v54, v13
	v_mov_b32_e32 v53, v12
	s_and_saveexec_b64 s[92:93], s[20:21]
; %bb.5890:                             ;   in Loop: Header=BB2_5849 Depth=2
	v_bfe_u32 v6, v12, 20, 1
	v_add_co_u32_e64 v6, s[20:21], v12, v6
	v_add_co_u32_e64 v53, s[20:21], -1, v6
; %bb.5891:                             ;   in Loop: Header=BB2_5849 Depth=2
	s_or_b64 exec, exec, s[92:93]
	v_add_u32_e32 v2, 0xffffff81, v2
	v_cndmask_b32_e32 v2, v2, v61, vcc
	v_lshrrev_b32_e32 v6, 23, v12
	v_add3_u32 v6, v5, v2, v6
	v_add_u32_e32 v5, 6, v6
	v_and_b32_e32 v2, 0xfffff, v53
	v_add_u32_e32 v32, v2, v12
	v_cmp_ne_u32_e32 vcc, 0, v5
                                        ; implicit-def: $vgpr12_vgpr13
                                        ; implicit-def: $vgpr2
	s_and_saveexec_b64 s[20:21], vcc
	s_xor_b64 s[20:21], exec, s[20:21]
; %bb.5892:                             ;   in Loop: Header=BB2_5849 Depth=2
	v_cmp_lt_u64_e32 vcc, s[58:59], v[32:33]
	v_add_u32_e32 v2, 7, v6
	v_cndmask_b32_e32 v2, v5, v2, vcc
	v_cndmask_b32_e64 v5, 0, 1, vcc
	v_lshrrev_b64 v[12:13], v5, v[32:33]
; %bb.5893:                             ;   in Loop: Header=BB2_5849 Depth=2
	s_andn2_saveexec_b64 s[20:21], s[20:21]
; %bb.5894:                             ;   in Loop: Header=BB2_5849 Depth=2
	v_mov_b32_e32 v12, v32
	v_bfe_u32 v2, v32, 23, 1
	v_mov_b32_e32 v13, v33
; %bb.5895:                             ;   in Loop: Header=BB2_5849 Depth=2
	s_or_b64 exec, exec, s[20:21]
	v_lshrrev_b64 v[5:6], 20, v[12:13]
	v_cmp_gt_i32_e32 vcc, 16, v2
	v_cndmask_b32_e32 v13, 0, v6, vcc
	v_cndmask_b32_e32 v12, 7, v5, vcc
	v_cmp_ne_u64_e32 vcc, 0, v[12:13]
	v_cmp_ne_u32_e64 s[20:21], 0, v2
	s_or_b64 s[20:21], s[20:21], vcc
                                        ; implicit-def: $vgpr21
	s_and_saveexec_b64 s[92:93], s[20:21]
	s_xor_b64 s[20:21], exec, s[92:93]
; %bb.5896:                             ;   in Loop: Header=BB2_5849 Depth=2
	v_min_i32_e32 v2, 15, v2
	v_lshl_or_b32 v2, v2, 3, v4
	v_and_or_b32 v21, v12, 7, v2
                                        ; implicit-def: $vgpr4
; %bb.5897:                             ;   in Loop: Header=BB2_5849 Depth=2
	s_andn2_saveexec_b64 s[20:21], s[20:21]
; %bb.5898:                             ;   in Loop: Header=BB2_5849 Depth=2
	v_mov_b32_e32 v21, v4
; %bb.5899:                             ;   in Loop: Header=BB2_5849 Depth=2
	s_or_b64 exec, exec, s[20:21]
.LBB2_5900:                             ;   in Loop: Header=BB2_5849 Depth=2
	s_or_b64 exec, exec, s[90:91]
                                        ; implicit-def: $vgpr4
.LBB2_5901:                             ;   in Loop: Header=BB2_5849 Depth=2
	s_andn2_saveexec_b64 s[20:21], s[88:89]
; %bb.5902:                             ;   in Loop: Header=BB2_5849 Depth=2
	v_or_b32_e32 v21, 0x7e, v4
; %bb.5903:                             ;   in Loop: Header=BB2_5849 Depth=2
	s_or_b64 exec, exec, s[20:21]
                                        ; implicit-def: $vgpr2
.LBB2_5904:                             ;   in Loop: Header=BB2_5849 Depth=2
	s_andn2_saveexec_b64 s[20:21], s[78:79]
; %bb.5905:                             ;   in Loop: Header=BB2_5849 Depth=2
	v_or_b32_sdwa v21, v2, s39 dst_sel:DWORD dst_unused:UNUSED_PAD src0_sel:BYTE_3 src1_sel:DWORD
; %bb.5906:                             ;   in Loop: Header=BB2_5849 Depth=2
	s_or_b64 exec, exec, s[20:21]
	flat_load_ubyte v2, v[10:11] offset:128 glc slc
	v_mov_b32_e32 v4, 0
	s_waitcnt vmcnt(0) lgkmcnt(0)
	v_cmp_ne_u16_e32 vcc, 0, v2
	s_and_saveexec_b64 s[20:21], vcc
	s_cbranch_execz .LBB2_5912
; %bb.5907:                             ;   in Loop: Header=BB2_5849 Depth=2
	v_cmp_ne_u16_e32 vcc, s48, v2
	v_bfrev_b32_e32 v4, 1
	s_and_saveexec_b64 s[78:79], vcc
	s_cbranch_execz .LBB2_5911
; %bb.5908:                             ;   in Loop: Header=BB2_5849 Depth=2
	v_and_b32_e32 v12, 0xffff, v2
	v_and_b32_e32 v5, 0x7f, v12
	v_cmp_ne_u32_e32 vcc, s39, v5
	v_mov_b32_e32 v4, 0x7f800001
	s_and_saveexec_b64 s[88:89], vcc
	s_cbranch_execz .LBB2_5910
; %bb.5909:                             ;   in Loop: Header=BB2_5849 Depth=2
	v_and_b32_e32 v6, 7, v12
	v_ffbh_u32_e32 v4, v6
	v_min_u32_e32 v8, 32, v4
	v_subrev_u32_e32 v4, 28, v8
	v_lshrrev_b32_e32 v7, 3, v5
	v_cmp_gt_u32_e32 vcc, 8, v5
	v_lshlrev_b64 v[4:5], v4, v[12:13]
	v_sub_u32_e32 v5, 29, v8
	v_and_b32_e32 v4, 7, v4
	v_cndmask_b32_e32 v5, v7, v5, vcc
	v_cndmask_b32_e32 v4, v6, v4, vcc
	v_lshlrev_b32_e32 v2, 24, v2
	v_lshlrev_b32_e32 v4, 20, v4
	v_and_b32_e32 v2, 0x80000000, v2
	v_lshl_add_u32 v5, v5, 23, v59
	v_or3_b32 v4, v2, v5, v4
.LBB2_5910:                             ;   in Loop: Header=BB2_5849 Depth=2
	s_or_b64 exec, exec, s[88:89]
.LBB2_5911:                             ;   in Loop: Header=BB2_5849 Depth=2
	s_or_b64 exec, exec, s[78:79]
.LBB2_5912:                             ;   in Loop: Header=BB2_5849 Depth=2
	s_or_b64 exec, exec, s[20:21]
	v_mul_f32_e32 v2, s94, v4
	v_and_b32_e32 v32, 0x7f800000, v2
	v_cmp_ne_u64_e32 vcc, s[46:47], v[32:33]
                                        ; implicit-def: $vgpr4
	s_and_saveexec_b64 s[20:21], vcc
	s_xor_b64 s[78:79], exec, s[20:21]
	s_cbranch_execz .LBB2_5930
; %bb.5913:                             ;   in Loop: Header=BB2_5849 Depth=2
	v_and_b32_e32 v32, 0x7fffffff, v2
	v_cmp_gt_u64_e32 vcc, s[56:57], v[32:33]
	v_and_b32_sdwa v5, v2, s48 dst_sel:DWORD dst_unused:UNUSED_PAD src0_sel:BYTE_3 src1_sel:DWORD
                                        ; implicit-def: $vgpr4
	s_and_saveexec_b64 s[20:21], vcc
	s_xor_b64 s[88:89], exec, s[20:21]
	s_cbranch_execz .LBB2_5927
; %bb.5914:                             ;   in Loop: Header=BB2_5849 Depth=2
	v_cmp_ne_u32_e32 vcc, 0, v2
	v_mov_b32_e32 v4, 0
	s_and_saveexec_b64 s[90:91], vcc
	s_cbranch_execz .LBB2_5926
; %bb.5915:                             ;   in Loop: Header=BB2_5849 Depth=2
	v_and_b32_e32 v6, 0x7fffff, v2
	v_bfe_u32 v2, v2, 23, 8
	v_cmp_gt_u32_e64 s[20:21], s49, v2
	v_sub_u32_e32 v4, 0x79, v2
	v_cmp_eq_u32_e32 vcc, 0, v2
	v_cndmask_b32_e64 v4, 0, v4, s[20:21]
	v_or_b32_e32 v7, 0x800000, v6
	v_cndmask_b32_e32 v4, v4, v60, vcc
	v_cndmask_b32_e32 v32, v7, v6, vcc
	v_add_u32_e32 v6, 20, v4
	v_lshlrev_b64 v[6:7], v6, -1
	v_add_u32_e32 v8, 19, v4
	v_lshlrev_b64 v[8:9], v8, 1
	v_lshrrev_b64 v[12:13], v4, v[32:33]
	v_bfi_b32 v7, v7, 0, 0
	v_bfi_b32 v6, v6, 0, v32
	v_cmp_eq_u64_e64 s[20:21], v[6:7], v[8:9]
	v_mov_b32_e32 v54, v13
	v_mov_b32_e32 v53, v12
	s_and_saveexec_b64 s[92:93], s[20:21]
; %bb.5916:                             ;   in Loop: Header=BB2_5849 Depth=2
	v_bfe_u32 v6, v12, 20, 1
	v_add_co_u32_e64 v6, s[20:21], v12, v6
	v_add_co_u32_e64 v53, s[20:21], -1, v6
; %bb.5917:                             ;   in Loop: Header=BB2_5849 Depth=2
	s_or_b64 exec, exec, s[92:93]
	v_add_u32_e32 v2, 0xffffff81, v2
	v_cndmask_b32_e32 v2, v2, v61, vcc
	v_lshrrev_b32_e32 v6, 23, v12
	v_add3_u32 v6, v4, v2, v6
	v_add_u32_e32 v4, 6, v6
	v_and_b32_e32 v2, 0xfffff, v53
	v_add_u32_e32 v32, v2, v12
	v_cmp_ne_u32_e32 vcc, 0, v4
                                        ; implicit-def: $vgpr12_vgpr13
                                        ; implicit-def: $vgpr2
	s_and_saveexec_b64 s[20:21], vcc
	s_xor_b64 s[20:21], exec, s[20:21]
; %bb.5918:                             ;   in Loop: Header=BB2_5849 Depth=2
	v_cmp_lt_u64_e32 vcc, s[58:59], v[32:33]
	v_add_u32_e32 v2, 7, v6
	v_cndmask_b32_e32 v2, v4, v2, vcc
	v_cndmask_b32_e64 v4, 0, 1, vcc
	v_lshrrev_b64 v[12:13], v4, v[32:33]
; %bb.5919:                             ;   in Loop: Header=BB2_5849 Depth=2
	s_andn2_saveexec_b64 s[20:21], s[20:21]
; %bb.5920:                             ;   in Loop: Header=BB2_5849 Depth=2
	v_mov_b32_e32 v12, v32
	v_bfe_u32 v2, v32, 23, 1
	v_mov_b32_e32 v13, v33
; %bb.5921:                             ;   in Loop: Header=BB2_5849 Depth=2
	s_or_b64 exec, exec, s[20:21]
	v_lshrrev_b64 v[6:7], 20, v[12:13]
	v_cmp_gt_i32_e32 vcc, 16, v2
	v_cndmask_b32_e32 v13, 0, v7, vcc
	v_cndmask_b32_e32 v12, 7, v6, vcc
	v_cmp_ne_u64_e32 vcc, 0, v[12:13]
	v_cmp_ne_u32_e64 s[20:21], 0, v2
	s_or_b64 s[20:21], s[20:21], vcc
                                        ; implicit-def: $vgpr4
	s_and_saveexec_b64 s[92:93], s[20:21]
	s_xor_b64 s[20:21], exec, s[92:93]
; %bb.5922:                             ;   in Loop: Header=BB2_5849 Depth=2
	v_min_i32_e32 v2, 15, v2
	v_lshl_or_b32 v2, v2, 3, v5
	v_and_or_b32 v4, v12, 7, v2
                                        ; implicit-def: $vgpr5
; %bb.5923:                             ;   in Loop: Header=BB2_5849 Depth=2
	s_andn2_saveexec_b64 s[20:21], s[20:21]
; %bb.5924:                             ;   in Loop: Header=BB2_5849 Depth=2
	v_mov_b32_e32 v4, v5
; %bb.5925:                             ;   in Loop: Header=BB2_5849 Depth=2
	s_or_b64 exec, exec, s[20:21]
.LBB2_5926:                             ;   in Loop: Header=BB2_5849 Depth=2
	s_or_b64 exec, exec, s[90:91]
                                        ; implicit-def: $vgpr5
.LBB2_5927:                             ;   in Loop: Header=BB2_5849 Depth=2
	s_andn2_saveexec_b64 s[20:21], s[88:89]
; %bb.5928:                             ;   in Loop: Header=BB2_5849 Depth=2
	v_or_b32_e32 v4, 0x7e, v5
; %bb.5929:                             ;   in Loop: Header=BB2_5849 Depth=2
	s_or_b64 exec, exec, s[20:21]
                                        ; implicit-def: $vgpr2
.LBB2_5930:                             ;   in Loop: Header=BB2_5849 Depth=2
	s_andn2_saveexec_b64 s[20:21], s[78:79]
; %bb.5931:                             ;   in Loop: Header=BB2_5849 Depth=2
	v_or_b32_sdwa v4, v2, s39 dst_sel:DWORD dst_unused:UNUSED_PAD src0_sel:BYTE_3 src1_sel:DWORD
; %bb.5932:                             ;   in Loop: Header=BB2_5849 Depth=2
	s_or_b64 exec, exec, s[20:21]
	flat_load_ubyte v2, v[10:11] offset:192 glc slc
	v_mov_b32_e32 v5, 0
	s_waitcnt vmcnt(0) lgkmcnt(0)
	v_cmp_ne_u16_e32 vcc, 0, v2
	s_and_saveexec_b64 s[20:21], vcc
	s_cbranch_execz .LBB2_5938
; %bb.5933:                             ;   in Loop: Header=BB2_5849 Depth=2
	v_cmp_ne_u16_e32 vcc, s48, v2
	v_bfrev_b32_e32 v5, 1
	s_and_saveexec_b64 s[78:79], vcc
	s_cbranch_execz .LBB2_5937
; %bb.5934:                             ;   in Loop: Header=BB2_5849 Depth=2
	v_and_b32_e32 v12, 0xffff, v2
	v_and_b32_e32 v6, 0x7f, v12
	v_cmp_ne_u32_e32 vcc, s39, v6
	v_mov_b32_e32 v5, 0x7f800001
	s_and_saveexec_b64 s[88:89], vcc
	s_cbranch_execz .LBB2_5936
; %bb.5935:                             ;   in Loop: Header=BB2_5849 Depth=2
	v_and_b32_e32 v7, 7, v12
	v_ffbh_u32_e32 v5, v7
	v_min_u32_e32 v9, 32, v5
	v_subrev_u32_e32 v5, 28, v9
	v_lshrrev_b32_e32 v8, 3, v6
	v_cmp_gt_u32_e32 vcc, 8, v6
	v_lshlrev_b64 v[5:6], v5, v[12:13]
	v_sub_u32_e32 v6, 29, v9
	v_and_b32_e32 v5, 7, v5
	v_cndmask_b32_e32 v6, v8, v6, vcc
	v_cndmask_b32_e32 v5, v7, v5, vcc
	v_lshlrev_b32_e32 v2, 24, v2
	v_lshlrev_b32_e32 v5, 20, v5
	v_and_b32_e32 v2, 0x80000000, v2
	v_lshl_add_u32 v6, v6, 23, v59
	v_or3_b32 v5, v2, v6, v5
.LBB2_5936:                             ;   in Loop: Header=BB2_5849 Depth=2
	s_or_b64 exec, exec, s[88:89]
.LBB2_5937:                             ;   in Loop: Header=BB2_5849 Depth=2
	s_or_b64 exec, exec, s[78:79]
.LBB2_5938:                             ;   in Loop: Header=BB2_5849 Depth=2
	s_or_b64 exec, exec, s[20:21]
	v_mul_f32_e32 v2, s94, v5
	v_and_b32_e32 v32, 0x7f800000, v2
	v_cmp_ne_u64_e32 vcc, s[46:47], v[32:33]
                                        ; implicit-def: $vgpr5
	s_and_saveexec_b64 s[20:21], vcc
	s_xor_b64 s[78:79], exec, s[20:21]
	s_cbranch_execz .LBB2_5956
; %bb.5939:                             ;   in Loop: Header=BB2_5849 Depth=2
	v_and_b32_e32 v32, 0x7fffffff, v2
	v_cmp_gt_u64_e32 vcc, s[56:57], v[32:33]
	v_and_b32_sdwa v22, v2, s48 dst_sel:DWORD dst_unused:UNUSED_PAD src0_sel:BYTE_3 src1_sel:DWORD
                                        ; implicit-def: $vgpr5
	s_and_saveexec_b64 s[20:21], vcc
	s_xor_b64 s[88:89], exec, s[20:21]
	s_cbranch_execz .LBB2_5953
; %bb.5940:                             ;   in Loop: Header=BB2_5849 Depth=2
	v_cmp_ne_u32_e32 vcc, 0, v2
	v_mov_b32_e32 v5, 0
	s_and_saveexec_b64 s[90:91], vcc
	s_cbranch_execz .LBB2_5952
; %bb.5941:                             ;   in Loop: Header=BB2_5849 Depth=2
	v_and_b32_e32 v6, 0x7fffff, v2
	v_bfe_u32 v2, v2, 23, 8
	v_cmp_gt_u32_e64 s[20:21], s49, v2
	v_sub_u32_e32 v5, 0x79, v2
	v_cmp_eq_u32_e32 vcc, 0, v2
	v_cndmask_b32_e64 v5, 0, v5, s[20:21]
	v_or_b32_e32 v7, 0x800000, v6
	v_cndmask_b32_e32 v5, v5, v60, vcc
	v_cndmask_b32_e32 v32, v7, v6, vcc
	v_add_u32_e32 v6, 20, v5
	v_lshlrev_b64 v[6:7], v6, -1
	v_add_u32_e32 v8, 19, v5
	v_lshlrev_b64 v[8:9], v8, 1
	v_lshrrev_b64 v[12:13], v5, v[32:33]
	v_bfi_b32 v7, v7, 0, 0
	v_bfi_b32 v6, v6, 0, v32
	v_cmp_eq_u64_e64 s[20:21], v[6:7], v[8:9]
	v_mov_b32_e32 v54, v13
	v_mov_b32_e32 v53, v12
	s_and_saveexec_b64 s[92:93], s[20:21]
; %bb.5942:                             ;   in Loop: Header=BB2_5849 Depth=2
	v_bfe_u32 v6, v12, 20, 1
	v_add_co_u32_e64 v6, s[20:21], v12, v6
	v_add_co_u32_e64 v53, s[20:21], -1, v6
; %bb.5943:                             ;   in Loop: Header=BB2_5849 Depth=2
	s_or_b64 exec, exec, s[92:93]
	v_add_u32_e32 v2, 0xffffff81, v2
	v_cndmask_b32_e32 v2, v2, v61, vcc
	v_lshrrev_b32_e32 v6, 23, v12
	v_add3_u32 v6, v5, v2, v6
	v_add_u32_e32 v5, 6, v6
	v_and_b32_e32 v2, 0xfffff, v53
	v_add_u32_e32 v32, v2, v12
	v_cmp_ne_u32_e32 vcc, 0, v5
                                        ; implicit-def: $vgpr12_vgpr13
                                        ; implicit-def: $vgpr2
	s_and_saveexec_b64 s[20:21], vcc
	s_xor_b64 s[20:21], exec, s[20:21]
; %bb.5944:                             ;   in Loop: Header=BB2_5849 Depth=2
	v_cmp_lt_u64_e32 vcc, s[58:59], v[32:33]
	v_add_u32_e32 v2, 7, v6
	v_cndmask_b32_e32 v2, v5, v2, vcc
	v_cndmask_b32_e64 v5, 0, 1, vcc
	v_lshrrev_b64 v[12:13], v5, v[32:33]
; %bb.5945:                             ;   in Loop: Header=BB2_5849 Depth=2
	s_andn2_saveexec_b64 s[20:21], s[20:21]
; %bb.5946:                             ;   in Loop: Header=BB2_5849 Depth=2
	v_mov_b32_e32 v12, v32
	v_bfe_u32 v2, v32, 23, 1
	v_mov_b32_e32 v13, v33
; %bb.5947:                             ;   in Loop: Header=BB2_5849 Depth=2
	s_or_b64 exec, exec, s[20:21]
	v_lshrrev_b64 v[5:6], 20, v[12:13]
	v_cmp_gt_i32_e32 vcc, 16, v2
	v_cndmask_b32_e32 v13, 0, v6, vcc
	v_cndmask_b32_e32 v12, 7, v5, vcc
	v_cmp_ne_u64_e32 vcc, 0, v[12:13]
	v_cmp_ne_u32_e64 s[20:21], 0, v2
	s_or_b64 s[20:21], s[20:21], vcc
                                        ; implicit-def: $vgpr5
	s_and_saveexec_b64 s[92:93], s[20:21]
	s_xor_b64 s[20:21], exec, s[92:93]
; %bb.5948:                             ;   in Loop: Header=BB2_5849 Depth=2
	v_min_i32_e32 v2, 15, v2
	v_lshl_or_b32 v2, v2, 3, v22
	v_and_or_b32 v5, v12, 7, v2
                                        ; implicit-def: $vgpr22
; %bb.5949:                             ;   in Loop: Header=BB2_5849 Depth=2
	s_andn2_saveexec_b64 s[20:21], s[20:21]
; %bb.5950:                             ;   in Loop: Header=BB2_5849 Depth=2
	v_mov_b32_e32 v5, v22
; %bb.5951:                             ;   in Loop: Header=BB2_5849 Depth=2
	s_or_b64 exec, exec, s[20:21]
.LBB2_5952:                             ;   in Loop: Header=BB2_5849 Depth=2
	s_or_b64 exec, exec, s[90:91]
                                        ; implicit-def: $vgpr22
.LBB2_5953:                             ;   in Loop: Header=BB2_5849 Depth=2
	s_andn2_saveexec_b64 s[20:21], s[88:89]
; %bb.5954:                             ;   in Loop: Header=BB2_5849 Depth=2
	v_or_b32_e32 v5, 0x7e, v22
; %bb.5955:                             ;   in Loop: Header=BB2_5849 Depth=2
	s_or_b64 exec, exec, s[20:21]
                                        ; implicit-def: $vgpr2
.LBB2_5956:                             ;   in Loop: Header=BB2_5849 Depth=2
	s_andn2_saveexec_b64 s[20:21], s[78:79]
; %bb.5957:                             ;   in Loop: Header=BB2_5849 Depth=2
	v_or_b32_sdwa v5, v2, s39 dst_sel:DWORD dst_unused:UNUSED_PAD src0_sel:BYTE_3 src1_sel:DWORD
; %bb.5958:                             ;   in Loop: Header=BB2_5849 Depth=2
	s_or_b64 exec, exec, s[20:21]
	flat_load_ubyte v2, v[10:11] offset:256 glc slc
	v_mov_b32_e32 v6, 0
	s_waitcnt vmcnt(0) lgkmcnt(0)
	v_cmp_ne_u16_e32 vcc, 0, v2
	s_and_saveexec_b64 s[20:21], vcc
	s_cbranch_execz .LBB2_5964
; %bb.5959:                             ;   in Loop: Header=BB2_5849 Depth=2
	v_cmp_ne_u16_e32 vcc, s48, v2
	v_bfrev_b32_e32 v6, 1
	s_and_saveexec_b64 s[78:79], vcc
	s_cbranch_execz .LBB2_5963
; %bb.5960:                             ;   in Loop: Header=BB2_5849 Depth=2
	v_and_b32_e32 v12, 0xffff, v2
	v_and_b32_e32 v7, 0x7f, v12
	v_cmp_ne_u32_e32 vcc, s39, v7
	v_mov_b32_e32 v6, 0x7f800001
	s_and_saveexec_b64 s[88:89], vcc
	s_cbranch_execz .LBB2_5962
; %bb.5961:                             ;   in Loop: Header=BB2_5849 Depth=2
	v_and_b32_e32 v8, 7, v12
	v_ffbh_u32_e32 v6, v8
	v_min_u32_e32 v13, 32, v6
	v_subrev_u32_e32 v6, 28, v13
	v_lshrrev_b32_e32 v9, 3, v7
	v_cmp_gt_u32_e32 vcc, 8, v7
	v_lshlrev_b64 v[6:7], v6, v[12:13]
	v_sub_u32_e32 v7, 29, v13
	v_and_b32_e32 v6, 7, v6
	v_cndmask_b32_e32 v7, v9, v7, vcc
	v_cndmask_b32_e32 v6, v8, v6, vcc
	v_lshlrev_b32_e32 v2, 24, v2
	v_lshlrev_b32_e32 v6, 20, v6
	v_and_b32_e32 v2, 0x80000000, v2
	v_lshl_add_u32 v7, v7, 23, v59
	v_or3_b32 v6, v2, v7, v6
.LBB2_5962:                             ;   in Loop: Header=BB2_5849 Depth=2
	s_or_b64 exec, exec, s[88:89]
.LBB2_5963:                             ;   in Loop: Header=BB2_5849 Depth=2
	s_or_b64 exec, exec, s[78:79]
.LBB2_5964:                             ;   in Loop: Header=BB2_5849 Depth=2
	s_or_b64 exec, exec, s[20:21]
	v_mul_f32_e32 v2, s94, v6
	v_and_b32_e32 v32, 0x7f800000, v2
	v_cmp_ne_u64_e32 vcc, s[46:47], v[32:33]
                                        ; implicit-def: $vgpr26
	s_and_saveexec_b64 s[20:21], vcc
	s_xor_b64 s[78:79], exec, s[20:21]
	s_cbranch_execz .LBB2_5982
; %bb.5965:                             ;   in Loop: Header=BB2_5849 Depth=2
	v_and_b32_e32 v32, 0x7fffffff, v2
	v_cmp_gt_u64_e32 vcc, s[56:57], v[32:33]
	v_and_b32_sdwa v22, v2, s48 dst_sel:DWORD dst_unused:UNUSED_PAD src0_sel:BYTE_3 src1_sel:DWORD
                                        ; implicit-def: $vgpr26
	s_and_saveexec_b64 s[20:21], vcc
	s_xor_b64 s[88:89], exec, s[20:21]
	s_cbranch_execz .LBB2_5979
; %bb.5966:                             ;   in Loop: Header=BB2_5849 Depth=2
	v_cmp_ne_u32_e32 vcc, 0, v2
	v_mov_b32_e32 v26, 0
	s_and_saveexec_b64 s[90:91], vcc
	s_cbranch_execz .LBB2_5978
; %bb.5967:                             ;   in Loop: Header=BB2_5849 Depth=2
	v_and_b32_e32 v7, 0x7fffff, v2
	v_bfe_u32 v2, v2, 23, 8
	v_cmp_gt_u32_e64 s[20:21], s49, v2
	v_sub_u32_e32 v6, 0x79, v2
	v_cmp_eq_u32_e32 vcc, 0, v2
	v_cndmask_b32_e64 v6, 0, v6, s[20:21]
	v_or_b32_e32 v8, 0x800000, v7
	v_cndmask_b32_e32 v6, v6, v60, vcc
	v_cndmask_b32_e32 v32, v8, v7, vcc
	v_add_u32_e32 v7, 20, v6
	v_lshlrev_b64 v[7:8], v7, -1
	v_add_u32_e32 v9, 19, v6
	v_lshlrev_b64 v[12:13], v9, 1
	v_bfi_b32 v8, v8, 0, 0
	v_bfi_b32 v7, v7, 0, v32
	v_cmp_eq_u64_e64 s[20:21], v[7:8], v[12:13]
	v_lshrrev_b64 v[12:13], v6, v[32:33]
	v_mov_b32_e32 v54, v13
	v_mov_b32_e32 v53, v12
	s_and_saveexec_b64 s[92:93], s[20:21]
; %bb.5968:                             ;   in Loop: Header=BB2_5849 Depth=2
	v_bfe_u32 v7, v12, 20, 1
	v_add_co_u32_e64 v7, s[20:21], v12, v7
	v_add_co_u32_e64 v53, s[20:21], -1, v7
; %bb.5969:                             ;   in Loop: Header=BB2_5849 Depth=2
	s_or_b64 exec, exec, s[92:93]
	v_add_u32_e32 v2, 0xffffff81, v2
	v_cndmask_b32_e32 v2, v2, v61, vcc
	v_lshrrev_b32_e32 v7, 23, v12
	v_add3_u32 v7, v6, v2, v7
	v_add_u32_e32 v6, 6, v7
	v_and_b32_e32 v2, 0xfffff, v53
	v_add_u32_e32 v32, v2, v12
	v_cmp_ne_u32_e32 vcc, 0, v6
                                        ; implicit-def: $vgpr12_vgpr13
                                        ; implicit-def: $vgpr2
	s_and_saveexec_b64 s[20:21], vcc
	s_xor_b64 s[20:21], exec, s[20:21]
; %bb.5970:                             ;   in Loop: Header=BB2_5849 Depth=2
	v_cmp_lt_u64_e32 vcc, s[58:59], v[32:33]
	v_add_u32_e32 v2, 7, v7
	v_cndmask_b32_e32 v2, v6, v2, vcc
	v_cndmask_b32_e64 v6, 0, 1, vcc
	v_lshrrev_b64 v[12:13], v6, v[32:33]
; %bb.5971:                             ;   in Loop: Header=BB2_5849 Depth=2
	s_andn2_saveexec_b64 s[20:21], s[20:21]
; %bb.5972:                             ;   in Loop: Header=BB2_5849 Depth=2
	v_mov_b32_e32 v12, v32
	v_bfe_u32 v2, v32, 23, 1
	v_mov_b32_e32 v13, v33
; %bb.5973:                             ;   in Loop: Header=BB2_5849 Depth=2
	s_or_b64 exec, exec, s[20:21]
	v_lshrrev_b64 v[6:7], 20, v[12:13]
	v_cmp_gt_i32_e32 vcc, 16, v2
	v_cndmask_b32_e32 v13, 0, v7, vcc
	v_cndmask_b32_e32 v12, 7, v6, vcc
	v_cmp_ne_u64_e32 vcc, 0, v[12:13]
	v_cmp_ne_u32_e64 s[20:21], 0, v2
	s_or_b64 s[20:21], s[20:21], vcc
                                        ; implicit-def: $vgpr26
	s_and_saveexec_b64 s[92:93], s[20:21]
	s_xor_b64 s[20:21], exec, s[92:93]
; %bb.5974:                             ;   in Loop: Header=BB2_5849 Depth=2
	v_min_i32_e32 v2, 15, v2
	v_lshl_or_b32 v2, v2, 3, v22
	v_and_or_b32 v26, v12, 7, v2
                                        ; implicit-def: $vgpr22
; %bb.5975:                             ;   in Loop: Header=BB2_5849 Depth=2
	s_andn2_saveexec_b64 s[20:21], s[20:21]
; %bb.5976:                             ;   in Loop: Header=BB2_5849 Depth=2
	v_mov_b32_e32 v26, v22
; %bb.5977:                             ;   in Loop: Header=BB2_5849 Depth=2
	s_or_b64 exec, exec, s[20:21]
.LBB2_5978:                             ;   in Loop: Header=BB2_5849 Depth=2
	s_or_b64 exec, exec, s[90:91]
                                        ; implicit-def: $vgpr22
.LBB2_5979:                             ;   in Loop: Header=BB2_5849 Depth=2
	s_andn2_saveexec_b64 s[20:21], s[88:89]
; %bb.5980:                             ;   in Loop: Header=BB2_5849 Depth=2
	v_or_b32_e32 v26, 0x7e, v22
; %bb.5981:                             ;   in Loop: Header=BB2_5849 Depth=2
	s_or_b64 exec, exec, s[20:21]
                                        ; implicit-def: $vgpr2
.LBB2_5982:                             ;   in Loop: Header=BB2_5849 Depth=2
	s_andn2_saveexec_b64 s[20:21], s[78:79]
; %bb.5983:                             ;   in Loop: Header=BB2_5849 Depth=2
	v_or_b32_sdwa v26, v2, s39 dst_sel:DWORD dst_unused:UNUSED_PAD src0_sel:BYTE_3 src1_sel:DWORD
; %bb.5984:                             ;   in Loop: Header=BB2_5849 Depth=2
	s_or_b64 exec, exec, s[20:21]
	flat_load_ubyte v2, v[10:11] offset:320 glc slc
	v_mov_b32_e32 v6, 0
	s_waitcnt vmcnt(0) lgkmcnt(0)
	v_cmp_ne_u16_e32 vcc, 0, v2
	s_and_saveexec_b64 s[20:21], vcc
	s_cbranch_execz .LBB2_5990
; %bb.5985:                             ;   in Loop: Header=BB2_5849 Depth=2
	v_cmp_ne_u16_e32 vcc, s48, v2
	v_bfrev_b32_e32 v6, 1
	s_and_saveexec_b64 s[78:79], vcc
	s_cbranch_execz .LBB2_5989
; %bb.5986:                             ;   in Loop: Header=BB2_5849 Depth=2
	v_and_b32_e32 v12, 0xffff, v2
	v_and_b32_e32 v7, 0x7f, v12
	v_cmp_ne_u32_e32 vcc, s39, v7
	v_mov_b32_e32 v6, 0x7f800001
	s_and_saveexec_b64 s[88:89], vcc
	s_cbranch_execz .LBB2_5988
; %bb.5987:                             ;   in Loop: Header=BB2_5849 Depth=2
	v_and_b32_e32 v8, 7, v12
	v_ffbh_u32_e32 v6, v8
	v_min_u32_e32 v13, 32, v6
	v_subrev_u32_e32 v6, 28, v13
	v_lshrrev_b32_e32 v9, 3, v7
	v_cmp_gt_u32_e32 vcc, 8, v7
	v_lshlrev_b64 v[6:7], v6, v[12:13]
	v_sub_u32_e32 v7, 29, v13
	v_and_b32_e32 v6, 7, v6
	v_cndmask_b32_e32 v7, v9, v7, vcc
	v_cndmask_b32_e32 v6, v8, v6, vcc
	v_lshlrev_b32_e32 v2, 24, v2
	v_lshlrev_b32_e32 v6, 20, v6
	v_and_b32_e32 v2, 0x80000000, v2
	v_lshl_add_u32 v7, v7, 23, v59
	v_or3_b32 v6, v2, v7, v6
.LBB2_5988:                             ;   in Loop: Header=BB2_5849 Depth=2
	s_or_b64 exec, exec, s[88:89]
.LBB2_5989:                             ;   in Loop: Header=BB2_5849 Depth=2
	s_or_b64 exec, exec, s[78:79]
.LBB2_5990:                             ;   in Loop: Header=BB2_5849 Depth=2
	s_or_b64 exec, exec, s[20:21]
	v_mul_f32_e32 v2, s94, v6
	v_and_b32_e32 v32, 0x7f800000, v2
	v_cmp_ne_u64_e32 vcc, s[46:47], v[32:33]
                                        ; implicit-def: $vgpr22
	s_and_saveexec_b64 s[20:21], vcc
	s_xor_b64 s[78:79], exec, s[20:21]
	s_cbranch_execz .LBB2_6008
; %bb.5991:                             ;   in Loop: Header=BB2_5849 Depth=2
	v_and_b32_e32 v32, 0x7fffffff, v2
	v_cmp_gt_u64_e32 vcc, s[56:57], v[32:33]
	v_and_b32_sdwa v23, v2, s48 dst_sel:DWORD dst_unused:UNUSED_PAD src0_sel:BYTE_3 src1_sel:DWORD
                                        ; implicit-def: $vgpr22
	s_and_saveexec_b64 s[20:21], vcc
	s_xor_b64 s[88:89], exec, s[20:21]
	s_cbranch_execz .LBB2_6005
; %bb.5992:                             ;   in Loop: Header=BB2_5849 Depth=2
	v_cmp_ne_u32_e32 vcc, 0, v2
	v_mov_b32_e32 v22, 0
	s_and_saveexec_b64 s[90:91], vcc
	s_cbranch_execz .LBB2_6004
; %bb.5993:                             ;   in Loop: Header=BB2_5849 Depth=2
	v_and_b32_e32 v7, 0x7fffff, v2
	v_bfe_u32 v2, v2, 23, 8
	v_cmp_gt_u32_e64 s[20:21], s49, v2
	v_sub_u32_e32 v6, 0x79, v2
	v_cmp_eq_u32_e32 vcc, 0, v2
	v_cndmask_b32_e64 v6, 0, v6, s[20:21]
	v_or_b32_e32 v8, 0x800000, v7
	v_cndmask_b32_e32 v6, v6, v60, vcc
	v_cndmask_b32_e32 v32, v8, v7, vcc
	v_add_u32_e32 v7, 20, v6
	v_lshlrev_b64 v[7:8], v7, -1
	v_add_u32_e32 v9, 19, v6
	v_lshlrev_b64 v[12:13], v9, 1
	v_bfi_b32 v8, v8, 0, 0
	v_bfi_b32 v7, v7, 0, v32
	v_cmp_eq_u64_e64 s[20:21], v[7:8], v[12:13]
	v_lshrrev_b64 v[12:13], v6, v[32:33]
	v_mov_b32_e32 v54, v13
	v_mov_b32_e32 v53, v12
	s_and_saveexec_b64 s[92:93], s[20:21]
; %bb.5994:                             ;   in Loop: Header=BB2_5849 Depth=2
	v_bfe_u32 v7, v12, 20, 1
	v_add_co_u32_e64 v7, s[20:21], v12, v7
	v_add_co_u32_e64 v53, s[20:21], -1, v7
; %bb.5995:                             ;   in Loop: Header=BB2_5849 Depth=2
	s_or_b64 exec, exec, s[92:93]
	v_add_u32_e32 v2, 0xffffff81, v2
	v_cndmask_b32_e32 v2, v2, v61, vcc
	v_lshrrev_b32_e32 v7, 23, v12
	v_add3_u32 v7, v6, v2, v7
	v_add_u32_e32 v6, 6, v7
	v_and_b32_e32 v2, 0xfffff, v53
	v_add_u32_e32 v32, v2, v12
	v_cmp_ne_u32_e32 vcc, 0, v6
                                        ; implicit-def: $vgpr12_vgpr13
                                        ; implicit-def: $vgpr2
	s_and_saveexec_b64 s[20:21], vcc
	s_xor_b64 s[20:21], exec, s[20:21]
; %bb.5996:                             ;   in Loop: Header=BB2_5849 Depth=2
	v_cmp_lt_u64_e32 vcc, s[58:59], v[32:33]
	v_add_u32_e32 v2, 7, v7
	v_cndmask_b32_e32 v2, v6, v2, vcc
	v_cndmask_b32_e64 v6, 0, 1, vcc
	v_lshrrev_b64 v[12:13], v6, v[32:33]
; %bb.5997:                             ;   in Loop: Header=BB2_5849 Depth=2
	s_andn2_saveexec_b64 s[20:21], s[20:21]
; %bb.5998:                             ;   in Loop: Header=BB2_5849 Depth=2
	v_mov_b32_e32 v12, v32
	v_bfe_u32 v2, v32, 23, 1
	v_mov_b32_e32 v13, v33
; %bb.5999:                             ;   in Loop: Header=BB2_5849 Depth=2
	s_or_b64 exec, exec, s[20:21]
	v_lshrrev_b64 v[6:7], 20, v[12:13]
	v_cmp_gt_i32_e32 vcc, 16, v2
	v_cndmask_b32_e32 v13, 0, v7, vcc
	v_cndmask_b32_e32 v12, 7, v6, vcc
	v_cmp_ne_u64_e32 vcc, 0, v[12:13]
	v_cmp_ne_u32_e64 s[20:21], 0, v2
	s_or_b64 s[20:21], s[20:21], vcc
                                        ; implicit-def: $vgpr22
	s_and_saveexec_b64 s[92:93], s[20:21]
	s_xor_b64 s[20:21], exec, s[92:93]
; %bb.6000:                             ;   in Loop: Header=BB2_5849 Depth=2
	v_min_i32_e32 v2, 15, v2
	v_lshl_or_b32 v2, v2, 3, v23
	v_and_or_b32 v22, v12, 7, v2
                                        ; implicit-def: $vgpr23
; %bb.6001:                             ;   in Loop: Header=BB2_5849 Depth=2
	s_andn2_saveexec_b64 s[20:21], s[20:21]
; %bb.6002:                             ;   in Loop: Header=BB2_5849 Depth=2
	v_mov_b32_e32 v22, v23
; %bb.6003:                             ;   in Loop: Header=BB2_5849 Depth=2
	s_or_b64 exec, exec, s[20:21]
.LBB2_6004:                             ;   in Loop: Header=BB2_5849 Depth=2
	s_or_b64 exec, exec, s[90:91]
                                        ; implicit-def: $vgpr23
.LBB2_6005:                             ;   in Loop: Header=BB2_5849 Depth=2
	s_andn2_saveexec_b64 s[20:21], s[88:89]
; %bb.6006:                             ;   in Loop: Header=BB2_5849 Depth=2
	v_or_b32_e32 v22, 0x7e, v23
; %bb.6007:                             ;   in Loop: Header=BB2_5849 Depth=2
	s_or_b64 exec, exec, s[20:21]
                                        ; implicit-def: $vgpr2
.LBB2_6008:                             ;   in Loop: Header=BB2_5849 Depth=2
	s_andn2_saveexec_b64 s[20:21], s[78:79]
; %bb.6009:                             ;   in Loop: Header=BB2_5849 Depth=2
	v_or_b32_sdwa v22, v2, s39 dst_sel:DWORD dst_unused:UNUSED_PAD src0_sel:BYTE_3 src1_sel:DWORD
; %bb.6010:                             ;   in Loop: Header=BB2_5849 Depth=2
	s_or_b64 exec, exec, s[20:21]
	flat_load_ubyte v2, v[10:11] offset:384 glc slc
	v_mov_b32_e32 v6, 0
	s_waitcnt vmcnt(0) lgkmcnt(0)
	v_cmp_ne_u16_e32 vcc, 0, v2
	s_and_saveexec_b64 s[20:21], vcc
	s_cbranch_execz .LBB2_6016
; %bb.6011:                             ;   in Loop: Header=BB2_5849 Depth=2
	v_cmp_ne_u16_e32 vcc, s48, v2
	v_bfrev_b32_e32 v6, 1
	s_and_saveexec_b64 s[78:79], vcc
	s_cbranch_execz .LBB2_6015
; %bb.6012:                             ;   in Loop: Header=BB2_5849 Depth=2
	v_and_b32_e32 v12, 0xffff, v2
	v_and_b32_e32 v7, 0x7f, v12
	v_cmp_ne_u32_e32 vcc, s39, v7
	v_mov_b32_e32 v6, 0x7f800001
	s_and_saveexec_b64 s[88:89], vcc
	s_cbranch_execz .LBB2_6014
; %bb.6013:                             ;   in Loop: Header=BB2_5849 Depth=2
	v_and_b32_e32 v8, 7, v12
	v_ffbh_u32_e32 v6, v8
	v_min_u32_e32 v13, 32, v6
	v_subrev_u32_e32 v6, 28, v13
	v_lshrrev_b32_e32 v9, 3, v7
	v_cmp_gt_u32_e32 vcc, 8, v7
	v_lshlrev_b64 v[6:7], v6, v[12:13]
	v_sub_u32_e32 v7, 29, v13
	v_and_b32_e32 v6, 7, v6
	v_cndmask_b32_e32 v7, v9, v7, vcc
	v_cndmask_b32_e32 v6, v8, v6, vcc
	v_lshlrev_b32_e32 v2, 24, v2
	v_lshlrev_b32_e32 v6, 20, v6
	v_and_b32_e32 v2, 0x80000000, v2
	v_lshl_add_u32 v7, v7, 23, v59
	v_or3_b32 v6, v2, v7, v6
.LBB2_6014:                             ;   in Loop: Header=BB2_5849 Depth=2
	s_or_b64 exec, exec, s[88:89]
.LBB2_6015:                             ;   in Loop: Header=BB2_5849 Depth=2
	s_or_b64 exec, exec, s[78:79]
.LBB2_6016:                             ;   in Loop: Header=BB2_5849 Depth=2
	s_or_b64 exec, exec, s[20:21]
	v_mul_f32_e32 v2, s94, v6
	v_and_b32_e32 v32, 0x7f800000, v2
	v_cmp_ne_u64_e32 vcc, s[46:47], v[32:33]
                                        ; implicit-def: $vgpr13
	s_and_saveexec_b64 s[20:21], vcc
	s_xor_b64 s[78:79], exec, s[20:21]
	s_cbranch_execz .LBB2_6034
; %bb.6017:                             ;   in Loop: Header=BB2_5849 Depth=2
	v_and_b32_e32 v32, 0x7fffffff, v2
	v_cmp_gt_u64_e32 vcc, s[56:57], v[32:33]
	v_and_b32_sdwa v23, v2, s48 dst_sel:DWORD dst_unused:UNUSED_PAD src0_sel:BYTE_3 src1_sel:DWORD
                                        ; implicit-def: $vgpr13
	s_and_saveexec_b64 s[20:21], vcc
	s_xor_b64 s[88:89], exec, s[20:21]
	s_cbranch_execz .LBB2_6031
; %bb.6018:                             ;   in Loop: Header=BB2_5849 Depth=2
	v_cmp_ne_u32_e32 vcc, 0, v2
	v_mov_b32_e32 v13, 0
	s_and_saveexec_b64 s[90:91], vcc
	s_cbranch_execz .LBB2_6030
; %bb.6019:                             ;   in Loop: Header=BB2_5849 Depth=2
	v_and_b32_e32 v7, 0x7fffff, v2
	v_bfe_u32 v2, v2, 23, 8
	v_cmp_gt_u32_e64 s[20:21], s49, v2
	v_sub_u32_e32 v6, 0x79, v2
	v_cmp_eq_u32_e32 vcc, 0, v2
	v_cndmask_b32_e64 v6, 0, v6, s[20:21]
	v_or_b32_e32 v8, 0x800000, v7
	v_cndmask_b32_e32 v6, v6, v60, vcc
	v_cndmask_b32_e32 v32, v8, v7, vcc
	v_add_u32_e32 v7, 20, v6
	v_lshlrev_b64 v[7:8], v7, -1
	v_add_u32_e32 v9, 19, v6
	v_lshlrev_b64 v[12:13], v9, 1
	v_bfi_b32 v8, v8, 0, 0
	v_bfi_b32 v7, v7, 0, v32
	v_cmp_eq_u64_e64 s[20:21], v[7:8], v[12:13]
	v_lshrrev_b64 v[12:13], v6, v[32:33]
	v_mov_b32_e32 v54, v13
	v_mov_b32_e32 v53, v12
	s_and_saveexec_b64 s[92:93], s[20:21]
; %bb.6020:                             ;   in Loop: Header=BB2_5849 Depth=2
	v_bfe_u32 v7, v12, 20, 1
	v_add_co_u32_e64 v7, s[20:21], v12, v7
	v_add_co_u32_e64 v53, s[20:21], -1, v7
; %bb.6021:                             ;   in Loop: Header=BB2_5849 Depth=2
	s_or_b64 exec, exec, s[92:93]
	v_add_u32_e32 v2, 0xffffff81, v2
	v_cndmask_b32_e32 v2, v2, v61, vcc
	v_lshrrev_b32_e32 v7, 23, v12
	v_add3_u32 v7, v6, v2, v7
	v_add_u32_e32 v6, 6, v7
	v_and_b32_e32 v2, 0xfffff, v53
	v_add_u32_e32 v32, v2, v12
	v_cmp_ne_u32_e32 vcc, 0, v6
                                        ; implicit-def: $vgpr12_vgpr13
                                        ; implicit-def: $vgpr2
	s_and_saveexec_b64 s[20:21], vcc
	s_xor_b64 s[20:21], exec, s[20:21]
; %bb.6022:                             ;   in Loop: Header=BB2_5849 Depth=2
	v_cmp_lt_u64_e32 vcc, s[58:59], v[32:33]
	v_add_u32_e32 v2, 7, v7
	v_cndmask_b32_e32 v2, v6, v2, vcc
	v_cndmask_b32_e64 v6, 0, 1, vcc
	v_lshrrev_b64 v[12:13], v6, v[32:33]
; %bb.6023:                             ;   in Loop: Header=BB2_5849 Depth=2
	s_andn2_saveexec_b64 s[20:21], s[20:21]
; %bb.6024:                             ;   in Loop: Header=BB2_5849 Depth=2
	v_mov_b32_e32 v12, v32
	v_bfe_u32 v2, v32, 23, 1
	v_mov_b32_e32 v13, v33
; %bb.6025:                             ;   in Loop: Header=BB2_5849 Depth=2
	s_or_b64 exec, exec, s[20:21]
	v_lshrrev_b64 v[6:7], 20, v[12:13]
	v_cmp_gt_i32_e32 vcc, 16, v2
	v_cndmask_b32_e32 v13, 0, v7, vcc
	v_cndmask_b32_e32 v12, 7, v6, vcc
	v_cmp_ne_u64_e32 vcc, 0, v[12:13]
	v_cmp_ne_u32_e64 s[20:21], 0, v2
	s_or_b64 s[20:21], s[20:21], vcc
                                        ; implicit-def: $vgpr13
	s_and_saveexec_b64 s[92:93], s[20:21]
	s_xor_b64 s[20:21], exec, s[92:93]
; %bb.6026:                             ;   in Loop: Header=BB2_5849 Depth=2
	v_min_i32_e32 v2, 15, v2
	v_lshl_or_b32 v2, v2, 3, v23
	v_and_or_b32 v13, v12, 7, v2
                                        ; implicit-def: $vgpr23
; %bb.6027:                             ;   in Loop: Header=BB2_5849 Depth=2
	s_andn2_saveexec_b64 s[20:21], s[20:21]
; %bb.6028:                             ;   in Loop: Header=BB2_5849 Depth=2
	v_mov_b32_e32 v13, v23
; %bb.6029:                             ;   in Loop: Header=BB2_5849 Depth=2
	s_or_b64 exec, exec, s[20:21]
.LBB2_6030:                             ;   in Loop: Header=BB2_5849 Depth=2
	s_or_b64 exec, exec, s[90:91]
                                        ; implicit-def: $vgpr23
.LBB2_6031:                             ;   in Loop: Header=BB2_5849 Depth=2
	s_andn2_saveexec_b64 s[20:21], s[88:89]
; %bb.6032:                             ;   in Loop: Header=BB2_5849 Depth=2
	v_or_b32_e32 v13, 0x7e, v23
; %bb.6033:                             ;   in Loop: Header=BB2_5849 Depth=2
	s_or_b64 exec, exec, s[20:21]
                                        ; implicit-def: $vgpr2
.LBB2_6034:                             ;   in Loop: Header=BB2_5849 Depth=2
	s_andn2_saveexec_b64 s[20:21], s[78:79]
; %bb.6035:                             ;   in Loop: Header=BB2_5849 Depth=2
	v_or_b32_sdwa v13, v2, s39 dst_sel:DWORD dst_unused:UNUSED_PAD src0_sel:BYTE_3 src1_sel:DWORD
; %bb.6036:                             ;   in Loop: Header=BB2_5849 Depth=2
	s_or_b64 exec, exec, s[20:21]
	flat_load_ubyte v2, v[10:11] offset:448 glc slc
	v_mov_b32_e32 v6, 0
	s_waitcnt vmcnt(0) lgkmcnt(0)
	v_cmp_ne_u16_e32 vcc, 0, v2
	s_and_saveexec_b64 s[20:21], vcc
	s_cbranch_execz .LBB2_6042
; %bb.6037:                             ;   in Loop: Header=BB2_5849 Depth=2
	v_cmp_ne_u16_e32 vcc, s48, v2
	v_bfrev_b32_e32 v6, 1
	s_and_saveexec_b64 s[78:79], vcc
	s_cbranch_execz .LBB2_6041
; %bb.6038:                             ;   in Loop: Header=BB2_5849 Depth=2
	v_and_b32_e32 v10, 0xffff, v2
	v_and_b32_e32 v7, 0x7f, v10
	v_cmp_ne_u32_e32 vcc, s39, v7
	v_mov_b32_e32 v6, 0x7f800001
	s_and_saveexec_b64 s[88:89], vcc
	s_cbranch_execz .LBB2_6040
; %bb.6039:                             ;   in Loop: Header=BB2_5849 Depth=2
	v_and_b32_e32 v8, 7, v10
	v_ffbh_u32_e32 v6, v8
	v_min_u32_e32 v11, 32, v6
	v_subrev_u32_e32 v6, 28, v11
	v_lshrrev_b32_e32 v9, 3, v7
	v_cmp_gt_u32_e32 vcc, 8, v7
	v_lshlrev_b64 v[6:7], v6, v[10:11]
	v_sub_u32_e32 v7, 29, v11
	v_and_b32_e32 v6, 7, v6
	v_cndmask_b32_e32 v7, v9, v7, vcc
	v_cndmask_b32_e32 v6, v8, v6, vcc
	v_lshlrev_b32_e32 v2, 24, v2
	v_lshlrev_b32_e32 v6, 20, v6
	v_and_b32_e32 v2, 0x80000000, v2
	v_lshl_add_u32 v7, v7, 23, v59
	v_or3_b32 v6, v2, v7, v6
.LBB2_6040:                             ;   in Loop: Header=BB2_5849 Depth=2
	s_or_b64 exec, exec, s[88:89]
.LBB2_6041:                             ;   in Loop: Header=BB2_5849 Depth=2
	s_or_b64 exec, exec, s[78:79]
.LBB2_6042:                             ;   in Loop: Header=BB2_5849 Depth=2
	s_or_b64 exec, exec, s[20:21]
	v_mul_f32_e32 v10, s94, v6
	v_and_b32_e32 v32, 0x7f800000, v10
	v_cmp_ne_u64_e32 vcc, s[46:47], v[32:33]
                                        ; implicit-def: $vgpr2
	s_and_saveexec_b64 s[20:21], vcc
	s_xor_b64 s[78:79], exec, s[20:21]
	s_cbranch_execz .LBB2_6060
; %bb.6043:                             ;   in Loop: Header=BB2_5849 Depth=2
	v_and_b32_e32 v32, 0x7fffffff, v10
	v_cmp_gt_u64_e32 vcc, s[56:57], v[32:33]
	v_and_b32_sdwa v23, v10, s48 dst_sel:DWORD dst_unused:UNUSED_PAD src0_sel:BYTE_3 src1_sel:DWORD
                                        ; implicit-def: $vgpr2
	s_and_saveexec_b64 s[20:21], vcc
	s_xor_b64 s[88:89], exec, s[20:21]
	s_cbranch_execz .LBB2_6057
; %bb.6044:                             ;   in Loop: Header=BB2_5849 Depth=2
	v_cmp_ne_u32_e32 vcc, 0, v10
	v_mov_b32_e32 v2, 0
	s_and_saveexec_b64 s[90:91], vcc
	s_cbranch_execz .LBB2_6056
; %bb.6045:                             ;   in Loop: Header=BB2_5849 Depth=2
	v_bfe_u32 v2, v10, 23, 8
	v_cmp_gt_u32_e64 s[20:21], s49, v2
	v_sub_u32_e32 v6, 0x79, v2
	v_and_b32_e32 v7, 0x7fffff, v10
	v_cmp_eq_u32_e32 vcc, 0, v2
	v_cndmask_b32_e64 v6, 0, v6, s[20:21]
	v_or_b32_e32 v8, 0x800000, v7
	v_cndmask_b32_e32 v6, v6, v60, vcc
	v_cndmask_b32_e32 v32, v8, v7, vcc
	v_add_u32_e32 v7, 20, v6
	v_lshlrev_b64 v[7:8], v7, -1
	v_add_u32_e32 v9, 19, v6
	v_lshlrev_b64 v[9:10], v9, 1
	v_bfi_b32 v8, v8, 0, 0
	v_bfi_b32 v7, v7, 0, v32
	v_cmp_eq_u64_e64 s[20:21], v[7:8], v[9:10]
	v_lshrrev_b64 v[10:11], v6, v[32:33]
	v_mov_b32_e32 v12, v11
	v_mov_b32_e32 v11, v10
	s_and_saveexec_b64 s[92:93], s[20:21]
; %bb.6046:                             ;   in Loop: Header=BB2_5849 Depth=2
	v_bfe_u32 v7, v10, 20, 1
	v_add_co_u32_e64 v7, s[20:21], v10, v7
	v_add_co_u32_e64 v11, s[20:21], -1, v7
; %bb.6047:                             ;   in Loop: Header=BB2_5849 Depth=2
	s_or_b64 exec, exec, s[92:93]
	v_add_u32_e32 v2, 0xffffff81, v2
	v_cndmask_b32_e32 v2, v2, v61, vcc
	v_lshrrev_b32_e32 v7, 23, v10
	v_add3_u32 v6, v6, v2, v7
	v_add_u32_e32 v2, 6, v6
	v_and_b32_e32 v7, 0xfffff, v11
	v_add_u32_e32 v32, v7, v10
	v_cmp_ne_u32_e32 vcc, 0, v2
                                        ; implicit-def: $vgpr10_vgpr11
                                        ; implicit-def: $vgpr12
	s_and_saveexec_b64 s[20:21], vcc
	s_xor_b64 s[20:21], exec, s[20:21]
; %bb.6048:                             ;   in Loop: Header=BB2_5849 Depth=2
	v_cmp_lt_u64_e32 vcc, s[58:59], v[32:33]
	v_add_u32_e32 v6, 7, v6
	v_cndmask_b32_e32 v12, v2, v6, vcc
	v_cndmask_b32_e64 v2, 0, 1, vcc
	v_lshrrev_b64 v[10:11], v2, v[32:33]
; %bb.6049:                             ;   in Loop: Header=BB2_5849 Depth=2
	s_andn2_saveexec_b64 s[20:21], s[20:21]
; %bb.6050:                             ;   in Loop: Header=BB2_5849 Depth=2
	v_mov_b32_e32 v10, v32
	v_bfe_u32 v12, v32, 23, 1
	v_mov_b32_e32 v11, v33
; %bb.6051:                             ;   in Loop: Header=BB2_5849 Depth=2
	s_or_b64 exec, exec, s[20:21]
	v_lshrrev_b64 v[6:7], 20, v[10:11]
	v_cmp_gt_i32_e32 vcc, 16, v12
	v_cndmask_b32_e32 v11, 0, v7, vcc
	v_cndmask_b32_e32 v10, 7, v6, vcc
	v_cmp_ne_u64_e32 vcc, 0, v[10:11]
	v_cmp_ne_u32_e64 s[20:21], 0, v12
	s_or_b64 s[20:21], s[20:21], vcc
                                        ; implicit-def: $vgpr2
	s_and_saveexec_b64 s[92:93], s[20:21]
	s_xor_b64 s[20:21], exec, s[92:93]
; %bb.6052:                             ;   in Loop: Header=BB2_5849 Depth=2
	v_min_i32_e32 v2, 15, v12
	v_lshl_or_b32 v2, v2, 3, v23
	v_and_or_b32 v2, v10, 7, v2
                                        ; implicit-def: $vgpr23
; %bb.6053:                             ;   in Loop: Header=BB2_5849 Depth=2
	s_andn2_saveexec_b64 s[20:21], s[20:21]
; %bb.6054:                             ;   in Loop: Header=BB2_5849 Depth=2
	v_mov_b32_e32 v2, v23
; %bb.6055:                             ;   in Loop: Header=BB2_5849 Depth=2
	s_or_b64 exec, exec, s[20:21]
.LBB2_6056:                             ;   in Loop: Header=BB2_5849 Depth=2
	s_or_b64 exec, exec, s[90:91]
                                        ; implicit-def: $vgpr23
.LBB2_6057:                             ;   in Loop: Header=BB2_5849 Depth=2
	s_andn2_saveexec_b64 s[20:21], s[88:89]
; %bb.6058:                             ;   in Loop: Header=BB2_5849 Depth=2
	v_or_b32_e32 v2, 0x7e, v23
; %bb.6059:                             ;   in Loop: Header=BB2_5849 Depth=2
	s_or_b64 exec, exec, s[20:21]
                                        ; implicit-def: $vgpr10
.LBB2_6060:                             ;   in Loop: Header=BB2_5849 Depth=2
	s_andn2_saveexec_b64 s[20:21], s[78:79]
	s_cbranch_execz .LBB2_5848
; %bb.6061:                             ;   in Loop: Header=BB2_5849 Depth=2
	v_or_b32_sdwa v2, v10, s39 dst_sel:DWORD dst_unused:UNUSED_PAD src0_sel:BYTE_3 src1_sel:DWORD
	s_branch .LBB2_5848
.LBB2_6062:                             ;   in Loop: Header=BB2_4691 Depth=1
	s_or_b64 exec, exec, s[76:77]
	buffer_load_dword v16, off, s[0:3], s33 offset:168 ; 4-byte Folded Reload
	buffer_load_dword v17, off, s[0:3], s33 offset:172 ; 4-byte Folded Reload
.LBB2_6063:                             ;   in Loop: Header=BB2_4691 Depth=1
	s_or_b64 exec, exec, s[74:75]
	v_and_b32_e32 v2, 0xfffffe00, v1
	v_cmp_ne_u32_e32 vcc, v1, v2
	s_and_b64 exec, exec, vcc
	s_cbranch_execz .LBB2_6098
; %bb.6064:                             ;   in Loop: Header=BB2_4691 Depth=1
	v_lshlrev_b32_e32 v3, 6, v3
	v_sub_u32_e32 v0, v0, v3
	v_lshlrev_b32_e32 v3, 6, v15
	v_sub_u32_e32 v3, v0, v3
	v_and_b32_e32 v0, 0x1ff, v1
	v_sub_u32_e32 v0, v0, v3
	v_cmp_lt_i32_e32 vcc, 0, v0
	s_and_b64 exec, exec, vcc
	s_cbranch_execz .LBB2_6098
; %bb.6065:                             ;   in Loop: Header=BB2_4691 Depth=1
	s_trap 2
	ds_read_b64 v[10:11], v0
	v_add3_u32 v1, v2, v14, v3
	v_ashrrev_i32_e32 v3, 31, v1
	s_mov_b64 s[74:75], 0
	s_branch .LBB2_6067
.LBB2_6066:                             ;   in Loop: Header=BB2_6067 Depth=2
	s_or_b64 exec, exec, s[20:21]
	flat_store_byte v[12:13], v2 glc slc
	buffer_load_dword v2, off, s[0:3], s33 offset:128 ; 4-byte Folded Reload
	s_waitcnt vmcnt(0)
	v_sub_u32_e32 v0, v0, v2
	v_cmp_gt_i32_e32 vcc, 1, v0
	s_or_b64 s[74:75], vcc, s[74:75]
	v_add_co_u32_e32 v1, vcc, v1, v2
	v_addc_co_u32_e32 v3, vcc, 0, v3, vcc
	s_andn2_b64 exec, exec, s[74:75]
	s_cbranch_execz .LBB2_6098
.LBB2_6067:                             ;   Parent Loop BB2_4691 Depth=1
                                        ; =>  This Inner Loop Header: Depth=2
	s_trap 2
	ds_read_b64 v[12:13], v0
	s_waitcnt lgkmcnt(0)
	v_cmp_eq_u32_sdwa s[76:77], v12, v33 src0_sel:BYTE_0 src1_sel:DWORD
	v_readfirstlane_b32 s20, v12
	s_and_b64 vcc, exec, s[76:77]
	v_readfirstlane_b32 s21, v13
	s_cbranch_vccnz .LBB2_6071
; %bb.6068:                             ;   in Loop: Header=BB2_6067 Depth=2
	v_cmp_eq_u32_sdwa s[76:77], v12, s48 src0_sel:BYTE_0 src1_sel:DWORD
	s_and_b64 vcc, exec, s[76:77]
	s_brev_b32 s88, 1
	s_cbranch_vccnz .LBB2_6072
; %bb.6069:                             ;   in Loop: Header=BB2_6067 Depth=2
	s_and_b32 s76, s20, 0x7f
	s_cmpk_eq_i32 s76, 0x7f
	s_mov_b32 s88, 0x7f800001
	s_cbranch_scc1 .LBB2_6072
; %bb.6070:                             ;   in Loop: Header=BB2_6067 Depth=2
	s_and_b32 s77, s20, 7
	s_flbit_i32_b32 s77, s77
	s_min_u32 s77, s77, 32
	s_lshr_b32 s78, s76, 3
	s_sub_i32 s79, s77, 28
	s_sub_i32 s77, 29, s77
	s_cmp_lt_u32 s76, 8
	s_cselect_b32 s76, s79, 0
	s_cselect_b32 s78, s77, s78
	s_lshl_b64 s[76:77], s[20:21], s76
	s_lshl_b32 s21, s76, 20
	s_lshl_b32 s20, s20, 24
	s_lshl_b32 s76, s78, 23
	s_and_b32 s20, s20, 0x80000000
	s_add_i32 s76, s76, 0x3c000000
	s_and_b32 s21, s21, 0x700000
	s_or_b32 s20, s20, s76
	s_or_b32 s88, s20, s21
	s_branch .LBB2_6072
.LBB2_6071:                             ;   in Loop: Header=BB2_6067 Depth=2
	s_mov_b32 s88, 0
.LBB2_6072:                             ;   in Loop: Header=BB2_6067 Depth=2
	v_add_co_u32_e32 v12, vcc, v10, v1
	v_addc_co_u32_e32 v13, vcc, v11, v3, vcc
	flat_load_ubyte v2, v[12:13] glc slc
	v_mov_b32_e32 v4, 0
	s_waitcnt vmcnt(0) lgkmcnt(0)
	v_cmp_ne_u16_e32 vcc, 0, v2
	s_and_saveexec_b64 s[20:21], vcc
	s_cbranch_execz .LBB2_6078
; %bb.6073:                             ;   in Loop: Header=BB2_6067 Depth=2
	v_cmp_ne_u16_e32 vcc, s48, v2
	v_bfrev_b32_e32 v4, 1
	s_and_saveexec_b64 s[76:77], vcc
	s_cbranch_execz .LBB2_6077
; %bb.6074:                             ;   in Loop: Header=BB2_6067 Depth=2
	v_and_b32_e32 v30, 0xffff, v2
	v_and_b32_e32 v5, 0x7f, v30
	v_cmp_ne_u32_e32 vcc, s39, v5
	v_mov_b32_e32 v4, 0x7f800001
	s_and_saveexec_b64 s[78:79], vcc
	s_cbranch_execz .LBB2_6076
; %bb.6075:                             ;   in Loop: Header=BB2_6067 Depth=2
	v_and_b32_e32 v6, 7, v30
	v_ffbh_u32_e32 v4, v6
	v_min_u32_e32 v8, 32, v4
	v_subrev_u32_e32 v4, 28, v8
	v_lshrrev_b32_e32 v7, 3, v5
	v_cmp_gt_u32_e32 vcc, 8, v5
	v_lshlrev_b64 v[4:5], v4, v[30:31]
	v_sub_u32_e32 v5, 29, v8
	v_and_b32_e32 v4, 7, v4
	v_cndmask_b32_e32 v5, v7, v5, vcc
	v_cndmask_b32_e32 v4, v6, v4, vcc
	v_lshlrev_b32_e32 v2, 24, v2
	v_lshlrev_b32_e32 v4, 20, v4
	v_and_b32_e32 v2, 0x80000000, v2
	v_lshl_add_u32 v5, v5, 23, v59
	v_or3_b32 v4, v2, v5, v4
.LBB2_6076:                             ;   in Loop: Header=BB2_6067 Depth=2
	s_or_b64 exec, exec, s[78:79]
.LBB2_6077:                             ;   in Loop: Header=BB2_6067 Depth=2
	s_or_b64 exec, exec, s[76:77]
.LBB2_6078:                             ;   in Loop: Header=BB2_6067 Depth=2
	s_or_b64 exec, exec, s[20:21]
	v_mul_f32_e32 v5, s88, v4
	v_and_b32_e32 v32, 0x7f800000, v5
	v_cmp_ne_u64_e32 vcc, s[46:47], v[32:33]
                                        ; implicit-def: $vgpr2
	s_and_saveexec_b64 s[20:21], vcc
	s_xor_b64 s[76:77], exec, s[20:21]
	s_cbranch_execz .LBB2_6096
; %bb.6079:                             ;   in Loop: Header=BB2_6067 Depth=2
	v_and_b32_e32 v32, 0x7fffffff, v5
	v_cmp_gt_u64_e32 vcc, s[56:57], v[32:33]
	v_and_b32_sdwa v4, v5, s48 dst_sel:DWORD dst_unused:UNUSED_PAD src0_sel:BYTE_3 src1_sel:DWORD
                                        ; implicit-def: $vgpr2
	s_and_saveexec_b64 s[20:21], vcc
	s_xor_b64 s[78:79], exec, s[20:21]
	s_cbranch_execz .LBB2_6093
; %bb.6080:                             ;   in Loop: Header=BB2_6067 Depth=2
	v_cmp_ne_u32_e32 vcc, 0, v5
	v_mov_b32_e32 v2, 0
	s_and_saveexec_b64 s[88:89], vcc
	s_cbranch_execz .LBB2_6092
; %bb.6081:                             ;   in Loop: Header=BB2_6067 Depth=2
	v_bfe_u32 v2, v5, 23, 8
	v_and_b32_e32 v6, 0x7fffff, v5
	v_cmp_gt_u32_e64 s[20:21], s49, v2
	v_sub_u32_e32 v5, 0x79, v2
	v_cmp_eq_u32_e32 vcc, 0, v2
	v_cndmask_b32_e64 v5, 0, v5, s[20:21]
	v_or_b32_e32 v7, 0x800000, v6
	v_cndmask_b32_e32 v5, v5, v60, vcc
	v_cndmask_b32_e32 v32, v7, v6, vcc
	v_add_u32_e32 v6, 20, v5
	v_lshlrev_b64 v[6:7], v6, -1
	v_add_u32_e32 v8, 19, v5
	v_lshlrev_b64 v[8:9], v8, 1
	v_lshrrev_b64 v[49:50], v5, v[32:33]
	v_bfi_b32 v7, v7, 0, 0
	v_bfi_b32 v6, v6, 0, v32
	v_cmp_eq_u64_e64 s[20:21], v[6:7], v[8:9]
	v_mov_b32_e32 v51, v50
	v_mov_b32_e32 v50, v49
	s_and_saveexec_b64 s[90:91], s[20:21]
; %bb.6082:                             ;   in Loop: Header=BB2_6067 Depth=2
	v_bfe_u32 v6, v49, 20, 1
	v_add_co_u32_e64 v6, s[20:21], v49, v6
	v_add_co_u32_e64 v50, s[20:21], -1, v6
; %bb.6083:                             ;   in Loop: Header=BB2_6067 Depth=2
	s_or_b64 exec, exec, s[90:91]
	v_add_u32_e32 v2, 0xffffff81, v2
	v_cndmask_b32_e32 v2, v2, v61, vcc
	v_lshrrev_b32_e32 v6, 23, v49
	v_add3_u32 v6, v5, v2, v6
	v_add_u32_e32 v2, 6, v6
	v_and_b32_e32 v5, 0xfffff, v50
	v_add_u32_e32 v32, v5, v49
	v_cmp_ne_u32_e32 vcc, 0, v2
                                        ; implicit-def: $vgpr49_vgpr50
                                        ; implicit-def: $vgpr5
	s_and_saveexec_b64 s[20:21], vcc
	s_xor_b64 s[20:21], exec, s[20:21]
; %bb.6084:                             ;   in Loop: Header=BB2_6067 Depth=2
	v_cmp_lt_u64_e32 vcc, s[58:59], v[32:33]
	v_add_u32_e32 v5, 7, v6
	v_cndmask_b32_e32 v5, v2, v5, vcc
	v_cndmask_b32_e64 v2, 0, 1, vcc
	v_lshrrev_b64 v[49:50], v2, v[32:33]
; %bb.6085:                             ;   in Loop: Header=BB2_6067 Depth=2
	s_andn2_saveexec_b64 s[20:21], s[20:21]
; %bb.6086:                             ;   in Loop: Header=BB2_6067 Depth=2
	v_mov_b32_e32 v50, v33
	v_bfe_u32 v5, v32, 23, 1
	v_mov_b32_e32 v49, v32
; %bb.6087:                             ;   in Loop: Header=BB2_6067 Depth=2
	s_or_b64 exec, exec, s[20:21]
	v_lshrrev_b64 v[6:7], 20, v[49:50]
	v_cmp_gt_i32_e32 vcc, 16, v5
	v_cndmask_b32_e32 v50, 0, v7, vcc
	v_cndmask_b32_e32 v49, 7, v6, vcc
	v_cmp_ne_u64_e32 vcc, 0, v[49:50]
	v_cmp_ne_u32_e64 s[20:21], 0, v5
	s_or_b64 s[20:21], s[20:21], vcc
                                        ; implicit-def: $vgpr2
	s_and_saveexec_b64 s[90:91], s[20:21]
	s_xor_b64 s[20:21], exec, s[90:91]
; %bb.6088:                             ;   in Loop: Header=BB2_6067 Depth=2
	v_min_i32_e32 v2, 15, v5
	v_lshl_or_b32 v2, v2, 3, v4
	v_and_or_b32 v2, v49, 7, v2
                                        ; implicit-def: $vgpr4
; %bb.6089:                             ;   in Loop: Header=BB2_6067 Depth=2
	s_andn2_saveexec_b64 s[20:21], s[20:21]
; %bb.6090:                             ;   in Loop: Header=BB2_6067 Depth=2
	v_mov_b32_e32 v2, v4
; %bb.6091:                             ;   in Loop: Header=BB2_6067 Depth=2
	s_or_b64 exec, exec, s[20:21]
.LBB2_6092:                             ;   in Loop: Header=BB2_6067 Depth=2
	s_or_b64 exec, exec, s[88:89]
                                        ; implicit-def: $vgpr4
.LBB2_6093:                             ;   in Loop: Header=BB2_6067 Depth=2
	s_andn2_saveexec_b64 s[20:21], s[78:79]
; %bb.6094:                             ;   in Loop: Header=BB2_6067 Depth=2
	v_or_b32_e32 v2, 0x7e, v4
; %bb.6095:                             ;   in Loop: Header=BB2_6067 Depth=2
	s_or_b64 exec, exec, s[20:21]
                                        ; implicit-def: $vgpr5
.LBB2_6096:                             ;   in Loop: Header=BB2_6067 Depth=2
	s_andn2_saveexec_b64 s[20:21], s[76:77]
	s_cbranch_execz .LBB2_6066
; %bb.6097:                             ;   in Loop: Header=BB2_6067 Depth=2
	v_or_b32_sdwa v2, v5, s39 dst_sel:DWORD dst_unused:UNUSED_PAD src0_sel:BYTE_3 src1_sel:DWORD
	s_branch .LBB2_6066
.LBB2_6098:                             ;   in Loop: Header=BB2_4691 Depth=1
	s_or_b64 exec, exec, s[22:23]
	buffer_load_dword v0, off, s[0:3], s33 offset:148 ; 4-byte Folded Reload
	s_waitcnt vmcnt(0)
	v_cmp_ne_u32_e64 s[20:21], 0, v0
	s_and_saveexec_b64 s[22:23], s[10:11]
	s_cbranch_execz .LBB2_6117
.LBB2_6099:                             ;   in Loop: Header=BB2_4691 Depth=1
	s_and_saveexec_b64 s[74:75], s[40:41]
	s_xor_b64 s[74:75], exec, s[74:75]
	s_cbranch_execz .LBB2_6114
; %bb.6100:                             ;   in Loop: Header=BB2_4691 Depth=1
	s_and_saveexec_b64 s[76:77], s[12:13]
	s_cbranch_execz .LBB2_6113
; %bb.6101:                             ;   in Loop: Header=BB2_4691 Depth=1
	s_mov_b64 s[88:89], exec
	v_mbcnt_lo_u32_b32 v0, s88, 0
	v_mbcnt_hi_u32_b32 v0, s89, v0
	v_cmp_eq_u32_e32 vcc, 0, v0
	s_waitcnt vmcnt(0) lgkmcnt(0)
	buffer_wbinvl1_vol
	s_and_saveexec_b64 s[78:79], vcc
	s_cbranch_execz .LBB2_6103
; %bb.6102:                             ;   in Loop: Header=BB2_4691 Depth=1
	s_bcnt1_i32_b64 s88, s[88:89]
	v_mov_b32_e32 v32, s88
	ds_add_u64 v0, v[32:33]
	s_trap 2
.LBB2_6103:                             ;   in Loop: Header=BB2_4691 Depth=1
	s_or_b64 exec, exec, s[78:79]
	s_trap 2
	ds_read_b64 v[0:1], v0
	s_waitcnt lgkmcnt(0)
	buffer_load_dword v2, off, s[0:3], s33 offset:76 ; 4-byte Folded Reload
	buffer_load_dword v3, off, s[0:3], s33 offset:80 ; 4-byte Folded Reload
	;; [unrolled: 1-line block ×3, first 2 shown]
	s_waitcnt vmcnt(0)
	v_add_co_u32_e32 v2, vcc, v2, v4
	v_addc_co_u32_e32 v3, vcc, 0, v3, vcc
	buffer_store_dword v2, off, s[0:3], s33 offset:76 ; 4-byte Folded Spill
	s_nop 0
	buffer_store_dword v3, off, s[0:3], s33 offset:80 ; 4-byte Folded Spill
	v_cmp_lt_u64_e32 vcc, v[0:1], v[2:3]
	s_and_saveexec_b64 s[78:79], vcc
	s_cbranch_execz .LBB2_6112
; %bb.6104:                             ;   in Loop: Header=BB2_4691 Depth=1
	s_mov_b32 s34, 0
	s_mov_b64 s[88:89], 0
                                        ; implicit-def: $sgpr90_sgpr91
                                        ; implicit-def: $sgpr92_sgpr93
	s_branch .LBB2_6106
.LBB2_6105:                             ;   in Loop: Header=BB2_6106 Depth=2
	s_or_b64 exec, exec, s[30:31]
	s_and_b64 s[94:95], exec, vcc
	s_or_b64 s[88:89], s[94:95], s[88:89]
	s_andn2_b64 s[90:91], s[90:91], exec
	s_and_b64 s[94:95], s[92:93], exec
	s_or_b64 s[90:91], s[90:91], s[94:95]
	s_andn2_b64 exec, exec, s[88:89]
	s_cbranch_execz .LBB2_6110
.LBB2_6106:                             ;   Parent Loop BB2_4691 Depth=1
                                        ; =>  This Inner Loop Header: Depth=2
	s_add_i32 s34, s34, 1
	s_cmpk_lg_i32 s34, 0x2710
	s_cselect_b64 s[94:95], -1, 0
	s_and_b64 vcc, exec, s[94:95]
	s_cbranch_vccz .LBB2_6108
; %bb.6107:                             ;   in Loop: Header=BB2_6106 Depth=2
	s_mov_b64 vcc, -1
	s_or_b64 s[92:93], s[92:93], exec
	s_and_saveexec_b64 s[30:31], s[94:95]
	s_cbranch_execz .LBB2_6105
	s_branch .LBB2_6109
.LBB2_6108:                             ;   in Loop: Header=BB2_6106 Depth=2
	s_trap 2
	ds_read_b64 v[0:1], v0
	s_andn2_b64 s[94:95], s[94:95], exec
	s_mov_b32 s34, 0
	s_waitcnt vmcnt(0) lgkmcnt(0)
	flat_load_dword v0, v[0:1] glc
	s_waitcnt vmcnt(0) lgkmcnt(0)
	buffer_wbinvl1_vol
	v_cmp_eq_u32_e32 vcc, 0, v0
	s_and_b64 vcc, vcc, exec
	s_or_b64 s[94:95], s[94:95], vcc
	s_mov_b64 vcc, -1
	s_or_b64 s[92:93], s[92:93], exec
	s_and_saveexec_b64 s[30:31], s[94:95]
	s_cbranch_execz .LBB2_6105
.LBB2_6109:                             ;   in Loop: Header=BB2_6106 Depth=2
	s_sleep 1
	s_trap 2
	ds_read_b64 v[0:1], v0
	s_waitcnt lgkmcnt(0)
	buffer_load_dword v2, off, s[0:3], s33 offset:76 ; 4-byte Folded Reload
	buffer_load_dword v3, off, s[0:3], s33 offset:80 ; 4-byte Folded Reload
	s_andn2_b64 s[92:93], s[92:93], exec
	s_waitcnt vmcnt(0)
	v_cmp_ge_u64_e32 vcc, v[0:1], v[2:3]
	s_orn2_b64 vcc, vcc, exec
	s_branch .LBB2_6105
.LBB2_6110:                             ;   in Loop: Header=BB2_4691 Depth=1
	s_or_b64 exec, exec, s[88:89]
	s_and_saveexec_b64 s[88:89], s[90:91]
	s_xor_b64 s[88:89], exec, s[88:89]
	s_cbranch_execz .LBB2_6112
; %bb.6111:                             ;   in Loop: Header=BB2_4691 Depth=1
	v_mov_b32_e32 v0, 1
	ds_write_b32 v0, v0
	s_trap 2
.LBB2_6112:                             ;   in Loop: Header=BB2_4691 Depth=1
	s_or_b64 exec, exec, s[78:79]
	;;#ASMSTART
	s_wakeup
	;;#ASMEND
.LBB2_6113:                             ;   in Loop: Header=BB2_4691 Depth=1
	s_or_b64 exec, exec, s[76:77]
.LBB2_6114:                             ;   in Loop: Header=BB2_4691 Depth=1
	s_andn2_saveexec_b64 s[74:75], s[74:75]
	s_cbranch_execz .LBB2_6116
; %bb.6115:                             ;   in Loop: Header=BB2_4691 Depth=1
	s_waitcnt vmcnt(0) lgkmcnt(0)
	buffer_wbinvl1_vol
	s_barrier
.LBB2_6116:                             ;   in Loop: Header=BB2_4691 Depth=1
	s_or_b64 exec, exec, s[74:75]
.LBB2_6117:                             ;   in Loop: Header=BB2_4691 Depth=1
	s_or_b64 exec, exec, s[22:23]
	v_and_b32_e32 v0, 16, v45
	v_cmp_ne_u32_e32 vcc, 0, v0
	s_and_b64 s[22:23], vcc, s[20:21]
	s_and_saveexec_b64 s[20:21], s[22:23]
	s_cbranch_execz .LBB2_6119
; %bb.6118:                             ;   in Loop: Header=BB2_4691 Depth=1
	s_waitcnt vmcnt(0) lgkmcnt(0)
	buffer_wbinvl1_vol
.LBB2_6119:                             ;   in Loop: Header=BB2_4691 Depth=1
	s_or_b64 exec, exec, s[20:21]
	v_cmp_ne_u32_e32 vcc, 0, v0
	s_and_saveexec_b64 s[20:21], vcc
	s_cbranch_execz .LBB2_6123
; %bb.6120:                             ;   in Loop: Header=BB2_4691 Depth=1
	s_and_saveexec_b64 s[22:23], s[18:19]
	s_cbranch_execz .LBB2_6122
; %bb.6121:                             ;   in Loop: Header=BB2_4691 Depth=1
	buffer_load_dword v0, off, s[0:3], s33 offset:156 ; 4-byte Folded Reload
	buffer_load_dword v1, off, s[0:3], s33 offset:160 ; 4-byte Folded Reload
	v_mov_b32_e32 v2, 1
	s_waitcnt vmcnt(0)
	flat_store_dword v[0:1], v2
.LBB2_6122:                             ;   in Loop: Header=BB2_4691 Depth=1
	s_or_b64 exec, exec, s[22:23]
	buffer_load_dword v0, off, s[0:3], s33 offset:60 ; 4-byte Folded Reload
	buffer_load_dword v1, off, s[0:3], s33 offset:64 ; 4-byte Folded Reload
	buffer_load_dword v2, off, s[0:3], s33 offset:68 ; 4-byte Folded Reload
	buffer_load_dword v3, off, s[0:3], s33 offset:72 ; 4-byte Folded Reload
	s_waitcnt vmcnt(0)
	v_add_co_u32_e32 v2, vcc, 1, v2
	v_addc_co_u32_e32 v3, vcc, 0, v3, vcc
	buffer_store_dword v0, off, s[0:3], s33 offset:60 ; 4-byte Folded Spill
	s_nop 0
	buffer_store_dword v1, off, s[0:3], s33 offset:64 ; 4-byte Folded Spill
	buffer_store_dword v2, off, s[0:3], s33 offset:68 ; 4-byte Folded Spill
	;; [unrolled: 1-line block ×3, first 2 shown]
	flat_store_dwordx2 v[18:19], v[2:3]
.LBB2_6123:                             ;   in Loop: Header=BB2_4691 Depth=1
	s_or_b64 exec, exec, s[20:21]
	v_mov_b32_e32 v0, v48
.LBB2_6124:                             ;   in Loop: Header=BB2_4691 Depth=1
	s_or_b64 exec, exec, s[72:73]
	s_and_saveexec_b64 s[22:23], s[62:63]
	s_cbranch_execz .LBB2_4690
; %bb.6125:                             ;   in Loop: Header=BB2_4691 Depth=1
	v_sub_u32_e32 v0, v38, v0
	v_min_i32_e32 v10, v48, v0
	v_and_b32_e32 v0, 8, v45
	v_cmp_ne_u32_e32 vcc, 0, v0
	s_and_saveexec_b64 s[62:63], vcc
	s_cbranch_execz .LBB2_6147
; %bb.6126:                             ;   in Loop: Header=BB2_4691 Depth=1
	buffer_load_dword v2, off, s[0:3], s33 offset:60 ; 4-byte Folded Reload
	buffer_load_dword v3, off, s[0:3], s33 offset:64 ; 4-byte Folded Reload
	;; [unrolled: 1-line block ×4, first 2 shown]
	v_add_co_u32_e32 v0, vcc, 8, v24
	v_addc_co_u32_e32 v1, vcc, 0, v25, vcc
	s_waitcnt vmcnt(0)
	v_add_co_u32_e32 v12, vcc, 1, v4
	v_addc_co_u32_e32 v13, vcc, 0, v5, vcc
	v_cmp_lt_u64_e32 vcc, v[0:1], v[12:13]
	s_and_saveexec_b64 s[72:73], vcc
	s_cbranch_execz .LBB2_6138
; %bb.6127:                             ;   in Loop: Header=BB2_4691 Depth=1
	v_and_b32_e32 v0, 64, v45
	s_mov_b32 s36, 0
	v_cmp_eq_u32_e32 vcc, 0, v0
	s_mov_b64 s[74:75], 0
                                        ; implicit-def: $sgpr76_sgpr77
                                        ; implicit-def: $sgpr78_sgpr79
                                        ; implicit-def: $sgpr88_sgpr89
	s_branch .LBB2_6130
.LBB2_6128:                             ;   in Loop: Header=BB2_6130 Depth=2
	s_or_b64 exec, exec, s[34:35]
	s_andn2_b64 s[20:21], s[88:89], exec
	s_and_b64 s[88:89], s[94:95], exec
	s_or_b64 s[88:89], s[20:21], s[88:89]
	s_andn2_b64 s[20:21], s[78:79], exec
	s_and_b64 s[78:79], s[92:93], exec
	s_or_b64 s[78:79], s[20:21], s[78:79]
.LBB2_6129:                             ;   in Loop: Header=BB2_6130 Depth=2
	s_or_b64 exec, exec, s[90:91]
	s_and_b64 s[20:21], exec, s[78:79]
	s_or_b64 s[74:75], s[20:21], s[74:75]
	s_andn2_b64 s[20:21], s[76:77], exec
	s_and_b64 s[76:77], s[88:89], exec
	s_or_b64 s[76:77], s[20:21], s[76:77]
	s_andn2_b64 exec, exec, s[74:75]
	s_cbranch_execz .LBB2_6135
.LBB2_6130:                             ;   Parent Loop BB2_4691 Depth=1
                                        ; =>  This Inner Loop Header: Depth=2
	s_sleep 1
	s_waitcnt vmcnt(0) lgkmcnt(0)
	flat_load_dwordx2 v[24:25], v[18:19] glc
	s_or_b64 s[88:89], s[88:89], exec
	s_or_b64 s[78:79], s[78:79], exec
                                        ; implicit-def: $vgpr0
	s_and_saveexec_b64 s[90:91], vcc
	s_cbranch_execz .LBB2_6129
; %bb.6131:                             ;   in Loop: Header=BB2_6130 Depth=2
	s_cmpk_lt_i32 s36, 0x270f
	s_cselect_b64 s[30:31], -1, 0
	s_cmpk_gt_i32 s36, 0x270e
	s_mov_b64 s[92:93], -1
	s_cbranch_scc0 .LBB2_6133
; %bb.6132:                             ;   in Loop: Header=BB2_6130 Depth=2
	s_trap 2
	ds_read_b64 v[0:1], v0
	s_andn2_b64 s[30:31], s[30:31], exec
	s_mov_b32 s36, 0
	s_mov_b64 s[94:95], 0
	s_waitcnt vmcnt(0) lgkmcnt(0)
	flat_load_dword v0, v[0:1] glc
	s_waitcnt vmcnt(0) lgkmcnt(0)
	buffer_wbinvl1_vol
	v_cmp_eq_u32_e64 s[20:21], 0, v0
	s_and_b64 s[20:21], s[20:21], exec
	s_or_b64 s[30:31], s[30:31], s[20:21]
	s_and_saveexec_b64 s[34:35], s[30:31]
	s_cbranch_execz .LBB2_6128
	s_branch .LBB2_6134
.LBB2_6133:                             ;   in Loop: Header=BB2_6130 Depth=2
	s_add_i32 s36, s36, 1
	s_mov_b64 s[94:95], -1
                                        ; implicit-def: $vgpr0
	s_and_saveexec_b64 s[34:35], s[30:31]
	s_cbranch_execz .LBB2_6128
.LBB2_6134:                             ;   in Loop: Header=BB2_6130 Depth=2
	s_waitcnt vmcnt(0) lgkmcnt(0)
	v_add_co_u32_e64 v1, s[20:21], 8, v24
	v_addc_co_u32_e64 v2, s[20:21], 0, v25, s[20:21]
	v_cmp_ge_u64_e64 s[20:21], v[1:2], v[12:13]
	s_or_b64 s[94:95], s[94:95], exec
	s_orn2_b64 s[92:93], s[20:21], exec
	s_branch .LBB2_6128
.LBB2_6135:                             ;   in Loop: Header=BB2_4691 Depth=1
	s_or_b64 exec, exec, s[74:75]
	s_xor_b64 s[20:21], s[76:77], -1
	s_and_saveexec_b64 s[74:75], s[20:21]
	s_xor_b64 s[20:21], exec, s[74:75]
	s_cbranch_execz .LBB2_6137
; %bb.6136:                             ;   in Loop: Header=BB2_4691 Depth=1
	v_or_b32_e32 v45, 64, v45
	s_waitcnt lgkmcnt(0)
	ds_write_b32 v0, v0
	s_trap 2
.LBB2_6137:                             ;   in Loop: Header=BB2_4691 Depth=1
	s_or_b64 exec, exec, s[20:21]
.LBB2_6138:                             ;   in Loop: Header=BB2_4691 Depth=1
	s_or_b64 exec, exec, s[72:73]
	v_and_b32_e32 v0, 0x100, v45
	;;#ASMSTART
	s_wakeup
	;;#ASMEND
	v_cmp_ne_u32_e32 vcc, 0, v0
	buffer_load_dword v0, off, s[0:3], s33 offset:60 ; 4-byte Folded Reload
	buffer_load_dword v1, off, s[0:3], s33 offset:64 ; 4-byte Folded Reload
	;; [unrolled: 1-line block ×4, first 2 shown]
	s_mov_b64 s[20:21], -1
                                        ; implicit-def: $vgpr8_vgpr9
	s_waitcnt vmcnt(0)
	v_and_b32_e32 v0, 7, v2
	s_and_saveexec_b64 s[72:73], vcc
	s_cbranch_execz .LBB2_6142
; %bb.6139:                             ;   in Loop: Header=BB2_4691 Depth=1
	buffer_load_dword v1, off, s[0:3], s33 offset:60 ; 4-byte Folded Reload
	buffer_load_dword v2, off, s[0:3], s33 offset:64 ; 4-byte Folded Reload
	;; [unrolled: 1-line block ×4, first 2 shown]
	v_ashrrev_i32_e32 v11, 31, v10
                                        ; implicit-def: $vgpr8_vgpr9
	s_waitcnt vmcnt(0)
	v_mad_u64_u32 v[38:39], s[20:21], v0, 24, v[1:2]
	flat_load_dword v1, v[38:39]
	s_nop 0
	flat_store_dwordx2 v[38:39], v[10:11] offset:8
	s_waitcnt vmcnt(0) lgkmcnt(0)
	v_cmp_ne_u32_e32 vcc, 1, v1
	v_cmp_eq_u32_e64 s[20:21], 1, v1
	s_and_saveexec_b64 s[74:75], s[20:21]
	s_cbranch_execz .LBB2_6141
; %bb.6140:                             ;   in Loop: Header=BB2_4691 Depth=1
	flat_load_dword v8, v[38:39] offset:4 glc
	s_waitcnt vmcnt(0) lgkmcnt(0)
	v_ashrrev_i32_e32 v9, 31, v8
.LBB2_6141:                             ;   in Loop: Header=BB2_4691 Depth=1
	s_or_b64 exec, exec, s[74:75]
	s_orn2_b64 s[20:21], vcc, exec
.LBB2_6142:                             ;   in Loop: Header=BB2_4691 Depth=1
	s_or_b64 exec, exec, s[72:73]
	s_and_saveexec_b64 s[72:73], s[20:21]
	s_cbranch_execz .LBB2_6144
; %bb.6143:                             ;   in Loop: Header=BB2_4691 Depth=1
	buffer_load_dword v1, off, s[0:3], s33 offset:152 ; 4-byte Folded Reload
	s_waitcnt vmcnt(0)
	v_mad_i64_i32 v[8:9], s[20:21], v0, v1, 0
.LBB2_6144:                             ;   in Loop: Header=BB2_4691 Depth=1
	s_or_b64 exec, exec, s[72:73]
	buffer_load_dword v0, off, s[0:3], s33 offset:120 ; 4-byte Folded Reload
	buffer_load_dword v1, off, s[0:3], s33 offset:124 ; 4-byte Folded Reload
	s_waitcnt vmcnt(0)
	v_add_co_u32_e32 v0, vcc, v0, v8
	v_addc_co_u32_e32 v1, vcc, v1, v9, vcc
	ds_write_b64 v0, v[0:1] offset:784
	v_and_b32_e32 v0, 0x2000, v45
	v_cmp_ne_u32_e32 vcc, 0, v0
	s_and_saveexec_b64 s[20:21], vcc
	s_cbranch_execz .LBB2_6146
; %bb.6145:                             ;   in Loop: Header=BB2_4691 Depth=1
	ds_read_b64 v[0:1], v0 offset:872
	s_waitcnt lgkmcnt(0)
	v_add_co_u32_e32 v0, vcc, 1, v0
	v_addc_co_u32_e32 v1, vcc, 0, v1, vcc
	ds_write_b64 v0, v[0:1] offset:872
.LBB2_6146:                             ;   in Loop: Header=BB2_4691 Depth=1
	s_or_b64 exec, exec, s[20:21]
	buffer_load_dword v0, off, s[0:3], s33 offset:60 ; 4-byte Folded Reload
	buffer_load_dword v1, off, s[0:3], s33 offset:64 ; 4-byte Folded Reload
	buffer_load_dword v2, off, s[0:3], s33 offset:68 ; 4-byte Folded Reload
	buffer_load_dword v3, off, s[0:3], s33 offset:72 ; 4-byte Folded Reload
	s_waitcnt vmcnt(0)
	v_mov_b32_e32 v2, v12
	v_mov_b32_e32 v3, v13
	buffer_store_dword v0, off, s[0:3], s33 offset:60 ; 4-byte Folded Spill
	s_nop 0
	buffer_store_dword v1, off, s[0:3], s33 offset:64 ; 4-byte Folded Spill
	buffer_store_dword v2, off, s[0:3], s33 offset:68 ; 4-byte Folded Spill
	;; [unrolled: 1-line block ×3, first 2 shown]
.LBB2_6147:                             ;   in Loop: Header=BB2_4691 Depth=1
	s_or_b64 exec, exec, s[62:63]
	s_and_saveexec_b64 s[20:21], s[10:11]
	s_cbranch_execz .LBB2_6166
; %bb.6148:                             ;   in Loop: Header=BB2_4691 Depth=1
	s_and_saveexec_b64 s[62:63], s[40:41]
	s_xor_b64 s[62:63], exec, s[62:63]
	s_cbranch_execz .LBB2_6163
; %bb.6149:                             ;   in Loop: Header=BB2_4691 Depth=1
	s_and_saveexec_b64 s[72:73], s[12:13]
	s_cbranch_execz .LBB2_6162
; %bb.6150:                             ;   in Loop: Header=BB2_4691 Depth=1
	s_mov_b64 s[76:77], exec
	v_mbcnt_lo_u32_b32 v0, s76, 0
	v_mbcnt_hi_u32_b32 v0, s77, v0
	v_cmp_eq_u32_e32 vcc, 0, v0
	s_waitcnt vmcnt(0) lgkmcnt(0)
	buffer_wbinvl1_vol
	s_and_saveexec_b64 s[74:75], vcc
	s_cbranch_execz .LBB2_6152
; %bb.6151:                             ;   in Loop: Header=BB2_4691 Depth=1
	s_bcnt1_i32_b64 s76, s[76:77]
	v_mov_b32_e32 v32, s76
	ds_add_u64 v0, v[32:33]
	s_trap 2
.LBB2_6152:                             ;   in Loop: Header=BB2_4691 Depth=1
	s_or_b64 exec, exec, s[74:75]
	s_trap 2
	ds_read_b64 v[0:1], v0
	s_waitcnt lgkmcnt(0)
	buffer_load_dword v2, off, s[0:3], s33 offset:76 ; 4-byte Folded Reload
	buffer_load_dword v3, off, s[0:3], s33 offset:80 ; 4-byte Folded Reload
	;; [unrolled: 1-line block ×3, first 2 shown]
	s_waitcnt vmcnt(0)
	v_add_co_u32_e32 v2, vcc, v2, v4
	v_addc_co_u32_e32 v3, vcc, 0, v3, vcc
	buffer_store_dword v2, off, s[0:3], s33 offset:76 ; 4-byte Folded Spill
	s_nop 0
	buffer_store_dword v3, off, s[0:3], s33 offset:80 ; 4-byte Folded Spill
	v_cmp_lt_u64_e32 vcc, v[0:1], v[2:3]
	s_and_saveexec_b64 s[74:75], vcc
	s_cbranch_execz .LBB2_6161
; %bb.6153:                             ;   in Loop: Header=BB2_4691 Depth=1
	s_mov_b32 s30, 0
	s_mov_b64 s[76:77], 0
                                        ; implicit-def: $sgpr78_sgpr79
                                        ; implicit-def: $sgpr88_sgpr89
	s_branch .LBB2_6155
.LBB2_6154:                             ;   in Loop: Header=BB2_6155 Depth=2
	s_or_b64 exec, exec, s[92:93]
	s_and_b64 s[90:91], exec, s[94:95]
	s_or_b64 s[76:77], s[90:91], s[76:77]
	s_andn2_b64 s[78:79], s[78:79], exec
	s_and_b64 s[90:91], s[88:89], exec
	s_or_b64 s[78:79], s[78:79], s[90:91]
	s_andn2_b64 exec, exec, s[76:77]
	s_cbranch_execz .LBB2_6159
.LBB2_6155:                             ;   Parent Loop BB2_4691 Depth=1
                                        ; =>  This Inner Loop Header: Depth=2
	s_add_i32 s30, s30, 1
	s_cmpk_lg_i32 s30, 0x2710
	s_cselect_b64 s[90:91], -1, 0
	s_and_b64 vcc, exec, s[90:91]
	s_cbranch_vccz .LBB2_6157
; %bb.6156:                             ;   in Loop: Header=BB2_6155 Depth=2
	s_mov_b64 s[94:95], -1
	s_or_b64 s[88:89], s[88:89], exec
	s_and_saveexec_b64 s[92:93], s[90:91]
	s_cbranch_execz .LBB2_6154
	s_branch .LBB2_6158
.LBB2_6157:                             ;   in Loop: Header=BB2_6155 Depth=2
	s_trap 2
	ds_read_b64 v[0:1], v0
	s_andn2_b64 s[90:91], s[90:91], exec
	s_mov_b32 s30, 0
	s_waitcnt vmcnt(0) lgkmcnt(0)
	flat_load_dword v0, v[0:1] glc
	s_waitcnt vmcnt(0) lgkmcnt(0)
	buffer_wbinvl1_vol
	v_cmp_eq_u32_e32 vcc, 0, v0
	s_and_b64 s[92:93], vcc, exec
	s_or_b64 s[90:91], s[90:91], s[92:93]
	s_mov_b64 s[94:95], -1
	s_or_b64 s[88:89], s[88:89], exec
	s_and_saveexec_b64 s[92:93], s[90:91]
	s_cbranch_execz .LBB2_6154
.LBB2_6158:                             ;   in Loop: Header=BB2_6155 Depth=2
	s_sleep 1
	s_trap 2
	ds_read_b64 v[0:1], v0
	s_waitcnt lgkmcnt(0)
	buffer_load_dword v2, off, s[0:3], s33 offset:76 ; 4-byte Folded Reload
	buffer_load_dword v3, off, s[0:3], s33 offset:80 ; 4-byte Folded Reload
	s_andn2_b64 s[88:89], s[88:89], exec
	s_waitcnt vmcnt(0)
	v_cmp_ge_u64_e32 vcc, v[0:1], v[2:3]
	s_orn2_b64 s[94:95], vcc, exec
	s_branch .LBB2_6154
.LBB2_6159:                             ;   in Loop: Header=BB2_4691 Depth=1
	s_or_b64 exec, exec, s[76:77]
	s_and_saveexec_b64 s[76:77], s[78:79]
	s_xor_b64 s[76:77], exec, s[76:77]
	s_cbranch_execz .LBB2_6161
; %bb.6160:                             ;   in Loop: Header=BB2_4691 Depth=1
	v_mov_b32_e32 v0, 1
	ds_write_b32 v0, v0
	s_trap 2
.LBB2_6161:                             ;   in Loop: Header=BB2_4691 Depth=1
	s_or_b64 exec, exec, s[74:75]
	;;#ASMSTART
	s_wakeup
	;;#ASMEND
.LBB2_6162:                             ;   in Loop: Header=BB2_4691 Depth=1
	s_or_b64 exec, exec, s[72:73]
.LBB2_6163:                             ;   in Loop: Header=BB2_4691 Depth=1
	s_andn2_saveexec_b64 s[62:63], s[62:63]
	s_cbranch_execz .LBB2_6165
; %bb.6164:                             ;   in Loop: Header=BB2_4691 Depth=1
	s_waitcnt vmcnt(0) lgkmcnt(0)
	buffer_wbinvl1_vol
	s_barrier
.LBB2_6165:                             ;   in Loop: Header=BB2_4691 Depth=1
	s_or_b64 exec, exec, s[62:63]
.LBB2_6166:                             ;   in Loop: Header=BB2_4691 Depth=1
	s_or_b64 exec, exec, s[20:21]
	s_trap 2
	ds_read_b32 v1, v0
	v_cmp_lt_i32_e32 vcc, 0, v10
	v_and_b32_e32 v0, 16, v45
	s_waitcnt lgkmcnt(0)
	v_readfirstlane_b32 s20, v1
	s_cmp_eq_u32 s20, 0
	s_cselect_b64 s[20:21], -1, 0
	s_and_b64 s[20:21], vcc, s[20:21]
	v_cmp_ne_u32_e32 vcc, 0, v0
	s_and_b64 s[62:63], vcc, s[20:21]
	s_and_saveexec_b64 s[20:21], s[62:63]
	s_cbranch_execz .LBB2_6168
; %bb.6167:                             ;   in Loop: Header=BB2_4691 Depth=1
	s_waitcnt vmcnt(0)
	buffer_wbinvl1_vol
.LBB2_6168:                             ;   in Loop: Header=BB2_4691 Depth=1
	s_or_b64 exec, exec, s[20:21]
	v_cmp_ne_u32_e32 vcc, 0, v0
	s_and_saveexec_b64 s[20:21], vcc
	s_cbranch_execz .LBB2_4689
; %bb.6169:                             ;   in Loop: Header=BB2_4691 Depth=1
	s_and_saveexec_b64 s[62:63], s[18:19]
	s_cbranch_execz .LBB2_4688
; %bb.6170:                             ;   in Loop: Header=BB2_4691 Depth=1
	buffer_load_dword v0, off, s[0:3], s33 offset:156 ; 4-byte Folded Reload
	buffer_load_dword v1, off, s[0:3], s33 offset:160 ; 4-byte Folded Reload
	v_mov_b32_e32 v2, 1
	s_waitcnt vmcnt(0)
	flat_store_dword v[0:1], v2
	s_branch .LBB2_4688
.LBB2_6171:
	s_or_b64 exec, exec, s[42:43]
	buffer_load_dword v14, off, s[0:3], s33 offset:180 ; 4-byte Folded Reload
	buffer_load_dword v31, off, s[0:3], s33 offset:184 ; 4-byte Folded Reload
	;; [unrolled: 1-line block ×9, first 2 shown]
.LBB2_6172:
	s_or_b64 exec, exec, s[28:29]
.LBB2_6173:
	s_or_b64 exec, exec, s[26:27]
	v_and_b32_e32 v0, 0x800, v45
	v_cmp_eq_u32_e32 vcc, 0, v0
	s_and_saveexec_b64 s[6:7], vcc
	s_cbranch_execz .LBB2_6206
; %bb.6174:
	v_and_b32_e32 v0, 48, v45
	v_cmp_ne_u32_e32 vcc, 0, v0
	s_and_saveexec_b64 s[4:5], vcc
	s_cbranch_execz .LBB2_6176
; %bb.6175:
	s_waitcnt vmcnt(0) lgkmcnt(0)
	flat_store_dwordx2 v[8:9], v[50:51] offset:104
.LBB2_6176:
	s_or_b64 exec, exec, s[4:5]
	s_movk_i32 s4, 0x88
	v_and_b32_e32 v0, 0x88, v45
	v_cmp_eq_u32_e32 vcc, s4, v0
	s_and_saveexec_b64 s[10:11], vcc
	s_cbranch_execz .LBB2_6186
; %bb.6177:
	s_waitcnt vmcnt(0) lgkmcnt(0)
	v_add_u32_e32 v0, -1, v50
	v_and_b32_e32 v0, 7, v0
	v_mad_u64_u32 v[4:5], s[4:5], v0, 24, v[48:49]
	v_and_b32_e32 v2, 64, v45
	v_cmp_eq_u32_e64 s[4:5], 0, v2
	flat_load_dwordx2 v[0:1], v[4:5] offset:8 glc
	s_waitcnt vmcnt(0)
	s_mov_b32 s22, 0
	s_waitcnt lgkmcnt(0)
	v_cmp_ne_u64_e32 vcc, -1, v[0:1]
	s_and_b64 s[4:5], vcc, s[4:5]
	s_and_b64 exec, exec, s[4:5]
	s_cbranch_execz .LBB2_6186
; %bb.6178:
	s_mov_b64 s[4:5], 0
                                        ; implicit-def: $sgpr12_sgpr13
                                        ; implicit-def: $sgpr14_sgpr15
	s_branch .LBB2_6180
.LBB2_6179:                             ;   in Loop: Header=BB2_6180 Depth=1
	s_or_b64 exec, exec, s[20:21]
	s_and_b64 s[16:17], exec, s[18:19]
	s_or_b64 s[4:5], s[16:17], s[4:5]
	s_andn2_b64 s[12:13], s[12:13], exec
	s_and_b64 s[16:17], s[14:15], exec
	s_or_b64 s[12:13], s[12:13], s[16:17]
	s_andn2_b64 exec, exec, s[4:5]
	s_cbranch_execz .LBB2_6184
.LBB2_6180:                             ; =>This Inner Loop Header: Depth=1
	s_cmpk_lt_i32 s22, 0x270f
	s_cselect_b64 s[16:17], -1, 0
	s_and_b64 vcc, exec, s[16:17]
	s_cbranch_vccnz .LBB2_6182
; %bb.6181:                             ;   in Loop: Header=BB2_6180 Depth=1
	s_trap 2
	ds_read_b64 v[0:1], v0
	s_andn2_b64 s[16:17], s[16:17], exec
	s_mov_b32 s22, 0
	s_waitcnt lgkmcnt(0)
	flat_load_dword v0, v[0:1] glc
	s_waitcnt vmcnt(0) lgkmcnt(0)
	buffer_wbinvl1_vol
	v_cmp_eq_u32_e32 vcc, 0, v0
	s_and_b64 s[18:19], vcc, exec
	s_or_b64 s[16:17], s[16:17], s[18:19]
	s_mov_b64 s[18:19], -1
	s_or_b64 s[14:15], s[14:15], exec
	s_and_saveexec_b64 s[20:21], s[16:17]
	s_cbranch_execz .LBB2_6179
	s_branch .LBB2_6183
.LBB2_6182:                             ;   in Loop: Header=BB2_6180 Depth=1
	s_add_i32 s22, s22, 1
                                        ; implicit-def: $vgpr0
	s_mov_b64 s[18:19], -1
	s_or_b64 s[14:15], s[14:15], exec
	s_and_saveexec_b64 s[20:21], s[16:17]
	s_cbranch_execz .LBB2_6179
.LBB2_6183:                             ;   in Loop: Header=BB2_6180 Depth=1
	flat_load_dwordx2 v[1:2], v[4:5] offset:8 glc
	s_waitcnt vmcnt(0)
	s_andn2_b64 s[14:15], s[14:15], exec
	s_waitcnt lgkmcnt(0)
	v_cmp_eq_u64_e32 vcc, -1, v[1:2]
	s_orn2_b64 s[18:19], vcc, exec
	s_branch .LBB2_6179
.LBB2_6184:
	s_or_b64 exec, exec, s[4:5]
	s_and_saveexec_b64 s[4:5], s[12:13]
	s_xor_b64 s[4:5], exec, s[4:5]
	s_cbranch_execz .LBB2_6186
; %bb.6185:
	ds_write_b32 v0, v0
	s_trap 2
.LBB2_6186:
	s_or_b64 exec, exec, s[10:11]
	v_and_b32_e32 v0, 0x2000, v45
	v_cmp_ne_u32_e32 vcc, 0, v0
	s_and_saveexec_b64 s[4:5], vcc
	s_cbranch_execz .LBB2_6188
; %bb.6187:
	s_trap 2
	ds_read_b64 v[0:1], v0
	buffer_load_dword v2, off, s[0:3], s33 offset:216 ; 4-byte Folded Reload
	buffer_load_dword v3, off, s[0:3], s33 offset:220 ; 4-byte Folded Reload
	s_waitcnt vmcnt(0) lgkmcnt(0)
	flat_store_dwordx2 v[2:3], v[0:1] offset:16
.LBB2_6188:
	s_or_b64 exec, exec, s[4:5]
	s_waitcnt vmcnt(0)
	v_cmp_ne_u32_e32 vcc, 64, v14
	s_and_b64 exec, exec, vcc
	s_cbranch_execz .LBB2_6206
; %bb.6189:
	v_cmp_ne_u32_sdwa s[4:5], v14, v7 src0_sel:DWORD src1_sel:WORD_0
	s_and_saveexec_b64 s[10:11], s[4:5]
	s_xor_b64 s[4:5], exec, s[10:11]
	s_cbranch_execz .LBB2_6204
; %bb.6190:
	v_and_b32_e32 v0, 63, v31
	v_cmp_eq_u32_e32 vcc, 0, v0
	s_and_saveexec_b64 s[10:11], vcc
	s_cbranch_execz .LBB2_6203
; %bb.6191:
	s_mov_b64 s[14:15], exec
	v_mbcnt_lo_u32_b32 v0, s14, 0
	v_mbcnt_hi_u32_b32 v0, s15, v0
	v_cmp_eq_u32_e32 vcc, 0, v0
	s_waitcnt lgkmcnt(0)
	buffer_wbinvl1_vol
	s_and_saveexec_b64 s[12:13], vcc
	s_cbranch_execz .LBB2_6193
; %bb.6192:
	s_bcnt1_i32_b64 s14, s[14:15]
	v_mov_b32_e32 v0, s14
	v_mov_b32_e32 v1, 0
	ds_add_u64 v0, v[0:1]
	s_trap 2
.LBB2_6193:
	s_or_b64 exec, exec, s[12:13]
	v_lshrrev_b32_e32 v0, 6, v14
	s_trap 2
	ds_read_b64 v[2:3], v0
	s_waitcnt lgkmcnt(0)
	buffer_load_dword v4, off, s[0:3], s33 offset:76 ; 4-byte Folded Reload
	buffer_load_dword v5, off, s[0:3], s33 offset:80 ; 4-byte Folded Reload
	s_waitcnt vmcnt(1)
	v_add_co_u32_e32 v0, vcc, v4, v0
	s_waitcnt vmcnt(0)
	v_addc_co_u32_e32 v1, vcc, 0, v5, vcc
	v_cmp_lt_u64_e32 vcc, v[2:3], v[0:1]
	s_and_saveexec_b64 s[12:13], vcc
	s_cbranch_execz .LBB2_6202
; %bb.6194:
	s_mov_b32 s28, 0
	s_mov_b64 s[14:15], 0
                                        ; implicit-def: $sgpr16_sgpr17
                                        ; implicit-def: $sgpr18_sgpr19
	s_branch .LBB2_6196
.LBB2_6195:                             ;   in Loop: Header=BB2_6196 Depth=1
	s_or_b64 exec, exec, s[22:23]
	s_and_b64 s[20:21], exec, s[26:27]
	s_or_b64 s[14:15], s[20:21], s[14:15]
	s_andn2_b64 s[16:17], s[16:17], exec
	s_and_b64 s[20:21], s[18:19], exec
	s_or_b64 s[16:17], s[16:17], s[20:21]
	s_andn2_b64 exec, exec, s[14:15]
	s_cbranch_execz .LBB2_6200
.LBB2_6196:                             ; =>This Inner Loop Header: Depth=1
	s_add_i32 s28, s28, 1
	s_cmpk_lg_i32 s28, 0x2710
	s_cselect_b64 s[20:21], -1, 0
	s_and_b64 vcc, exec, s[20:21]
	s_cbranch_vccz .LBB2_6198
; %bb.6197:                             ;   in Loop: Header=BB2_6196 Depth=1
	s_mov_b64 s[26:27], -1
	s_or_b64 s[18:19], s[18:19], exec
	s_and_saveexec_b64 s[22:23], s[20:21]
	s_cbranch_execz .LBB2_6195
	s_branch .LBB2_6199
.LBB2_6198:                             ;   in Loop: Header=BB2_6196 Depth=1
	s_trap 2
	ds_read_b64 v[2:3], v0
	s_andn2_b64 s[20:21], s[20:21], exec
	s_mov_b32 s28, 0
	s_waitcnt lgkmcnt(0)
	flat_load_dword v2, v[2:3] glc
	s_waitcnt vmcnt(0) lgkmcnt(0)
	buffer_wbinvl1_vol
	v_cmp_eq_u32_e32 vcc, 0, v2
	s_and_b64 s[22:23], vcc, exec
	s_or_b64 s[20:21], s[20:21], s[22:23]
	s_mov_b64 s[26:27], -1
	s_or_b64 s[18:19], s[18:19], exec
	s_and_saveexec_b64 s[22:23], s[20:21]
	s_cbranch_execz .LBB2_6195
.LBB2_6199:                             ;   in Loop: Header=BB2_6196 Depth=1
	s_sleep 1
	s_trap 2
	ds_read_b64 v[2:3], v0
	s_waitcnt lgkmcnt(0)
	s_andn2_b64 s[18:19], s[18:19], exec
	v_cmp_ge_u64_e32 vcc, v[2:3], v[0:1]
	s_orn2_b64 s[26:27], vcc, exec
	s_branch .LBB2_6195
.LBB2_6200:
	s_or_b64 exec, exec, s[14:15]
	s_and_saveexec_b64 s[14:15], s[16:17]
	s_xor_b64 s[14:15], exec, s[14:15]
	s_cbranch_execz .LBB2_6202
; %bb.6201:
	v_mov_b32_e32 v0, 1
	ds_write_b32 v0, v0
	s_trap 2
.LBB2_6202:
	s_or_b64 exec, exec, s[12:13]
	;;#ASMSTART
	s_wakeup
	;;#ASMEND
.LBB2_6203:
	s_or_b64 exec, exec, s[10:11]
.LBB2_6204:
	s_andn2_saveexec_b64 s[4:5], s[4:5]
	s_cbranch_execz .LBB2_6206
; %bb.6205:
	s_waitcnt lgkmcnt(0)
	buffer_wbinvl1_vol
	s_barrier
.LBB2_6206:
	s_or_b64 exec, exec, s[6:7]
.LBB2_6207:
	s_andn2_saveexec_b64 s[26:27], s[24:25]
	s_cbranch_execz .LBB2_6209
; %bb.6208:
	s_getpc_b64 s[4:5]
	s_add_u32 s4, s4, __PRETTY_FUNCTION__._ZN10PrimitivesI14__hip_fp8_e4m313FuncPreMulSumIS0_E12FanSymmetricILi1EELi0E11ProtoSimpleILi1ELi1ELi0ELi1ELi0ELi0EELi0ELb0ELi0ELi0ELi0EEC2EiiPKiS9_PKvPvmhhhP15ncclDevWorkCollP14ncclDevWorkP2pii@rel32@lo+4
	s_addc_u32 s5, s5, __PRETTY_FUNCTION__._ZN10PrimitivesI14__hip_fp8_e4m313FuncPreMulSumIS0_E12FanSymmetricILi1EELi0E11ProtoSimpleILi1ELi1ELi0ELi1ELi0ELi0EELi0ELb0ELi0ELi0ELi0EEC2EiiPKiS9_PKvPvmhhhP15ncclDevWorkCollP14ncclDevWorkP2pii@rel32@hi+12
	s_getpc_b64 s[6:7]
	s_add_u32 s6, s6, __assert_fail@rel32@lo+4
	s_addc_u32 s7, s7, __assert_fail@rel32@hi+12
	v_mov_b32_e32 v0, s4
	v_mov_b32_e32 v1, s5
	s_swappc_b64 s[30:31], s[6:7]
	; divergent unreachable
.LBB2_6209:
	s_or_b64 exec, exec, s[26:27]
	buffer_load_dword v62, off, s[0:3], s33 ; 4-byte Folded Reload
	buffer_load_dword v61, off, s[0:3], s33 offset:4 ; 4-byte Folded Reload
	buffer_load_dword v60, off, s[0:3], s33 offset:8 ; 4-byte Folded Reload
	;; [unrolled: 1-line block ×14, first 2 shown]
	v_readlane_b32 s30, v63, 16
	v_readlane_b32 s31, v63, 17
	;; [unrolled: 1-line block ×18, first 2 shown]
	s_mov_b32 s32, s33
	v_readlane_b32 s4, v63, 18
	s_or_saveexec_b64 s[6:7], -1
	buffer_load_dword v63, off, s[0:3], s33 offset:228 ; 4-byte Folded Reload
	s_mov_b64 exec, s[6:7]
	s_mov_b32 s33, s4
	s_waitcnt vmcnt(0) lgkmcnt(0)
	s_setpc_b64 s[30:31]
.Lfunc_end2:
	.size	_ZN12_GLOBAL__N_17runRingI14__hip_fp8_e4m313FuncPreMulSumIS1_E11ProtoSimpleILi1ELi1ELi0ELi1ELi0ELi0EELi0ELi1ELi0EEEviiP15ncclDevWorkColl, .Lfunc_end2-_ZN12_GLOBAL__N_17runRingI14__hip_fp8_e4m313FuncPreMulSumIS1_E11ProtoSimpleILi1ELi1ELi0ELi1ELi0ELi0EELi0ELi1ELi0EEEviiP15ncclDevWorkColl
                                        ; -- End function
	.set .L_ZN12_GLOBAL__N_17runRingI14__hip_fp8_e4m313FuncPreMulSumIS1_E11ProtoSimpleILi1ELi1ELi0ELi1ELi0ELi0EELi0ELi1ELi0EEEviiP15ncclDevWorkColl.num_vgpr, max(64, .L__assert_fail.num_vgpr)
	.set .L_ZN12_GLOBAL__N_17runRingI14__hip_fp8_e4m313FuncPreMulSumIS1_E11ProtoSimpleILi1ELi1ELi0ELi1ELi0ELi0EELi0ELi1ELi0EEEviiP15ncclDevWorkColl.num_agpr, max(0, .L__assert_fail.num_agpr)
	.set .L_ZN12_GLOBAL__N_17runRingI14__hip_fp8_e4m313FuncPreMulSumIS1_E11ProtoSimpleILi1ELi1ELi0ELi1ELi0ELi0EELi0ELi1ELi0EEEviiP15ncclDevWorkColl.numbered_sgpr, max(96, .L__assert_fail.numbered_sgpr)
	.set .L_ZN12_GLOBAL__N_17runRingI14__hip_fp8_e4m313FuncPreMulSumIS1_E11ProtoSimpleILi1ELi1ELi0ELi1ELi0ELi0EELi0ELi1ELi0EEEviiP15ncclDevWorkColl.num_named_barrier, max(0, .L__assert_fail.num_named_barrier)
	.set .L_ZN12_GLOBAL__N_17runRingI14__hip_fp8_e4m313FuncPreMulSumIS1_E11ProtoSimpleILi1ELi1ELi0ELi1ELi0ELi0EELi0ELi1ELi0EEEviiP15ncclDevWorkColl.private_seg_size, 240+max(.L__assert_fail.private_seg_size)
	.set .L_ZN12_GLOBAL__N_17runRingI14__hip_fp8_e4m313FuncPreMulSumIS1_E11ProtoSimpleILi1ELi1ELi0ELi1ELi0ELi0EELi0ELi1ELi0EEEviiP15ncclDevWorkColl.uses_vcc, or(1, .L__assert_fail.uses_vcc)
	.set .L_ZN12_GLOBAL__N_17runRingI14__hip_fp8_e4m313FuncPreMulSumIS1_E11ProtoSimpleILi1ELi1ELi0ELi1ELi0ELi0EELi0ELi1ELi0EEEviiP15ncclDevWorkColl.uses_flat_scratch, or(0, .L__assert_fail.uses_flat_scratch)
	.set .L_ZN12_GLOBAL__N_17runRingI14__hip_fp8_e4m313FuncPreMulSumIS1_E11ProtoSimpleILi1ELi1ELi0ELi1ELi0ELi0EELi0ELi1ELi0EEEviiP15ncclDevWorkColl.has_dyn_sized_stack, or(0, .L__assert_fail.has_dyn_sized_stack)
	.set .L_ZN12_GLOBAL__N_17runRingI14__hip_fp8_e4m313FuncPreMulSumIS1_E11ProtoSimpleILi1ELi1ELi0ELi1ELi0ELi0EELi0ELi1ELi0EEEviiP15ncclDevWorkColl.has_recursion, or(1, .L__assert_fail.has_recursion)
	.set .L_ZN12_GLOBAL__N_17runRingI14__hip_fp8_e4m313FuncPreMulSumIS1_E11ProtoSimpleILi1ELi1ELi0ELi1ELi0ELi0EELi0ELi1ELi0EEEviiP15ncclDevWorkColl.has_indirect_call, or(0, .L__assert_fail.has_indirect_call)
	.section	.AMDGPU.csdata,"",@progbits
; Function info:
; codeLenInByte = 176592
; TotalNumSgprs: 100
; NumVgprs: 64
; ScratchSize: 304
; MemoryBound: 1
	.text
	.p2align	2                               ; -- Begin function _Z53ncclDevFunc_Reduce_RING_SIMPLE_PreMulSum_f8e4m3_0_0_1v
	.type	_Z53ncclDevFunc_Reduce_RING_SIMPLE_PreMulSum_f8e4m3_0_0_1v,@function
_Z53ncclDevFunc_Reduce_RING_SIMPLE_PreMulSum_f8e4m3_0_0_1v: ; @_Z53ncclDevFunc_Reduce_RING_SIMPLE_PreMulSum_f8e4m3_0_0_1v
; %bb.0:
	s_waitcnt vmcnt(0) expcnt(0) lgkmcnt(0)
	s_mov_b32 s4, s33
	s_mov_b32 s33, s32
	s_or_saveexec_b64 s[6:7], -1
	buffer_store_dword v43, off, s[0:3], s33 offset:16 ; 4-byte Folded Spill
	s_mov_b64 exec, s[6:7]
	v_writelane_b32 v43, s4, 26
	s_addk_i32 s32, 0x800
	buffer_store_dword v40, off, s[0:3], s33 offset:12 ; 4-byte Folded Spill
	buffer_store_dword v41, off, s[0:3], s33 offset:8 ; 4-byte Folded Spill
	;; [unrolled: 1-line block ×3, first 2 shown]
	buffer_store_dword v63, off, s[0:3], s33 ; 4-byte Folded Spill
	v_writelane_b32 v43, s34, 0
	v_writelane_b32 v43, s35, 1
	;; [unrolled: 1-line block ×26, first 2 shown]
	s_trap 2
	ds_read_b32 v0, v0
	v_mov_b32_e32 v40, v31
	v_and_b32_e32 v41, 0x3ff, v40
	s_mov_b32 s70, s12
	s_mov_b64 s[68:69], s[8:9]
	s_waitcnt lgkmcnt(0)
	v_cmp_lt_i32_e32 vcc, v41, v0
	s_and_saveexec_b64 s[4:5], vcc
	s_cbranch_execz .LBB3_5
; %bb.1:
	s_load_dword s6, s[68:69], 0x0
	v_mov_b32_e32 v1, 0
	s_mov_b32 s10, 0
	v_mov_b32_e32 v4, v41
                                        ; implicit-def: $vgpr3
	s_waitcnt lgkmcnt(0)
	s_cmp_lt_u32 s70, s6
	s_cselect_b32 s6, 12, 18
	s_add_u32 s6, s68, s6
	s_addc_u32 s7, s69, 0
	global_load_ushort v1, v1, s[6:7]
	s_trap 2
	ds_read_b32 v2, v0
	s_mov_b64 s[6:7], 0
	s_waitcnt vmcnt(0) lgkmcnt(0)
	v_mul_lo_u32 v2, v2, v1
	s_branch .LBB3_3
.LBB3_2:                                ;   in Loop: Header=BB3_3 Depth=1
	s_or_b64 exec, exec, s[8:9]
	v_add_u32_e32 v4, v4, v1
	v_cmp_ge_i32_e32 vcc, v4, v0
	s_or_b64 s[6:7], vcc, s[6:7]
	v_add_u32_e32 v3, v3, v2
	s_andn2_b64 exec, exec, s[6:7]
	s_cbranch_execz .LBB3_5
.LBB3_3:                                ; =>This Inner Loop Header: Depth=1
	ds_read_b32 v5, v3
	s_waitcnt lgkmcnt(0)
	v_and_b32_e32 v5, 0x1000000, v5
	v_cmp_ne_u32_e32 vcc, 0, v5
	s_and_saveexec_b64 s[8:9], vcc
	s_cbranch_execz .LBB3_2
; %bb.4:                                ;   in Loop: Header=BB3_3 Depth=1
	ds_read_b64 v[5:6], v3 offset:104
	s_waitcnt lgkmcnt(0)
	flat_load_ubyte v5, v[5:6]
	v_mov_b32_e32 v6, s10
	s_waitcnt vmcnt(0) lgkmcnt(0)
	v_and_b32_e32 v5, 0xffff, v5
	ds_write_b64 v3, v[5:6] offset:104
	s_branch .LBB3_2
.LBB3_5:
	s_or_b64 exec, exec, s[4:5]
	s_waitcnt vmcnt(0) lgkmcnt(0)
	s_barrier
	s_trap 2
	ds_read_b32 v0, v0
	s_waitcnt lgkmcnt(0)
	v_cmp_gt_i32_e32 vcc, 1, v0
	s_cbranch_vccnz .LBB3_13
; %bb.6:
	s_mov_b32 s71, 0
	v_mov_b32_e32 v42, 6
	s_branch .LBB3_8
.LBB3_7:                                ;   in Loop: Header=BB3_8 Depth=1
	s_or_b64 exec, exec, s[80:81]
	s_trap 2
	ds_read_b32 v0, v0
	s_add_i32 s71, s71, 1
	s_waitcnt lgkmcnt(0)
	v_cmp_lt_i32_e32 vcc, s71, v0
	s_cbranch_vccz .LBB3_13
.LBB3_8:                                ; =>This Inner Loop Header: Depth=1
	s_trap 2
	ds_read_b32 v0, v0
	s_cmp_eq_u32 s71, 0
	s_cbranch_scc1 .LBB3_11
; %bb.9:                                ;   in Loop: Header=BB3_8 Depth=1
	s_trap 2
	s_waitcnt lgkmcnt(0)
	ds_read_b32 v1, v0
	s_waitcnt lgkmcnt(0)
	v_xor_b32_e32 v1, v1, v0
	v_and_b32_e32 v1, 0xff0000, v1
	v_cmp_eq_u32_e32 vcc, 0, v1
	s_cbranch_vccnz .LBB3_11
; %bb.10:                               ;   in Loop: Header=BB3_8 Depth=1
	s_barrier
	ds_read_b32 v0, v0
.LBB3_11:                               ;   in Loop: Header=BB3_8 Depth=1
	s_waitcnt lgkmcnt(0)
	v_lshlrev_b32_sdwa v1, v42, v0 dst_sel:DWORD dst_unused:UNUSED_PAD src0_sel:DWORD src1_sel:BYTE_2
	v_cmp_lt_u32_e32 vcc, v41, v1
	s_and_saveexec_b64 s[80:81], vcc
	s_cbranch_execz .LBB3_7
; %bb.12:                               ;   in Loop: Header=BB3_8 Depth=1
	s_mov_b64 s[4:5], src_shared_base
	s_getpc_b64 s[6:7]
	s_add_u32 s6, s6, _ZN12_GLOBAL__N_17runRingI14__hip_fp8_e4m313FuncPreMulSumIS1_E11ProtoSimpleILi1ELi1ELi0ELi1ELi0ELi0EELi0ELi1ELi0EEEviiP15ncclDevWorkColl@rel32@lo+4
	s_addc_u32 s7, s7, _ZN12_GLOBAL__N_17runRingI14__hip_fp8_e4m313FuncPreMulSumIS1_E11ProtoSimpleILi1ELi1ELi0ELi1ELi0ELi0EELi0ELi1ELi0EEEviiP15ncclDevWorkColl@rel32@hi+12
	s_mov_b64 s[8:9], s[68:69]
	s_mov_b32 s12, s70
	v_mov_b32_e32 v31, v40
	v_mov_b32_e32 v0, v41
	;; [unrolled: 1-line block ×3, first 2 shown]
	s_swappc_b64 s[30:31], s[6:7]
	s_branch .LBB3_7
.LBB3_13:
	buffer_load_dword v63, off, s[0:3], s33 ; 4-byte Folded Reload
	buffer_load_dword v42, off, s[0:3], s33 offset:4 ; 4-byte Folded Reload
	buffer_load_dword v41, off, s[0:3], s33 offset:8 ; 4-byte Folded Reload
	;; [unrolled: 1-line block ×3, first 2 shown]
	v_readlane_b32 s30, v43, 24
	v_readlane_b32 s31, v43, 25
	;; [unrolled: 1-line block ×26, first 2 shown]
	s_mov_b32 s32, s33
	v_readlane_b32 s4, v43, 26
	s_or_saveexec_b64 s[6:7], -1
	buffer_load_dword v43, off, s[0:3], s33 offset:16 ; 4-byte Folded Reload
	s_mov_b64 exec, s[6:7]
	s_mov_b32 s33, s4
	s_waitcnt vmcnt(0)
	s_setpc_b64 s[30:31]
.Lfunc_end3:
	.size	_Z53ncclDevFunc_Reduce_RING_SIMPLE_PreMulSum_f8e4m3_0_0_1v, .Lfunc_end3-_Z53ncclDevFunc_Reduce_RING_SIMPLE_PreMulSum_f8e4m3_0_0_1v
                                        ; -- End function
	.set .L_Z53ncclDevFunc_Reduce_RING_SIMPLE_PreMulSum_f8e4m3_0_0_1v.num_vgpr, max(64, .L_ZN12_GLOBAL__N_17runRingI14__hip_fp8_e4m313FuncPreMulSumIS1_E11ProtoSimpleILi1ELi1ELi0ELi1ELi0ELi0EELi0ELi1ELi0EEEviiP15ncclDevWorkColl.num_vgpr)
	.set .L_Z53ncclDevFunc_Reduce_RING_SIMPLE_PreMulSum_f8e4m3_0_0_1v.num_agpr, max(0, .L_ZN12_GLOBAL__N_17runRingI14__hip_fp8_e4m313FuncPreMulSumIS1_E11ProtoSimpleILi1ELi1ELi0ELi1ELi0ELi0EELi0ELi1ELi0EEEviiP15ncclDevWorkColl.num_agpr)
	.set .L_Z53ncclDevFunc_Reduce_RING_SIMPLE_PreMulSum_f8e4m3_0_0_1v.numbered_sgpr, max(82, .L_ZN12_GLOBAL__N_17runRingI14__hip_fp8_e4m313FuncPreMulSumIS1_E11ProtoSimpleILi1ELi1ELi0ELi1ELi0ELi0EELi0ELi1ELi0EEEviiP15ncclDevWorkColl.numbered_sgpr)
	.set .L_Z53ncclDevFunc_Reduce_RING_SIMPLE_PreMulSum_f8e4m3_0_0_1v.num_named_barrier, max(0, .L_ZN12_GLOBAL__N_17runRingI14__hip_fp8_e4m313FuncPreMulSumIS1_E11ProtoSimpleILi1ELi1ELi0ELi1ELi0ELi0EELi0ELi1ELi0EEEviiP15ncclDevWorkColl.num_named_barrier)
	.set .L_Z53ncclDevFunc_Reduce_RING_SIMPLE_PreMulSum_f8e4m3_0_0_1v.private_seg_size, 32+max(.L_ZN12_GLOBAL__N_17runRingI14__hip_fp8_e4m313FuncPreMulSumIS1_E11ProtoSimpleILi1ELi1ELi0ELi1ELi0ELi0EELi0ELi1ELi0EEEviiP15ncclDevWorkColl.private_seg_size)
	.set .L_Z53ncclDevFunc_Reduce_RING_SIMPLE_PreMulSum_f8e4m3_0_0_1v.uses_vcc, or(1, .L_ZN12_GLOBAL__N_17runRingI14__hip_fp8_e4m313FuncPreMulSumIS1_E11ProtoSimpleILi1ELi1ELi0ELi1ELi0ELi0EELi0ELi1ELi0EEEviiP15ncclDevWorkColl.uses_vcc)
	.set .L_Z53ncclDevFunc_Reduce_RING_SIMPLE_PreMulSum_f8e4m3_0_0_1v.uses_flat_scratch, or(0, .L_ZN12_GLOBAL__N_17runRingI14__hip_fp8_e4m313FuncPreMulSumIS1_E11ProtoSimpleILi1ELi1ELi0ELi1ELi0ELi0EELi0ELi1ELi0EEEviiP15ncclDevWorkColl.uses_flat_scratch)
	.set .L_Z53ncclDevFunc_Reduce_RING_SIMPLE_PreMulSum_f8e4m3_0_0_1v.has_dyn_sized_stack, or(0, .L_ZN12_GLOBAL__N_17runRingI14__hip_fp8_e4m313FuncPreMulSumIS1_E11ProtoSimpleILi1ELi1ELi0ELi1ELi0ELi0EELi0ELi1ELi0EEEviiP15ncclDevWorkColl.has_dyn_sized_stack)
	.set .L_Z53ncclDevFunc_Reduce_RING_SIMPLE_PreMulSum_f8e4m3_0_0_1v.has_recursion, or(1, .L_ZN12_GLOBAL__N_17runRingI14__hip_fp8_e4m313FuncPreMulSumIS1_E11ProtoSimpleILi1ELi1ELi0ELi1ELi0ELi0EELi0ELi1ELi0EEEviiP15ncclDevWorkColl.has_recursion)
	.set .L_Z53ncclDevFunc_Reduce_RING_SIMPLE_PreMulSum_f8e4m3_0_0_1v.has_indirect_call, or(0, .L_ZN12_GLOBAL__N_17runRingI14__hip_fp8_e4m313FuncPreMulSumIS1_E11ProtoSimpleILi1ELi1ELi0ELi1ELi0ELi0EELi0ELi1ELi0EEEviiP15ncclDevWorkColl.has_indirect_call)
	.section	.AMDGPU.csdata,"",@progbits
; Function info:
; codeLenInByte = 1024
; TotalNumSgprs: 100
; NumVgprs: 64
; ScratchSize: 336
; MemoryBound: 0
	.text
	.p2align	2                               ; -- Begin function _ZN12_GLOBAL__N_17runRingI14__hip_fp8_e4m313FuncPreMulSumIS1_E11ProtoSimpleILi1ELi1ELi0ELi2ELi0ELi0EELi0ELi2ELi0EEEviiP15ncclDevWorkColl
	.type	_ZN12_GLOBAL__N_17runRingI14__hip_fp8_e4m313FuncPreMulSumIS1_E11ProtoSimpleILi1ELi1ELi0ELi2ELi0ELi0EELi0ELi2ELi0EEEviiP15ncclDevWorkColl,@function
_ZN12_GLOBAL__N_17runRingI14__hip_fp8_e4m313FuncPreMulSumIS1_E11ProtoSimpleILi1ELi1ELi0ELi2ELi0ELi0EELi0ELi2ELi0EEEviiP15ncclDevWorkColl: ; @_ZN12_GLOBAL__N_17runRingI14__hip_fp8_e4m313FuncPreMulSumIS1_E11ProtoSimpleILi1ELi1ELi0ELi2ELi0ELi0EELi0ELi2ELi0EEEviiP15ncclDevWorkColl
; %bb.0:
	s_waitcnt vmcnt(0) expcnt(0) lgkmcnt(0)
	s_mov_b32 s4, s33
	s_mov_b32 s33, s32
	s_or_saveexec_b64 s[6:7], -1
	buffer_store_dword v63, off, s[0:3], s33 offset:364 ; 4-byte Folded Spill
	s_mov_b64 exec, s[6:7]
	v_writelane_b32 v63, s4, 18
	s_addk_i32 s32, 0x6000
	buffer_store_dword v40, off, s[0:3], s33 offset:56 ; 4-byte Folded Spill
	buffer_store_dword v41, off, s[0:3], s33 offset:52 ; 4-byte Folded Spill
	buffer_store_dword v42, off, s[0:3], s33 offset:48 ; 4-byte Folded Spill
	buffer_store_dword v43, off, s[0:3], s33 offset:44 ; 4-byte Folded Spill
	buffer_store_dword v44, off, s[0:3], s33 offset:40 ; 4-byte Folded Spill
	buffer_store_dword v45, off, s[0:3], s33 offset:36 ; 4-byte Folded Spill
	buffer_store_dword v46, off, s[0:3], s33 offset:32 ; 4-byte Folded Spill
	buffer_store_dword v47, off, s[0:3], s33 offset:28 ; 4-byte Folded Spill
	buffer_store_dword v56, off, s[0:3], s33 offset:24 ; 4-byte Folded Spill
	buffer_store_dword v57, off, s[0:3], s33 offset:20 ; 4-byte Folded Spill
	buffer_store_dword v58, off, s[0:3], s33 offset:16 ; 4-byte Folded Spill
	buffer_store_dword v59, off, s[0:3], s33 offset:12 ; 4-byte Folded Spill
	buffer_store_dword v60, off, s[0:3], s33 offset:8 ; 4-byte Folded Spill
	buffer_store_dword v61, off, s[0:3], s33 offset:4 ; 4-byte Folded Spill
	buffer_store_dword v62, off, s[0:3], s33 ; 4-byte Folded Spill
	v_writelane_b32 v63, s34, 0
	v_writelane_b32 v63, s35, 1
	;; [unrolled: 1-line block ×18, first 2 shown]
	buffer_store_dword v31, off, s[0:3], s33 offset:324 ; 4-byte Folded Spill
	buffer_store_dword v0, off, s[0:3], s33 offset:268 ; 4-byte Folded Spill
	s_trap 2
	ds_read_b64 v[14:15], v0
	ds_read_b32 v4, v0
	v_mov_b32_e32 v18, v1
	flat_load_ushort v16, v[2:3] offset:8
	flat_load_dwordx2 v[8:9], v[2:3]
                                        ; implicit-def: $vgpr5_vgpr6
                                        ; implicit-def: $vgpr26_vgpr27
	s_waitcnt lgkmcnt(0)
	v_ashrrev_i32_e32 v1, 31, v15
	v_mov_b32_e32 v0, v15
	v_lshlrev_b64 v[0:1], 2, v[0:1]
	v_add_co_u32_e32 v0, vcc, v14, v0
	v_addc_co_u32_e32 v1, vcc, v15, v1, vcc
	v_add_co_u32_e32 v0, vcc, -4, v0
	v_addc_co_u32_e32 v1, vcc, -1, v1, vcc
	flat_load_dword v1, v[0:1]
	s_waitcnt vmcnt(0)
	v_mov_b32_e32 v15, v9
	v_cmp_ne_u32_sdwa s[4:5], v4, v8 src0_sel:DWORD src1_sel:BYTE_0
	buffer_store_dword v5, off, s[0:3], s33 offset:104 ; 4-byte Folded Spill
	s_nop 0
	buffer_store_dword v6, off, s[0:3], s33 offset:108 ; 4-byte Folded Spill
	buffer_store_dword v7, off, s[0:3], s33 offset:112 ; 4-byte Folded Spill
	buffer_store_dword v8, off, s[0:3], s33 offset:116 ; 4-byte Folded Spill
                                        ; implicit-def: $vgpr5_vgpr6
                                        ; kill: killed $vgpr5_vgpr6
	s_and_saveexec_b64 s[6:7], s[4:5]
	s_xor_b64 s[4:5], exec, s[6:7]
	s_cbranch_execz .LBB4_6
; %bb.1:
                                        ; implicit-def: $vgpr5_vgpr6
	v_not_b32_sdwa v0, v8 dst_sel:DWORD dst_unused:UNUSED_PAD src0_sel:BYTE_0
	v_cmp_ne_u32_sdwa s[6:7], v4, v8 src0_sel:DWORD src1_sel:BYTE_1
	buffer_store_dword v5, off, s[0:3], s33 offset:104 ; 4-byte Folded Spill
	s_nop 0
	buffer_store_dword v6, off, s[0:3], s33 offset:108 ; 4-byte Folded Spill
	buffer_store_dword v7, off, s[0:3], s33 offset:112 ; 4-byte Folded Spill
	;; [unrolled: 1-line block ×3, first 2 shown]
                                        ; implicit-def: $vgpr26_vgpr27
                                        ; implicit-def: $vgpr5_vgpr6
                                        ; kill: killed $vgpr5_vgpr6
	s_and_saveexec_b64 s[10:11], s[6:7]
	s_xor_b64 s[6:7], exec, s[10:11]
	s_cbranch_execz .LBB4_3
; %bb.2:
	flat_load_dwordx4 v[5:8], v[2:3] offset:72
	flat_load_dwordx2 v[9:10], v[2:3] offset:96
	v_add_u32_e32 v0, v4, v0
	v_ashrrev_i32_e32 v4, 31, v0
	s_waitcnt vmcnt(0) lgkmcnt(0)
	v_mul_lo_u32 v4, v7, v4
	v_mad_u64_u32 v[5:6], s[10:11], v7, v0, v[5:6]
	v_mul_lo_u32 v0, v8, v0
	v_lshrrev_b64 v[26:27], 12, v[9:10]
	v_add3_u32 v6, v0, v6, v4
	buffer_store_dword v5, off, s[0:3], s33 offset:284 ; 4-byte Folded Spill
	s_nop 0
	buffer_store_dword v6, off, s[0:3], s33 offset:288 ; 4-byte Folded Spill
	v_mov_b32_e32 v4, v7
	v_mov_b32_e32 v5, v8
                                        ; implicit-def: $vgpr8
                                        ; implicit-def: $vgpr0
	buffer_store_dword v4, off, s[0:3], s33 offset:104 ; 4-byte Folded Spill
	s_nop 0
	buffer_store_dword v5, off, s[0:3], s33 offset:108 ; 4-byte Folded Spill
	buffer_store_dword v6, off, s[0:3], s33 offset:112 ; 4-byte Folded Spill
	;; [unrolled: 1-line block ×3, first 2 shown]
.LBB4_3:
	s_andn2_saveexec_b64 s[6:7], s[6:7]
	s_cbranch_execz .LBB4_5
; %bb.4:
	flat_load_dwordx4 v[4:7], v[2:3] offset:72
	flat_load_dwordx4 v[9:12], v[2:3] offset:88
	v_add_u32_sdwa v0, v8, v0 dst_sel:DWORD dst_unused:UNUSED_PAD src0_sel:BYTE_1 src1_sel:DWORD
	v_ashrrev_i32_e32 v8, 31, v0
	s_waitcnt vmcnt(0) lgkmcnt(0)
	v_mul_lo_u32 v8, v6, v8
	v_mad_u64_u32 v[4:5], s[10:11], v6, v0, v[4:5]
	v_mul_lo_u32 v0, v7, v0
	v_lshrrev_b32_e32 v26, 1, v12
	v_add3_u32 v5, v0, v5, v8
	buffer_store_dword v4, off, s[0:3], s33 offset:284 ; 4-byte Folded Spill
	s_nop 0
	buffer_store_dword v5, off, s[0:3], s33 offset:288 ; 4-byte Folded Spill
	v_mov_b32_e32 v4, v9
	v_mov_b32_e32 v5, v10
	buffer_store_dword v4, off, s[0:3], s33 offset:104 ; 4-byte Folded Spill
	s_nop 0
	buffer_store_dword v5, off, s[0:3], s33 offset:108 ; 4-byte Folded Spill
	buffer_store_dword v6, off, s[0:3], s33 offset:112 ; 4-byte Folded Spill
	;; [unrolled: 1-line block ×3, first 2 shown]
.LBB4_5:
	s_or_b64 exec, exec, s[6:7]
.LBB4_6:
	s_andn2_saveexec_b64 s[4:5], s[4:5]
	s_cbranch_execz .LBB4_8
; %bb.7:
	flat_load_dwordx2 v[4:5], v[2:3] offset:96
	flat_load_dwordx2 v[6:7], v[2:3] offset:72
	s_waitcnt vmcnt(0) lgkmcnt(0)
	buffer_store_dword v6, off, s[0:3], s33 offset:104 ; 4-byte Folded Spill
	s_nop 0
	buffer_store_dword v7, off, s[0:3], s33 offset:108 ; 4-byte Folded Spill
	buffer_store_dword v8, off, s[0:3], s33 offset:112 ; 4-byte Folded Spill
	buffer_store_dword v9, off, s[0:3], s33 offset:116 ; 4-byte Folded Spill
	v_lshlrev_b64 v[26:27], 9, v[4:5]
	v_mov_b32_e32 v4, 0
	v_mov_b32_e32 v5, 0
	buffer_store_dword v4, off, s[0:3], s33 offset:284 ; 4-byte Folded Spill
	s_nop 0
	buffer_store_dword v5, off, s[0:3], s33 offset:288 ; 4-byte Folded Spill
.LBB4_8:
	s_or_b64 exec, exec, s[4:5]
	s_trap 2
	ds_read_b64 v[4:5], v0
	s_waitcnt lgkmcnt(0)
	v_cmp_ne_u32_e32 vcc, -1, v4
	v_cndmask_b32_e64 v0, 0, 1, vcc
	v_cmp_ne_u32_e32 vcc, -1, v5
	v_addc_co_u32_e64 v4, s[4:5], 0, v0, vcc
	v_lshlrev_b32_e32 v5, 1, v4
	v_cmp_le_u32_e64 s[4:5], v5, v18
	s_and_saveexec_b64 s[6:7], s[4:5]
	s_xor_b64 s[24:25], exec, s[6:7]
	s_cbranch_execnz .LBB4_9
; %bb.9652:
	s_getpc_b64 s[66:67]
.Lpost_getpc2:
	s_add_u32 s66, s66, (.LBB4_9649-.Lpost_getpc2)&4294967295
	s_addc_u32 s67, s67, (.LBB4_9649-.Lpost_getpc2)>>32
	s_setpc_b64 s[66:67]
.LBB4_9:
	flat_load_dwordx4 v[10:13], v[2:3] offset:16
	flat_load_dwordx2 v[32:33], v[2:3] offset:104
	s_trap 2
	s_load_dword s4, s[8:9], 0x0
	v_mov_b32_e32 v2, 0
	s_waitcnt lgkmcnt(0)
	s_cmp_lt_u32 s12, s4
	s_cselect_b32 s4, 12, 18
	s_add_u32 s4, s8, s4
	s_addc_u32 s5, s9, 0
	global_load_ushort v2, v2, s[4:5]
	s_waitcnt vmcnt(0)
	buffer_store_dword v2, off, s[0:3], s33 offset:340 ; 4-byte Folded Spill
	ds_read_b32 v2, v0
	s_waitcnt lgkmcnt(0)
	v_readfirstlane_b32 s48, v2
	buffer_load_dword v2, off, s[0:3], s33 offset:268 ; 4-byte Folded Reload
	s_waitcnt vmcnt(0)
	v_cmp_ge_u32_e64 s[4:5], v2, v0
	v_mov_b32_e32 v2, 4
	s_and_saveexec_b64 s[6:7], s[4:5]
	s_cbranch_execz .LBB4_19
; %bb.10:
	buffer_load_dword v2, off, s[0:3], s33 offset:268 ; 4-byte Folded Reload
	s_waitcnt vmcnt(0)
	v_cmp_ge_u32_e64 s[4:5], v2, v4
                                        ; implicit-def: $vgpr2
	s_and_saveexec_b64 s[10:11], s[4:5]
	s_xor_b64 s[4:5], exec, s[10:11]
	s_cbranch_execz .LBB4_16
; %bb.11:
	buffer_load_dword v3, off, s[0:3], s33 offset:268 ; 4-byte Folded Reload
	v_cndmask_b32_e64 v2, 0, 1, vcc
	v_sub_u32_e32 v2, v18, v2
	s_waitcnt vmcnt(0)
	v_cmp_ge_u32_e32 vcc, v3, v2
	s_and_saveexec_b64 s[10:11], vcc
	s_xor_b64 s[10:11], exec, s[10:11]
; %bb.12:
                                        ; implicit-def: $vgpr4
; %bb.13:
	s_or_saveexec_b64 s[10:11], s[10:11]
	v_mov_b32_e32 v2, 16
	s_xor_b64 exec, exec, s[10:11]
	s_cbranch_execz .LBB4_15
; %bb.14:
	buffer_load_dword v3, off, s[0:3], s33 offset:268 ; 4-byte Folded Reload
	v_sub_u32_e32 v2, v18, v4
	s_waitcnt vmcnt(0)
	v_cmp_lt_i32_e32 vcc, v3, v2
	v_cndmask_b32_e64 v2, 32, 0, vcc
.LBB4_15:
	s_or_b64 exec, exec, s[10:11]
.LBB4_16:
	s_andn2_saveexec_b64 s[4:5], s[4:5]
; %bb.17:
	v_mov_b32_e32 v2, 8
; %bb.18:
	s_or_b64 exec, exec, s[4:5]
.LBB4_19:
	s_or_b64 exec, exec, s[6:7]
	buffer_store_dword v2, off, s[0:3], s33 offset:76 ; 4-byte Folded Spill
	v_and_b32_e32 v2, 36, v2
	v_cmp_ne_u32_e32 vcc, 0, v2
	v_mov_b32_e32 v36, -1
	s_and_saveexec_b64 s[4:5], vcc
	s_cbranch_execz .LBB4_21
; %bb.20:
	s_trap 2
	ds_read_b32 v36, v0
.LBB4_21:
	s_or_b64 exec, exec, s[4:5]
	buffer_load_dword v2, off, s[0:3], s33 offset:76 ; 4-byte Folded Reload
	s_waitcnt vmcnt(0)
	v_and_b32_e32 v2, 24, v2
	v_cmp_ne_u32_e64 s[4:5], 0, v2
	s_and_saveexec_b64 s[6:7], s[4:5]
	s_cbranch_execz .LBB4_23
; %bb.22:
	s_trap 2
	s_waitcnt lgkmcnt(0)
	ds_read_b32 v36, v0
.LBB4_23:
	s_or_b64 exec, exec, s[6:7]
	v_lshrrev_b64 v[2:3], 31, v[15:16]
	v_mov_b32_e32 v3, 0
	v_mov_b32_e32 v4, 0
	buffer_store_dword v3, off, s[0:3], s33 offset:332 ; 4-byte Folded Spill
	s_nop 0
	buffer_store_dword v4, off, s[0:3], s33 offset:336 ; 4-byte Folded Spill
	v_mov_b32_e32 v3, 0
	v_mov_b32_e32 v4, 0
	buffer_store_dword v3, off, s[0:3], s33 offset:88 ; 4-byte Folded Spill
	s_nop 0
	buffer_store_dword v4, off, s[0:3], s33 offset:92 ; 4-byte Folded Spill
	buffer_store_dword v5, off, s[0:3], s33 offset:96 ; 4-byte Folded Spill
	;; [unrolled: 1-line block ×3, first 2 shown]
                                        ; implicit-def: $vgpr3_vgpr4
                                        ; kill: killed $vgpr3_vgpr4
	v_and_b32_e32 v2, 3, v2
                                        ; implicit-def: $vgpr3
                                        ; kill: killed $vgpr3
	s_waitcnt lgkmcnt(0)
	v_ashrrev_i32_e32 v37, 31, v36
                                        ; implicit-def: $vgpr3_vgpr4
                                        ; kill: killed $vgpr3_vgpr4
                                        ; implicit-def: $vgpr3_vgpr4
                                        ; kill: killed $vgpr3_vgpr4
	;; [unrolled: 2-line block ×3, first 2 shown]
	s_and_saveexec_b64 s[4:5], vcc
	s_cbranch_execz .LBB4_33
; %bb.24:
	s_trap 2
	ds_read_b64 v[3:4], v0
	v_lshlrev_b64 v[5:6], 3, v[36:37]
	s_movk_i32 s6, 0xa8
	s_waitcnt lgkmcnt(0)
	v_add_co_u32_e32 v3, vcc, v3, v5
	v_addc_co_u32_e32 v4, vcc, v4, v6, vcc
	flat_load_dwordx2 v[3:4], v[3:4]
	v_and_b32_e32 v5, 0xffff, v2
	s_waitcnt vmcnt(0) lgkmcnt(0)
	v_mad_u64_u32 v[16:17], s[6:7], v5, s6, v[3:4]
	flat_load_dword v3, v[16:17] offset:640
	s_waitcnt vmcnt(0) lgkmcnt(0)
	v_cmp_eq_u32_e32 vcc, 1, v3
                                        ; implicit-def: $vgpr3_vgpr4
                                        ; kill: killed $vgpr3_vgpr4
	s_and_saveexec_b64 s[6:7], vcc
	s_cbranch_execz .LBB4_26
; %bb.25:
	flat_load_dwordx2 v[5:6], v[16:17] offset:648
	s_waitcnt vmcnt(0) lgkmcnt(0)
	flat_load_dwordx2 v[3:4], v[5:6]
	s_trap 2
	s_waitcnt vmcnt(0) lgkmcnt(0)
	ds_write_b64 v0, v[3:4]
	flat_load_dwordx2 v[3:4], v[5:6] offset:8
	s_waitcnt vmcnt(0) lgkmcnt(0)
	ds_write_b64 v0, v[3:4]
	buffer_store_dword v5, off, s[0:3], s33 offset:356 ; 4-byte Folded Spill
	s_nop 0
	buffer_store_dword v6, off, s[0:3], s33 offset:360 ; 4-byte Folded Spill
	flat_load_dwordx2 v[3:4], v[5:6] offset:16
	s_waitcnt vmcnt(0) lgkmcnt(0)
	ds_write_b64 v0, v[3:4]
	buffer_load_dword v3, off, s[0:3], s33 offset:76 ; 4-byte Folded Reload
	s_waitcnt vmcnt(0)
	v_or_b32_e32 v3, 0x2000, v3
	buffer_store_dword v3, off, s[0:3], s33 offset:76 ; 4-byte Folded Spill
.LBB4_26:
	s_or_b64 exec, exec, s[6:7]
	buffer_load_dword v3, off, s[0:3], s33 offset:76 ; 4-byte Folded Reload
	flat_load_dwordx2 v[6:7], v[16:17] offset:608
	s_waitcnt vmcnt(0)
	v_and_b32_e32 v3, 32, v3
	v_cmp_ne_u32_e32 vcc, 0, v3
                                        ; implicit-def: $vgpr3_vgpr4
                                        ; kill: killed $vgpr3_vgpr4
	s_and_saveexec_b64 s[6:7], vcc
	s_cbranch_execz .LBB4_28
; %bb.27:
	flat_load_dwordx2 v[3:4], v[16:17] offset:560
	s_waitcnt vmcnt(0) lgkmcnt(0)
	buffer_store_dword v3, off, s[0:3], s33 offset:60 ; 4-byte Folded Spill
	s_nop 0
	buffer_store_dword v4, off, s[0:3], s33 offset:64 ; 4-byte Folded Spill
	flat_store_dwordx2 v[3:4], v[6:7]
.LBB4_28:
	s_or_b64 exec, exec, s[6:7]
	v_add_co_u32_e32 v3, vcc, 0x1f8, v16
	v_addc_co_u32_e32 v4, vcc, 0, v17, vcc
	buffer_store_dword v3, off, s[0:3], s33 offset:332 ; 4-byte Folded Spill
	s_nop 0
	buffer_store_dword v4, off, s[0:3], s33 offset:336 ; 4-byte Folded Spill
	buffer_load_dword v3, off, s[0:3], s33 offset:76 ; 4-byte Folded Reload
	v_mov_b32_e32 v4, 0
	v_mov_b32_e32 v5, 0
	buffer_store_dword v4, off, s[0:3], s33 offset:88 ; 4-byte Folded Spill
	s_nop 0
	buffer_store_dword v5, off, s[0:3], s33 offset:92 ; 4-byte Folded Spill
	s_waitcnt lgkmcnt(0)
	buffer_store_dword v6, off, s[0:3], s33 offset:96 ; 4-byte Folded Spill
	buffer_store_dword v7, off, s[0:3], s33 offset:100 ; 4-byte Folded Spill
	s_waitcnt vmcnt(0)
	v_and_b32_e32 v3, 4, v3
	v_cmp_ne_u32_e32 vcc, 0, v3
                                        ; implicit-def: $vgpr3
                                        ; kill: killed $vgpr3
                                        ; implicit-def: $vgpr3_vgpr4
                                        ; kill: killed $vgpr3_vgpr4
                                        ; implicit-def: $vgpr3_vgpr4
                                        ; kill: killed $vgpr3_vgpr4
	s_and_saveexec_b64 s[6:7], vcc
	s_cbranch_execz .LBB4_32
; %bb.29:
	buffer_load_dword v3, off, s[0:3], s33 offset:76 ; 4-byte Folded Reload
	s_waitcnt vmcnt(0)
	v_and_b32_e32 v3, 0x800, v3
	v_cmp_eq_u32_e32 vcc, 0, v3
	s_and_saveexec_b64 s[10:11], vcc
	s_cbranch_execz .LBB4_31
; %bb.30:
	s_trap 2
	buffer_load_dword v3, off, s[0:3], s33 offset:332 ; 4-byte Folded Reload
	buffer_load_dword v4, off, s[0:3], s33 offset:336 ; 4-byte Folded Reload
	s_waitcnt vmcnt(0)
	ds_write_b64 v0, v[3:4]
.LBB4_31:
	s_or_b64 exec, exec, s[10:11]
	flat_load_dwordx2 v[3:4], v[16:17] offset:552
	s_waitcnt vmcnt(0) lgkmcnt(0)
	buffer_store_dword v3, off, s[0:3], s33 offset:60 ; 4-byte Folded Spill
	s_nop 0
	buffer_store_dword v4, off, s[0:3], s33 offset:64 ; 4-byte Folded Spill
	flat_load_dwordx2 v[3:4], v[3:4] glc
	s_waitcnt vmcnt(0) lgkmcnt(0)
	buffer_store_dword v3, off, s[0:3], s33 offset:68 ; 4-byte Folded Spill
	s_nop 0
	buffer_store_dword v4, off, s[0:3], s33 offset:72 ; 4-byte Folded Spill
	buffer_load_dword v3, off, s[0:3], s33 offset:88 ; 4-byte Folded Reload
	s_nop 0
	buffer_load_dword v4, off, s[0:3], s33 offset:92 ; 4-byte Folded Reload
	buffer_load_dword v5, off, s[0:3], s33 offset:96 ; 4-byte Folded Reload
	;; [unrolled: 1-line block ×3, first 2 shown]
	s_waitcnt vmcnt(0)
	v_mov_b32_e32 v8, v6
	v_mov_b32_e32 v7, v5
	flat_load_dwordx2 v[5:6], v[16:17] offset:600
	flat_load_dword v3, v[16:17] offset:576
	s_waitcnt vmcnt(0) lgkmcnt(0)
	buffer_store_dword v3, off, s[0:3], s33 offset:312 ; 4-byte Folded Spill
	flat_load_dwordx2 v[3:4], v[16:17] offset:520
	s_waitcnt vmcnt(0) lgkmcnt(0)
	buffer_store_dword v3, off, s[0:3], s33 offset:260 ; 4-byte Folded Spill
	s_nop 0
	buffer_store_dword v4, off, s[0:3], s33 offset:264 ; 4-byte Folded Spill
	buffer_load_dword v4, off, s[0:3], s33 offset:76 ; 4-byte Folded Reload
	s_nop 0
	buffer_store_dword v5, off, s[0:3], s33 offset:88 ; 4-byte Folded Spill
	s_nop 0
	buffer_store_dword v6, off, s[0:3], s33 offset:92 ; 4-byte Folded Spill
	buffer_store_dword v7, off, s[0:3], s33 offset:96 ; 4-byte Folded Spill
	;; [unrolled: 1-line block ×3, first 2 shown]
	v_cmp_eq_u64_e32 vcc, 0, v[5:6]
	s_waitcnt vmcnt(4)
	v_or_b32_e32 v3, 0x100, v4
	v_cndmask_b32_e32 v4, v3, v4, vcc
	buffer_store_dword v4, off, s[0:3], s33 offset:76 ; 4-byte Folded Spill
.LBB4_32:
	s_or_b64 exec, exec, s[6:7]
.LBB4_33:
	s_or_b64 exec, exec, s[4:5]
	buffer_load_dword v3, off, s[0:3], s33 offset:76 ; 4-byte Folded Reload
	s_waitcnt vmcnt(0)
	v_and_b32_e32 v3, 24, v3
	v_cmp_ne_u32_e32 vcc, 0, v3
                                        ; implicit-def: $vgpr3_vgpr4
                                        ; kill: killed $vgpr3_vgpr4
	s_and_saveexec_b64 s[4:5], vcc
	s_cbranch_execz .LBB4_41
; %bb.34:
	s_trap 2
	ds_read_b64 v[3:4], v0
	v_lshlrev_b64 v[5:6], 3, v[36:37]
	v_and_b32_e32 v2, 0xffff, v2
	s_movk_i32 s6, 0xa8
	s_waitcnt lgkmcnt(0)
	v_add_co_u32_e32 v3, vcc, v3, v5
	v_addc_co_u32_e32 v4, vcc, v4, v6, vcc
	flat_load_dwordx2 v[3:4], v[3:4]
	s_waitcnt vmcnt(0) lgkmcnt(0)
	v_mad_u64_u32 v[8:9], s[6:7], v2, s6, v[3:4]
	buffer_load_dword v3, off, s[0:3], s33 offset:76 ; 4-byte Folded Reload
	flat_load_dwordx4 v[4:7], v[8:9] offset:96
	s_waitcnt vmcnt(0)
	v_or_b32_e32 v2, 0x100, v3
	s_waitcnt lgkmcnt(0)
	v_cmp_eq_u64_e32 vcc, 0, v[4:5]
	v_cndmask_b32_e32 v3, v2, v3, vcc
	v_and_b32_e32 v2, 16, v3
	v_cmp_ne_u32_e32 vcc, 0, v2
	buffer_store_dword v3, off, s[0:3], s33 offset:76 ; 4-byte Folded Spill
                                        ; implicit-def: $vgpr2_vgpr3
                                        ; kill: killed $vgpr2_vgpr3
	s_and_saveexec_b64 s[6:7], vcc
	s_cbranch_execz .LBB4_36
; %bb.35:
	flat_load_dwordx2 v[2:3], v[8:9] offset:48
	s_waitcnt vmcnt(0) lgkmcnt(0)
	buffer_store_dword v2, off, s[0:3], s33 offset:60 ; 4-byte Folded Spill
	s_nop 0
	buffer_store_dword v3, off, s[0:3], s33 offset:64 ; 4-byte Folded Spill
	flat_load_dwordx2 v[2:3], v[8:9] offset:120
	s_waitcnt vmcnt(0) lgkmcnt(0)
	buffer_store_dword v2, off, s[0:3], s33 offset:316 ; 4-byte Folded Spill
	s_nop 0
	buffer_store_dword v3, off, s[0:3], s33 offset:320 ; 4-byte Folded Spill
	;; [unrolled: 5-line block ×3, first 2 shown]
.LBB4_36:
	s_or_b64 exec, exec, s[6:7]
	buffer_load_dword v2, off, s[0:3], s33 offset:76 ; 4-byte Folded Reload
	s_waitcnt vmcnt(0)
	v_and_b32_e32 v2, 8, v2
	v_cmp_ne_u32_e32 vcc, 0, v2
	s_and_saveexec_b64 s[6:7], vcc
	s_cbranch_execz .LBB4_40
; %bb.37:
	buffer_load_dword v2, off, s[0:3], s33 offset:76 ; 4-byte Folded Reload
	s_waitcnt vmcnt(0)
	v_and_b32_e32 v2, 0x800, v2
	v_cmp_eq_u32_e32 vcc, 0, v2
	s_and_saveexec_b64 s[10:11], vcc
	s_cbranch_execz .LBB4_39
; %bb.38:
	s_trap 2
	ds_write_b64 v0, v[8:9]
.LBB4_39:
	s_or_b64 exec, exec, s[10:11]
	flat_load_dwordx2 v[2:3], v[8:9] offset:56
	s_waitcnt vmcnt(0) lgkmcnt(0)
	buffer_store_dword v2, off, s[0:3], s33 offset:60 ; 4-byte Folded Spill
	s_nop 0
	buffer_store_dword v3, off, s[0:3], s33 offset:64 ; 4-byte Folded Spill
	flat_load_dwordx2 v[2:3], v[2:3] glc
	s_waitcnt vmcnt(0) lgkmcnt(0)
	buffer_store_dword v2, off, s[0:3], s33 offset:68 ; 4-byte Folded Spill
	s_nop 0
	buffer_store_dword v3, off, s[0:3], s33 offset:72 ; 4-byte Folded Spill
	flat_load_dword v2, v[8:9] offset:72
	s_waitcnt vmcnt(0) lgkmcnt(0)
	buffer_store_dword v2, off, s[0:3], s33 offset:312 ; 4-byte Folded Spill
	flat_load_dwordx2 v[2:3], v[8:9] offset:16
	s_waitcnt vmcnt(0) lgkmcnt(0)
	buffer_store_dword v2, off, s[0:3], s33 offset:260 ; 4-byte Folded Spill
	s_nop 0
	buffer_store_dword v3, off, s[0:3], s33 offset:264 ; 4-byte Folded Spill
.LBB4_40:
	s_or_b64 exec, exec, s[6:7]
	buffer_store_dword v8, off, s[0:3], s33 offset:332 ; 4-byte Folded Spill
	s_nop 0
	buffer_store_dword v9, off, s[0:3], s33 offset:336 ; 4-byte Folded Spill
	buffer_store_dword v4, off, s[0:3], s33 offset:88 ; 4-byte Folded Spill
	s_nop 0
	buffer_store_dword v5, off, s[0:3], s33 offset:92 ; 4-byte Folded Spill
	buffer_store_dword v6, off, s[0:3], s33 offset:96 ; 4-byte Folded Spill
	;; [unrolled: 1-line block ×3, first 2 shown]
.LBB4_41:
	s_or_b64 exec, exec, s[4:5]
	buffer_load_dword v2, off, s[0:3], s33 offset:268 ; 4-byte Folded Reload
	s_waitcnt vmcnt(0)
	v_cmp_eq_u32_e64 s[4:5], 0, v2
	s_and_saveexec_b64 s[6:7], s[4:5]
	s_cbranch_execz .LBB4_43
; %bb.42:
	v_mov_b32_e32 v2, v12
	v_mov_b32_e32 v3, v13
	;; [unrolled: 1-line block ×4, first 2 shown]
	ds_write2_b64 v0, v[2:3], v[4:5] offset1:1
	v_mov_b32_e32 v2, 0
	v_mov_b32_e32 v3, v2
	s_trap 2
	ds_write_b64 v0, v[2:3]
	ds_write_b64 v0, v[32:33]
.LBB4_43:
	s_or_b64 exec, exec, s[6:7]
	v_and_b32_e32 v2, 0x3ffffe00, v26
	v_mov_b32_e32 v3, 0
	buffer_store_dword v2, off, s[0:3], s33 offset:248 ; 4-byte Folded Spill
	s_nop 0
	buffer_store_dword v3, off, s[0:3], s33 offset:252 ; 4-byte Folded Spill
	v_bfe_u32 v2, v15, 1, 30
	v_cmp_ne_u32_e32 vcc, v1, v2
                                        ; implicit-def: $vgpr3_vgpr4
                                        ; kill: killed $vgpr3_vgpr4
	s_mov_b64 s[6:7], exec
	buffer_store_dword v18, off, s[0:3], s33 offset:344 ; 4-byte Folded Spill
	buffer_load_dword v34, off, s[0:3], s33 offset:88 ; 4-byte Folded Reload
	buffer_load_dword v35, off, s[0:3], s33 offset:92 ; 4-byte Folded Reload
	;; [unrolled: 1-line block ×4, first 2 shown]
	s_and_b64 s[10:11], s[6:7], vcc
	s_xor_b64 s[26:27], s[10:11], s[6:7]
	s_mov_b64 exec, s[10:11]
	s_cbranch_execnz .LBB4_44
; %bb.9654:
	s_getpc_b64 s[66:67]
.Lpost_getpc3:
	s_add_u32 s66, s66, (.LBB4_7213-.Lpost_getpc3)&4294967295
	s_addc_u32 s67, s67, (.LBB4_7213-.Lpost_getpc3)>>32
	s_setpc_b64 s[66:67]
.LBB4_44:
	v_cmp_ne_u32_e32 vcc, v14, v2
                                        ; implicit-def: $vgpr1_vgpr2
                                        ; kill: killed $vgpr1_vgpr2
	s_and_saveexec_b64 s[6:7], vcc
	s_xor_b64 s[28:29], exec, s[6:7]
	s_cbranch_execz .LBB4_3632
; %bb.45:
	v_mov_b32_e32 v1, 0
	v_mov_b32_e32 v2, 0
	buffer_store_dword v1, off, s[0:3], s33 offset:80 ; 4-byte Folded Spill
	s_nop 0
	buffer_store_dword v2, off, s[0:3], s33 offset:84 ; 4-byte Folded Spill
	buffer_load_dword v1, off, s[0:3], s33 offset:104 ; 4-byte Folded Reload
	s_nop 0
	buffer_load_dword v2, off, s[0:3], s33 offset:108 ; 4-byte Folded Reload
	buffer_load_dword v3, off, s[0:3], s33 offset:112 ; 4-byte Folded Reload
	;; [unrolled: 1-line block ×3, first 2 shown]
	s_waitcnt vmcnt(2)
	v_cmp_ne_u64_e32 vcc, 0, v[1:2]
	s_and_saveexec_b64 s[40:41], vcc
	s_cbranch_execz .LBB4_3631
; %bb.46:
	s_trap 2
	buffer_load_dword v2, off, s[0:3], s33 offset:268 ; 4-byte Folded Reload
	buffer_load_dword v1, off, s[0:3], s33 offset:312 ; 4-byte Folded Reload
	v_lshrrev_b32_e32 v56, 6, v18
	s_ashr_i32 s6, s48, 31
	s_lshr_b32 s6, s6, 24
	s_add_i32 s6, s48, s6
	s_ashr_i32 s49, s6, 8
	v_cmp_eq_u32_e32 vcc, 64, v18
	v_mov_b32_e32 v38, 0
	s_mov_b32 s62, -1
	v_cmp_ne_u32_e64 s[10:11], 64, v18
	v_mov_b32_e32 v37, 0
	v_lshlrev_b32_e32 v57, 10, v56
	s_mov_b64 s[44:45], 0
	v_mov_b32_e32 v39, 0
	s_movk_i32 s50, 0x108
	v_mov_b32_e32 v7, 1
	s_xor_b64 s[46:47], vcc, -1
	s_movk_i32 s51, 0x7f
	s_movk_i32 s52, 0xff
	;; [unrolled: 1-line block ×3, first 2 shown]
	s_mov_b64 s[56:57], 0x7f800000
	s_mov_b64 s[58:59], 0x43e00001
	s_movk_i32 s54, 0x7a
	s_mov_b64 s[60:61], 0xffffff
	s_mov_b32 s63, 0xffffff
	s_movk_i32 s55, 0xffc0
	s_mov_b32 s64, 0x3ffffc00
	v_bfrev_b32_e32 v58, 60
	v_mov_b32_e32 v31, 0x78
	v_mov_b32_e32 v62, 0xffffff82
	s_waitcnt vmcnt(1)
	v_cmp_ge_u32_e64 s[6:7], v2, v18
	s_waitcnt vmcnt(0)
	v_ashrrev_i32_e32 v47, 31, v1
	buffer_load_dword v1, off, s[0:3], s33 offset:340 ; 4-byte Folded Reload
	s_waitcnt vmcnt(0)
	v_cmp_ne_u32_sdwa s[42:43], v18, v1 src0_sel:DWORD src1_sel:WORD_0
	buffer_load_dword v1, off, s[0:3], s33 offset:324 ; 4-byte Folded Reload
	s_waitcnt vmcnt(0)
	v_and_b32_e32 v1, 63, v1
	v_cmp_eq_u32_e64 s[12:13], 0, v1
	v_and_b32_e32 v1, 63, v2
	v_cmp_le_u32_e64 s[14:15], v1, v0
	v_cmp_lt_u32_e64 s[16:17], v1, v0
	v_lshrrev_b32_e32 v0, 6, v2
	buffer_store_dword v0, off, s[0:3], s33 offset:168 ; 4-byte Folded Spill
	v_lshlrev_b32_e32 v0, 11, v0
	v_lshl_or_b32 v0, v1, 4, v0
	buffer_store_dword v0, off, s[0:3], s33 offset:196 ; 4-byte Folded Spill
	v_lshlrev_b32_e32 v0, 11, v56
	buffer_store_dword v0, off, s[0:3], s33 offset:140 ; 4-byte Folded Spill
	v_and_b32_e32 v0, 0x3fc0, v18
	buffer_store_dword v1, off, s[0:3], s33 offset:192 ; 4-byte Folded Spill
	buffer_store_dword v0, off, s[0:3], s33 offset:144 ; 4-byte Folded Spill
	buffer_load_dword v0, off, s[0:3], s33 offset:316 ; 4-byte Folded Reload
	s_nop 0
	buffer_load_dword v1, off, s[0:3], s33 offset:320 ; 4-byte Folded Reload
	s_waitcnt vmcnt(0)
	v_cmp_eq_u64_e64 s[18:19], 0, v[0:1]
	v_mov_b32_e32 v0, 0
	v_mov_b32_e32 v1, 0
	buffer_store_dword v0, off, s[0:3], s33 offset:80 ; 4-byte Folded Spill
	s_nop 0
	buffer_store_dword v1, off, s[0:3], s33 offset:84 ; 4-byte Folded Spill
	buffer_load_dword v0, off, s[0:3], s33 offset:104 ; 4-byte Folded Reload
	s_nop 0
	buffer_load_dword v1, off, s[0:3], s33 offset:108 ; 4-byte Folded Reload
	buffer_load_dword v2, off, s[0:3], s33 offset:112 ; 4-byte Folded Reload
	;; [unrolled: 1-line block ×5, first 2 shown]
	s_nop 0
	buffer_store_dword v47, off, s[0:3], s33 offset:160 ; 4-byte Folded Spill
	buffer_store_dword v56, off, s[0:3], s33 offset:136 ; 4-byte Folded Spill
	;; [unrolled: 1-line block ×3, first 2 shown]
	s_branch .LBB4_49
.LBB4_47:                               ;   in Loop: Header=BB4_49 Depth=1
	s_or_b64 exec, exec, s[20:21]
.LBB4_48:                               ;   in Loop: Header=BB4_49 Depth=1
	s_or_b64 exec, exec, s[22:23]
	buffer_load_dword v4, off, s[0:3], s33 offset:248 ; 4-byte Folded Reload
	buffer_load_dword v5, off, s[0:3], s33 offset:252 ; 4-byte Folded Reload
	;; [unrolled: 1-line block ×6, first 2 shown]
	s_waitcnt vmcnt(0)
	v_add_co_u32_e32 v38, vcc, v38, v4
	v_addc_co_u32_e32 v39, vcc, 0, v39, vcc
	v_cmp_ge_u64_e32 vcc, v[38:39], v[0:1]
	s_or_b64 s[44:45], vcc, s[44:45]
	s_andn2_b64 exec, exec, s[44:45]
	s_cbranch_execz .LBB4_3630
.LBB4_49:                               ; =>This Loop Header: Depth=1
                                        ;     Child Loop BB4_57 Depth 2
                                        ;     Child Loop BB4_84 Depth 2
	;; [unrolled: 1-line block ×10, first 2 shown]
	s_waitcnt vmcnt(0)
	v_sub_co_u32_e32 v0, vcc, v0, v38
	s_waitcnt vmcnt(7)
	v_subb_co_u32_e32 v1, vcc, v1, v39, vcc
	s_waitcnt vmcnt(3)
	v_cmp_lt_u64_e32 vcc, v[4:5], v[0:1]
	v_cndmask_b32_e32 v2, v0, v4, vcc
	v_cndmask_b32_e64 v3, v1, 0, vcc
	v_mov_b32_e32 v1, v2
	v_add_u32_e32 v0, 15, v2
	buffer_store_dword v1, off, s[0:3], s33 offset:128 ; 4-byte Folded Spill
	s_nop 0
	buffer_store_dword v2, off, s[0:3], s33 offset:132 ; 4-byte Folded Spill
	v_and_b32_e32 v0, 0x7ffffff0, v0
	v_max_i32_e32 v0, s49, v0
	buffer_store_dword v0, off, s[0:3], s33 offset:120 ; 4-byte Folded Spill
	s_nop 0
	buffer_store_dword v1, off, s[0:3], s33 offset:124 ; 4-byte Folded Spill
	v_cmp_eq_u64_e32 vcc, 0, v[2:3]
	v_mov_b32_e32 v0, v37
	s_or_b64 s[72:73], s[6:7], vcc
	s_xor_b64 s[20:21], s[72:73], -1
	s_and_saveexec_b64 s[74:75], s[20:21]
	s_cbranch_execz .LBB4_3580
; %bb.50:                               ;   in Loop: Header=BB4_49 Depth=1
	s_and_saveexec_b64 s[20:21], s[4:5]
	s_cbranch_execz .LBB4_52
; %bb.51:                               ;   in Loop: Header=BB4_49 Depth=1
	s_trap 2
	ds_read_b64 v[0:1], v0
	buffer_load_dword v2, off, s[0:3], s33 offset:284 ; 4-byte Folded Reload
	buffer_load_dword v3, off, s[0:3], s33 offset:288 ; 4-byte Folded Reload
	v_mov_b32_e32 v36, v37
	s_waitcnt vmcnt(0) lgkmcnt(0)
	v_add_co_u32_e32 v0, vcc, v0, v2
	s_waitcnt vmcnt(0)
	v_addc_co_u32_e32 v1, vcc, v1, v3, vcc
	v_add_co_u32_e32 v0, vcc, v0, v38
	v_addc_co_u32_e32 v1, vcc, v1, v39, vcc
	ds_write_b64 v0, v[0:1]
	ds_write_b64 v0, v[36:37]
.LBB4_52:                               ;   in Loop: Header=BB4_49 Depth=1
	s_or_b64 exec, exec, s[20:21]
	buffer_load_dword v0, off, s[0:3], s33 offset:128 ; 4-byte Folded Reload
	buffer_load_dword v1, off, s[0:3], s33 offset:132 ; 4-byte Folded Reload
	buffer_load_dword v1, off, s[0:3], s33 offset:120 ; 4-byte Folded Reload
	buffer_load_dword v2, off, s[0:3], s33 offset:124 ; 4-byte Folded Reload
	s_waitcnt vmcnt(0)
	v_min_u32_e32 v1, v1, v0
	buffer_store_dword v1, off, s[0:3], s33 offset:120 ; 4-byte Folded Spill
	s_waitcnt vmcnt(1)
	buffer_store_dword v2, off, s[0:3], s33 offset:124 ; 4-byte Folded Spill
	buffer_load_dword v0, off, s[0:3], s33 offset:76 ; 4-byte Folded Reload
	s_waitcnt vmcnt(0)
	v_and_b32_e32 v0, 12, v0
	v_cmp_ne_u32_e32 vcc, 0, v0
	s_and_saveexec_b64 s[22:23], vcc
	s_cbranch_execz .LBB4_76
; %bb.53:                               ;   in Loop: Header=BB4_49 Depth=1
	buffer_load_dword v0, off, s[0:3], s33 offset:76 ; 4-byte Folded Reload
	buffer_load_dword v1, off, s[0:3], s33 offset:68 ; 4-byte Folded Reload
	;; [unrolled: 1-line block ×7, first 2 shown]
	s_waitcnt vmcnt(0)
	v_and_b32_e32 v0, 8, v0
	s_waitcnt vmcnt(5)
	v_add_co_u32_e32 v1, vcc, v1, v0
	s_waitcnt vmcnt(4)
	v_addc_co_u32_e32 v2, vcc, 0, v2, vcc
	s_waitcnt vmcnt(1)
	v_add_co_u32_e32 v10, vcc, 1, v5
	s_waitcnt vmcnt(0)
	v_addc_co_u32_e32 v11, vcc, 0, v6, vcc
	v_cmp_lt_u64_e32 vcc, v[1:2], v[10:11]
	s_and_saveexec_b64 s[76:77], vcc
	s_cbranch_execz .LBB4_65
; %bb.54:                               ;   in Loop: Header=BB4_49 Depth=1
	buffer_load_dword v1, off, s[0:3], s33 offset:76 ; 4-byte Folded Reload
	s_mov_b32 s65, 0
	s_mov_b64 s[78:79], 0
                                        ; implicit-def: $sgpr88_sgpr89
                                        ; implicit-def: $sgpr90_sgpr91
                                        ; implicit-def: $sgpr92_sgpr93
	s_waitcnt vmcnt(0)
	v_and_b32_e32 v1, 64, v1
	v_cmp_eq_u32_e32 vcc, 0, v1
	s_branch .LBB4_57
.LBB4_55:                               ;   in Loop: Header=BB4_57 Depth=2
	s_or_b64 exec, exec, s[38:39]
	s_andn2_b64 s[20:21], s[92:93], exec
	s_and_b64 s[92:93], s[34:35], exec
	s_or_b64 s[92:93], s[20:21], s[92:93]
	s_andn2_b64 s[20:21], s[90:91], exec
	s_and_b64 s[90:91], s[30:31], exec
	s_or_b64 s[90:91], s[20:21], s[90:91]
.LBB4_56:                               ;   in Loop: Header=BB4_57 Depth=2
	s_or_b64 exec, exec, s[94:95]
	s_and_b64 s[20:21], exec, s[90:91]
	s_or_b64 s[78:79], s[20:21], s[78:79]
	s_andn2_b64 s[20:21], s[88:89], exec
	s_and_b64 s[88:89], s[92:93], exec
	s_or_b64 s[88:89], s[20:21], s[88:89]
	s_andn2_b64 exec, exec, s[78:79]
	s_cbranch_execz .LBB4_62
.LBB4_57:                               ;   Parent Loop BB4_49 Depth=1
                                        ; =>  This Inner Loop Header: Depth=2
	s_sleep 1
	buffer_load_dword v1, off, s[0:3], s33 offset:60 ; 4-byte Folded Reload
	buffer_load_dword v2, off, s[0:3], s33 offset:64 ; 4-byte Folded Reload
	s_or_b64 s[92:93], s[92:93], exec
	s_or_b64 s[90:91], s[90:91], exec
	s_waitcnt vmcnt(0)
	flat_load_dwordx2 v[1:2], v[1:2] glc
	s_waitcnt vmcnt(0) lgkmcnt(0)
	buffer_store_dword v1, off, s[0:3], s33 offset:68 ; 4-byte Folded Spill
	s_nop 0
	buffer_store_dword v2, off, s[0:3], s33 offset:72 ; 4-byte Folded Spill
                                        ; implicit-def: $vgpr1
	s_and_saveexec_b64 s[94:95], vcc
	s_cbranch_execz .LBB4_56
; %bb.58:                               ;   in Loop: Header=BB4_57 Depth=2
	s_cmpk_lt_i32 s65, 0x270f
	s_cselect_b64 s[36:37], -1, 0
	s_cmpk_gt_i32 s65, 0x270e
	s_mov_b64 s[30:31], -1
	s_cbranch_scc0 .LBB4_60
; %bb.59:                               ;   in Loop: Header=BB4_57 Depth=2
	s_trap 2
	ds_read_b64 v[1:2], v0
	s_andn2_b64 s[36:37], s[36:37], exec
	s_mov_b32 s65, 0
	s_mov_b64 s[34:35], 0
	s_waitcnt vmcnt(0) lgkmcnt(0)
	flat_load_dword v1, v[1:2] glc
	s_waitcnt vmcnt(0) lgkmcnt(0)
	buffer_wbinvl1_vol
	v_cmp_eq_u32_e64 s[20:21], 0, v1
	s_and_b64 s[20:21], s[20:21], exec
	s_or_b64 s[36:37], s[36:37], s[20:21]
	s_and_saveexec_b64 s[38:39], s[36:37]
	s_cbranch_execz .LBB4_55
	s_branch .LBB4_61
.LBB4_60:                               ;   in Loop: Header=BB4_57 Depth=2
	s_add_i32 s65, s65, 1
	s_mov_b64 s[34:35], -1
                                        ; implicit-def: $vgpr1
	s_and_saveexec_b64 s[38:39], s[36:37]
	s_cbranch_execz .LBB4_55
.LBB4_61:                               ;   in Loop: Header=BB4_57 Depth=2
	buffer_load_dword v2, off, s[0:3], s33 offset:68 ; 4-byte Folded Reload
	buffer_load_dword v3, off, s[0:3], s33 offset:72 ; 4-byte Folded Reload
	s_or_b64 s[34:35], s[34:35], exec
	s_waitcnt vmcnt(1)
	v_add_co_u32_e64 v2, s[20:21], v2, v0
	s_waitcnt vmcnt(0)
	v_addc_co_u32_e64 v3, s[20:21], 0, v3, s[20:21]
	v_cmp_ge_u64_e64 s[20:21], v[2:3], v[10:11]
	s_orn2_b64 s[30:31], s[20:21], exec
	s_branch .LBB4_55
.LBB4_62:                               ;   in Loop: Header=BB4_49 Depth=1
	s_or_b64 exec, exec, s[78:79]
	s_xor_b64 s[20:21], s[88:89], -1
	s_and_saveexec_b64 s[78:79], s[20:21]
	s_xor_b64 s[20:21], exec, s[78:79]
	s_cbranch_execz .LBB4_64
; %bb.63:                               ;   in Loop: Header=BB4_49 Depth=1
	ds_write_b32 v0, v1
	s_trap 2
	buffer_load_dword v1, off, s[0:3], s33 offset:76 ; 4-byte Folded Reload
	s_waitcnt vmcnt(0)
	v_or_b32_e32 v1, 64, v1
	buffer_store_dword v1, off, s[0:3], s33 offset:76 ; 4-byte Folded Spill
.LBB4_64:                               ;   in Loop: Header=BB4_49 Depth=1
	s_or_b64 exec, exec, s[20:21]
.LBB4_65:                               ;   in Loop: Header=BB4_49 Depth=1
	s_or_b64 exec, exec, s[76:77]
	;;#ASMSTART
	s_wakeup
	;;#ASMEND
	buffer_load_dword v1, off, s[0:3], s33 offset:76 ; 4-byte Folded Reload
	s_waitcnt vmcnt(0)
	v_and_b32_e32 v1, 0x108, v1
	v_cmp_ne_u32_e32 vcc, s50, v1
	buffer_load_dword v1, off, s[0:3], s33 offset:88 ; 4-byte Folded Reload
	buffer_load_dword v2, off, s[0:3], s33 offset:92 ; 4-byte Folded Reload
	;; [unrolled: 1-line block ×4, first 2 shown]
	s_waitcnt vmcnt(0)
	v_and_b32_e32 v1, 7, v3
	s_and_saveexec_b64 s[20:21], vcc
	s_xor_b64 s[20:21], exec, s[20:21]
	s_andn2_saveexec_b64 s[20:21], s[20:21]
	s_cbranch_execz .LBB4_67
; %bb.66:                               ;   in Loop: Header=BB4_49 Depth=1
	buffer_load_dword v2, off, s[0:3], s33 offset:88 ; 4-byte Folded Reload
	buffer_load_dword v3, off, s[0:3], s33 offset:92 ; 4-byte Folded Reload
	;; [unrolled: 1-line block ×6, first 2 shown]
	s_waitcnt vmcnt(0)
	v_mov_b32_e32 v5, v37
	v_mad_u64_u32 v[2:3], s[76:77], v1, 24, v[2:3]
	v_mov_b32_e32 v6, v4
	buffer_store_dword v6, off, s[0:3], s33 offset:120 ; 4-byte Folded Spill
	s_nop 0
	buffer_store_dword v7, off, s[0:3], s33 offset:124 ; 4-byte Folded Spill
	flat_store_dwordx2 v[2:3], v[4:5] offset:8
.LBB4_67:                               ;   in Loop: Header=BB4_49 Depth=1
	s_or_b64 exec, exec, s[20:21]
	buffer_load_dword v2, off, s[0:3], s33 offset:76 ; 4-byte Folded Reload
	s_mov_b64 s[20:21], -1
                                        ; implicit-def: $vgpr8_vgpr9
	s_waitcnt vmcnt(0)
	v_and_b32_e32 v2, 0x100, v2
	v_cmp_ne_u32_e32 vcc, 0, v2
	s_and_saveexec_b64 s[76:77], vcc
	s_cbranch_execz .LBB4_71
; %bb.68:                               ;   in Loop: Header=BB4_49 Depth=1
	buffer_load_dword v2, off, s[0:3], s33 offset:88 ; 4-byte Folded Reload
	buffer_load_dword v3, off, s[0:3], s33 offset:92 ; 4-byte Folded Reload
	;; [unrolled: 1-line block ×4, first 2 shown]
                                        ; implicit-def: $vgpr8_vgpr9
	s_waitcnt vmcnt(0)
	v_mad_u64_u32 v[12:13], s[20:21], v1, 24, v[2:3]
	v_mov_b32_e32 v2, v13
	v_mad_u64_u32 v[2:3], s[20:21], v37, 24, v[2:3]
	v_mov_b32_e32 v13, v2
	flat_load_dword v2, v[12:13]
	s_waitcnt vmcnt(0) lgkmcnt(0)
	v_cmp_ne_u32_e32 vcc, 1, v2
	v_cmp_eq_u32_e64 s[20:21], 1, v2
	s_and_saveexec_b64 s[78:79], s[20:21]
	s_cbranch_execz .LBB4_70
; %bb.69:                               ;   in Loop: Header=BB4_49 Depth=1
	flat_load_dword v8, v[12:13] offset:4 glc
	s_waitcnt vmcnt(0) lgkmcnt(0)
	v_ashrrev_i32_e32 v9, 31, v8
.LBB4_70:                               ;   in Loop: Header=BB4_49 Depth=1
	s_or_b64 exec, exec, s[78:79]
	s_orn2_b64 s[20:21], vcc, exec
.LBB4_71:                               ;   in Loop: Header=BB4_49 Depth=1
	s_or_b64 exec, exec, s[76:77]
	s_and_saveexec_b64 s[76:77], s[20:21]
	s_cbranch_execz .LBB4_73
; %bb.72:                               ;   in Loop: Header=BB4_49 Depth=1
	buffer_load_dword v4, off, s[0:3], s33 offset:312 ; 4-byte Folded Reload
	v_mul_lo_u32 v3, v1, v47
	s_waitcnt vmcnt(0)
	v_mul_lo_u32 v2, v37, v4
	v_mad_u64_u32 v[8:9], s[20:21], v1, v4, 0
	v_add3_u32 v9, v9, v3, v2
.LBB4_73:                               ;   in Loop: Header=BB4_49 Depth=1
	s_or_b64 exec, exec, s[76:77]
	v_cmp_eq_u32_e32 vcc, 0, v0
	v_mov_b32_e32 v0, 0xc8
	v_mov_b32_e32 v1, 0x90
	v_cndmask_b32_e32 v2, v0, v1, vcc
	buffer_load_dword v0, off, s[0:3], s33 offset:260 ; 4-byte Folded Reload
	buffer_load_dword v1, off, s[0:3], s33 offset:264 ; 4-byte Folded Reload
	s_waitcnt vmcnt(0)
	v_add_co_u32_e32 v0, vcc, v0, v8
	v_addc_co_u32_e32 v1, vcc, v1, v9, vcc
	v_add_u32_e32 v2, v0, v2
	ds_write_b64 v2, v[0:1] offset:584
	buffer_load_dword v0, off, s[0:3], s33 offset:76 ; 4-byte Folded Reload
	s_waitcnt vmcnt(0)
	v_and_b32_e32 v0, 0x2000, v0
	v_cmp_ne_u32_e32 vcc, 0, v0
	s_and_saveexec_b64 s[20:21], vcc
	s_cbranch_execz .LBB4_75
; %bb.74:                               ;   in Loop: Header=BB4_49 Depth=1
	ds_read_b64 v[0:1], v0 offset:872
	s_waitcnt lgkmcnt(0)
	v_add_co_u32_e32 v0, vcc, 1, v0
	v_addc_co_u32_e32 v1, vcc, 0, v1, vcc
	ds_write_b64 v0, v[0:1] offset:872
.LBB4_75:                               ;   in Loop: Header=BB4_49 Depth=1
	s_or_b64 exec, exec, s[20:21]
	buffer_load_dword v0, off, s[0:3], s33 offset:88 ; 4-byte Folded Reload
	buffer_load_dword v1, off, s[0:3], s33 offset:92 ; 4-byte Folded Reload
	;; [unrolled: 1-line block ×4, first 2 shown]
	s_waitcnt vmcnt(0)
	v_mov_b32_e32 v2, v10
	v_mov_b32_e32 v3, v11
	buffer_store_dword v0, off, s[0:3], s33 offset:88 ; 4-byte Folded Spill
	s_nop 0
	buffer_store_dword v1, off, s[0:3], s33 offset:92 ; 4-byte Folded Spill
	buffer_store_dword v2, off, s[0:3], s33 offset:96 ; 4-byte Folded Spill
	;; [unrolled: 1-line block ×3, first 2 shown]
.LBB4_76:                               ;   in Loop: Header=BB4_49 Depth=1
	s_or_b64 exec, exec, s[22:23]
	s_and_saveexec_b64 s[20:21], s[10:11]
	s_cbranch_execz .LBB4_95
; %bb.77:                               ;   in Loop: Header=BB4_49 Depth=1
	s_and_saveexec_b64 s[22:23], s[42:43]
	s_xor_b64 s[22:23], exec, s[22:23]
	s_cbranch_execz .LBB4_92
; %bb.78:                               ;   in Loop: Header=BB4_49 Depth=1
	s_and_saveexec_b64 s[76:77], s[12:13]
	s_cbranch_execz .LBB4_91
; %bb.79:                               ;   in Loop: Header=BB4_49 Depth=1
	s_mov_b64 s[88:89], exec
	v_mbcnt_lo_u32_b32 v0, s88, 0
	v_mbcnt_hi_u32_b32 v0, s89, v0
	v_cmp_eq_u32_e32 vcc, 0, v0
	s_waitcnt vmcnt(0) lgkmcnt(0)
	buffer_wbinvl1_vol
	s_and_saveexec_b64 s[78:79], vcc
	s_cbranch_execz .LBB4_81
; %bb.80:                               ;   in Loop: Header=BB4_49 Depth=1
	s_bcnt1_i32_b64 s88, s[88:89]
	v_mov_b32_e32 v36, s88
	ds_add_u64 v0, v[36:37]
	s_trap 2
.LBB4_81:                               ;   in Loop: Header=BB4_49 Depth=1
	s_or_b64 exec, exec, s[78:79]
	s_trap 2
	ds_read_b64 v[0:1], v0
	s_waitcnt lgkmcnt(0)
	buffer_load_dword v2, off, s[0:3], s33 offset:80 ; 4-byte Folded Reload
	buffer_load_dword v3, off, s[0:3], s33 offset:84 ; 4-byte Folded Reload
	s_waitcnt vmcnt(1)
	v_add_co_u32_e32 v2, vcc, v2, v56
	s_waitcnt vmcnt(0)
	v_addc_co_u32_e32 v3, vcc, 0, v3, vcc
	buffer_store_dword v2, off, s[0:3], s33 offset:80 ; 4-byte Folded Spill
	s_nop 0
	buffer_store_dword v3, off, s[0:3], s33 offset:84 ; 4-byte Folded Spill
	v_cmp_lt_u64_e32 vcc, v[0:1], v[2:3]
	s_and_saveexec_b64 s[78:79], vcc
	s_cbranch_execz .LBB4_90
; %bb.82:                               ;   in Loop: Header=BB4_49 Depth=1
	s_mov_b32 s34, 0
	s_mov_b64 s[88:89], 0
                                        ; implicit-def: $sgpr90_sgpr91
                                        ; implicit-def: $sgpr92_sgpr93
	s_branch .LBB4_84
.LBB4_83:                               ;   in Loop: Header=BB4_84 Depth=2
	s_or_b64 exec, exec, s[30:31]
	s_and_b64 s[94:95], exec, vcc
	s_or_b64 s[88:89], s[94:95], s[88:89]
	s_andn2_b64 s[90:91], s[90:91], exec
	s_and_b64 s[94:95], s[92:93], exec
	s_or_b64 s[90:91], s[90:91], s[94:95]
	s_andn2_b64 exec, exec, s[88:89]
	s_cbranch_execz .LBB4_88
.LBB4_84:                               ;   Parent Loop BB4_49 Depth=1
                                        ; =>  This Inner Loop Header: Depth=2
	s_add_i32 s34, s34, 1
	s_cmpk_lg_i32 s34, 0x2710
	s_cselect_b64 s[94:95], -1, 0
	s_and_b64 vcc, exec, s[94:95]
	s_cbranch_vccz .LBB4_86
; %bb.85:                               ;   in Loop: Header=BB4_84 Depth=2
	s_mov_b64 vcc, -1
	s_or_b64 s[92:93], s[92:93], exec
	s_and_saveexec_b64 s[30:31], s[94:95]
	s_cbranch_execz .LBB4_83
	s_branch .LBB4_87
.LBB4_86:                               ;   in Loop: Header=BB4_84 Depth=2
	s_trap 2
	ds_read_b64 v[0:1], v0
	s_andn2_b64 s[94:95], s[94:95], exec
	s_mov_b32 s34, 0
	s_waitcnt vmcnt(0) lgkmcnt(0)
	flat_load_dword v0, v[0:1] glc
	s_waitcnt vmcnt(0) lgkmcnt(0)
	buffer_wbinvl1_vol
	v_cmp_eq_u32_e32 vcc, 0, v0
	s_and_b64 vcc, vcc, exec
	s_or_b64 s[94:95], s[94:95], vcc
	s_mov_b64 vcc, -1
	s_or_b64 s[92:93], s[92:93], exec
	s_and_saveexec_b64 s[30:31], s[94:95]
	s_cbranch_execz .LBB4_83
.LBB4_87:                               ;   in Loop: Header=BB4_84 Depth=2
	s_sleep 1
	s_trap 2
	ds_read_b64 v[0:1], v0
	s_waitcnt lgkmcnt(0)
	buffer_load_dword v2, off, s[0:3], s33 offset:80 ; 4-byte Folded Reload
	buffer_load_dword v3, off, s[0:3], s33 offset:84 ; 4-byte Folded Reload
	s_andn2_b64 s[92:93], s[92:93], exec
	s_waitcnt vmcnt(0)
	v_cmp_ge_u64_e32 vcc, v[0:1], v[2:3]
	s_orn2_b64 vcc, vcc, exec
	s_branch .LBB4_83
.LBB4_88:                               ;   in Loop: Header=BB4_49 Depth=1
	s_or_b64 exec, exec, s[88:89]
	s_and_saveexec_b64 s[88:89], s[90:91]
	s_xor_b64 s[88:89], exec, s[88:89]
	s_cbranch_execz .LBB4_90
; %bb.89:                               ;   in Loop: Header=BB4_49 Depth=1
	ds_write_b32 v0, v7
	s_trap 2
.LBB4_90:                               ;   in Loop: Header=BB4_49 Depth=1
	s_or_b64 exec, exec, s[78:79]
	;;#ASMSTART
	s_wakeup
	;;#ASMEND
.LBB4_91:                               ;   in Loop: Header=BB4_49 Depth=1
	s_or_b64 exec, exec, s[76:77]
.LBB4_92:                               ;   in Loop: Header=BB4_49 Depth=1
	s_andn2_saveexec_b64 s[22:23], s[22:23]
	s_cbranch_execz .LBB4_94
; %bb.93:                               ;   in Loop: Header=BB4_49 Depth=1
	s_waitcnt vmcnt(0) lgkmcnt(0)
	buffer_wbinvl1_vol
	s_barrier
.LBB4_94:                               ;   in Loop: Header=BB4_49 Depth=1
	s_or_b64 exec, exec, s[22:23]
.LBB4_95:                               ;   in Loop: Header=BB4_49 Depth=1
	s_or_b64 exec, exec, s[20:21]
	s_trap 2
	buffer_load_dword v1, off, s[0:3], s33 offset:76 ; 4-byte Folded Reload
	ds_read_b32 v0, v0
	s_waitcnt vmcnt(0)
	v_and_b32_e32 v1, 0x4000, v1
	v_cmp_ne_u32_e32 vcc, 0, v1
	s_and_b64 s[22:23], s[46:47], vcc
	s_and_saveexec_b64 s[20:21], s[22:23]
	s_cbranch_execz .LBB4_114
; %bb.96:                               ;   in Loop: Header=BB4_49 Depth=1
	s_and_saveexec_b64 s[22:23], s[42:43]
	s_xor_b64 s[22:23], exec, s[22:23]
	s_cbranch_execz .LBB4_111
; %bb.97:                               ;   in Loop: Header=BB4_49 Depth=1
	s_and_saveexec_b64 s[76:77], s[12:13]
	s_cbranch_execz .LBB4_110
; %bb.98:                               ;   in Loop: Header=BB4_49 Depth=1
	s_mov_b64 s[88:89], exec
	v_mbcnt_lo_u32_b32 v1, s88, 0
	v_mbcnt_hi_u32_b32 v1, s89, v1
	v_cmp_eq_u32_e32 vcc, 0, v1
	s_waitcnt lgkmcnt(0)
	buffer_wbinvl1_vol
	s_and_saveexec_b64 s[78:79], vcc
	s_cbranch_execz .LBB4_100
; %bb.99:                               ;   in Loop: Header=BB4_49 Depth=1
	s_bcnt1_i32_b64 s88, s[88:89]
	v_mov_b32_e32 v36, s88
	ds_add_u64 v0, v[36:37]
	s_trap 2
.LBB4_100:                              ;   in Loop: Header=BB4_49 Depth=1
	s_or_b64 exec, exec, s[78:79]
	s_trap 2
	ds_read_b64 v[1:2], v0
	s_waitcnt lgkmcnt(0)
	buffer_load_dword v3, off, s[0:3], s33 offset:80 ; 4-byte Folded Reload
	buffer_load_dword v4, off, s[0:3], s33 offset:84 ; 4-byte Folded Reload
	s_waitcnt vmcnt(1)
	v_add_co_u32_e32 v3, vcc, v3, v56
	s_waitcnt vmcnt(0)
	v_addc_co_u32_e32 v4, vcc, 0, v4, vcc
	buffer_store_dword v3, off, s[0:3], s33 offset:80 ; 4-byte Folded Spill
	s_nop 0
	buffer_store_dword v4, off, s[0:3], s33 offset:84 ; 4-byte Folded Spill
	v_cmp_lt_u64_e32 vcc, v[1:2], v[3:4]
	s_and_saveexec_b64 s[78:79], vcc
	s_cbranch_execz .LBB4_109
; %bb.101:                              ;   in Loop: Header=BB4_49 Depth=1
	s_mov_b32 s34, 0
	s_mov_b64 s[88:89], 0
                                        ; implicit-def: $sgpr90_sgpr91
                                        ; implicit-def: $sgpr92_sgpr93
	s_branch .LBB4_103
.LBB4_102:                              ;   in Loop: Header=BB4_103 Depth=2
	s_or_b64 exec, exec, s[30:31]
	s_and_b64 s[94:95], exec, vcc
	s_or_b64 s[88:89], s[94:95], s[88:89]
	s_andn2_b64 s[90:91], s[90:91], exec
	s_and_b64 s[94:95], s[92:93], exec
	s_or_b64 s[90:91], s[90:91], s[94:95]
	s_andn2_b64 exec, exec, s[88:89]
	s_cbranch_execz .LBB4_107
.LBB4_103:                              ;   Parent Loop BB4_49 Depth=1
                                        ; =>  This Inner Loop Header: Depth=2
	s_add_i32 s34, s34, 1
	s_cmpk_lg_i32 s34, 0x2710
	s_cselect_b64 s[94:95], -1, 0
	s_and_b64 vcc, exec, s[94:95]
	s_cbranch_vccz .LBB4_105
; %bb.104:                              ;   in Loop: Header=BB4_103 Depth=2
	s_mov_b64 vcc, -1
	s_or_b64 s[92:93], s[92:93], exec
	s_and_saveexec_b64 s[30:31], s[94:95]
	s_cbranch_execz .LBB4_102
	s_branch .LBB4_106
.LBB4_105:                              ;   in Loop: Header=BB4_103 Depth=2
	s_trap 2
	ds_read_b64 v[1:2], v0
	s_andn2_b64 s[94:95], s[94:95], exec
	s_mov_b32 s34, 0
	s_waitcnt vmcnt(0) lgkmcnt(0)
	flat_load_dword v1, v[1:2] glc
	s_waitcnt vmcnt(0) lgkmcnt(0)
	buffer_wbinvl1_vol
	v_cmp_eq_u32_e32 vcc, 0, v1
	s_and_b64 vcc, vcc, exec
	s_or_b64 s[94:95], s[94:95], vcc
	s_mov_b64 vcc, -1
	s_or_b64 s[92:93], s[92:93], exec
	s_and_saveexec_b64 s[30:31], s[94:95]
	s_cbranch_execz .LBB4_102
.LBB4_106:                              ;   in Loop: Header=BB4_103 Depth=2
	s_sleep 1
	s_trap 2
	ds_read_b64 v[1:2], v0
	s_waitcnt lgkmcnt(0)
	buffer_load_dword v3, off, s[0:3], s33 offset:80 ; 4-byte Folded Reload
	buffer_load_dword v4, off, s[0:3], s33 offset:84 ; 4-byte Folded Reload
	s_andn2_b64 s[92:93], s[92:93], exec
	s_waitcnt vmcnt(0)
	v_cmp_ge_u64_e32 vcc, v[1:2], v[3:4]
	s_orn2_b64 vcc, vcc, exec
	s_branch .LBB4_102
.LBB4_107:                              ;   in Loop: Header=BB4_49 Depth=1
	s_or_b64 exec, exec, s[88:89]
	s_and_saveexec_b64 s[88:89], s[90:91]
	s_xor_b64 s[88:89], exec, s[88:89]
	s_cbranch_execz .LBB4_109
; %bb.108:                              ;   in Loop: Header=BB4_49 Depth=1
	ds_write_b32 v0, v7
	s_trap 2
.LBB4_109:                              ;   in Loop: Header=BB4_49 Depth=1
	s_or_b64 exec, exec, s[78:79]
	;;#ASMSTART
	s_wakeup
	;;#ASMEND
.LBB4_110:                              ;   in Loop: Header=BB4_49 Depth=1
	s_or_b64 exec, exec, s[76:77]
.LBB4_111:                              ;   in Loop: Header=BB4_49 Depth=1
	s_andn2_saveexec_b64 s[22:23], s[22:23]
	s_cbranch_execz .LBB4_113
; %bb.112:                              ;   in Loop: Header=BB4_49 Depth=1
	s_waitcnt vmcnt(0) lgkmcnt(0)
	buffer_wbinvl1_vol
	s_barrier
.LBB4_113:                              ;   in Loop: Header=BB4_49 Depth=1
	s_or_b64 exec, exec, s[22:23]
.LBB4_114:                              ;   in Loop: Header=BB4_49 Depth=1
	s_or_b64 exec, exec, s[20:21]
	s_trap 2
	s_waitcnt lgkmcnt(0)
	ds_read_b64 v[8:9], v0
	s_waitcnt lgkmcnt(0)
	v_cmp_eq_u64_e32 vcc, 0, v[8:9]
	s_cbranch_vccnz .LBB4_1732
; %bb.115:                              ;   in Loop: Header=BB4_49 Depth=1
	s_trap 2
	ds_read_b64 v[44:45], v0
	s_waitcnt lgkmcnt(0)
	v_cmp_eq_u64_e32 vcc, 0, v[44:45]
	s_cbranch_vccnz .LBB4_1732
; %bb.116:                              ;   in Loop: Header=BB4_49 Depth=1
	s_mov_b64 s[22:23], -1
	s_and_saveexec_b64 s[20:21], s[14:15]
	s_cbranch_execz .LBB4_118
; %bb.117:                              ;   in Loop: Header=BB4_49 Depth=1
	ds_read_b32 v1, v0 offset:720
	s_waitcnt lgkmcnt(0)
	v_and_b32_e32 v1, 15, v1
	v_cmp_eq_u32_e32 vcc, 0, v1
	s_orn2_b64 s[22:23], vcc, exec
.LBB4_118:                              ;   in Loop: Header=BB4_49 Depth=1
	s_or_b64 exec, exec, s[20:21]
	s_and_saveexec_b64 s[20:21], s[16:17]
	s_cbranch_execz .LBB4_120
; %bb.119:                              ;   in Loop: Header=BB4_49 Depth=1
	ds_read_b32 v1, v0 offset:784
	s_waitcnt lgkmcnt(0)
	v_and_b32_e32 v1, 15, v1
	v_cmp_eq_u32_e32 vcc, 0, v1
	s_and_b64 s[76:77], s[22:23], vcc
	s_andn2_b64 s[22:23], s[22:23], exec
	s_and_b64 s[76:77], s[76:77], exec
	s_or_b64 s[22:23], s[22:23], s[76:77]
.LBB4_120:                              ;   in Loop: Header=BB4_49 Depth=1
	s_or_b64 exec, exec, s[20:21]
	v_cmp_eq_u32_e32 vcc, 0, v0
	buffer_load_dword v0, off, s[0:3], s33 offset:120 ; 4-byte Folded Reload
	buffer_load_dword v1, off, s[0:3], s33 offset:124 ; 4-byte Folded Reload
	;; [unrolled: 1-line block ×3, first 2 shown]
	s_xor_b64 s[22:23], s[22:23], -1
	s_mov_b64 s[20:21], -1
	s_waitcnt vmcnt(1)
	v_cndmask_b32_e32 v1, 0, v0, vcc
	v_cndmask_b32_e64 v0, 0, 1, s[22:23]
	v_cmp_ne_u32_e32 vcc, 0, v0
	v_mov_b32_e32 v0, 0
	buffer_store_dword v1, off, s[0:3], s33 offset:152 ; 4-byte Folded Spill
	s_cbranch_vccnz .LBB4_2549
; %bb.121:                              ;   in Loop: Header=BB4_49 Depth=1
	buffer_load_dword v0, off, s[0:3], s33 offset:152 ; 4-byte Folded Reload
	buffer_load_dword v1, off, s[0:3], s33 offset:168 ; 4-byte Folded Reload
	s_waitcnt vmcnt(1)
	v_lshrrev_b32_e32 v0, 11, v0
	s_waitcnt vmcnt(0)
	v_sub_u32_e32 v57, v0, v1
	v_cmp_lt_i32_e32 vcc, 0, v57
	s_and_saveexec_b64 s[22:23], vcc
	s_cbranch_execz .LBB4_1734
; %bb.122:                              ;   in Loop: Header=BB4_49 Depth=1
	s_trap 2
	buffer_load_dword v2, off, s[0:3], s33 offset:196 ; 4-byte Folded Reload
	ds_read_b64 v[0:1], v0
	s_waitcnt lgkmcnt(0)
	v_readfirstlane_b32 s20, v0
	s_and_b32 s21, s20, 7
	s_flbit_i32_b32 s21, s21
	s_min_u32 s21, s21, 32
	s_and_b32 s76, s20, 0x7f
	s_bfe_u32 s77, s20, 0x40003
	s_sub_i32 s78, s21, 28
	s_sub_i32 s21, 29, s21
	s_cmp_lt_u32 s76, 8
	s_cselect_b32 s78, s78, 0
	s_cselect_b32 s21, s21, s77
	s_lshl_b32 s77, s20, 24
	s_lshl_b32 s21, s21, 23
	s_and_b32 s77, s77, 0x80000000
	s_add_i32 s21, s21, 0x3c000000
	s_or_b32 s21, s77, s21
	s_cmpk_lg_i32 s76, 0x7f
	s_mov_b64 s[76:77], 0
	s_waitcnt vmcnt(0)
	v_add_co_u32_e32 v54, vcc, v8, v2
	buffer_store_dword v8, off, s[0:3], s33 offset:184 ; 4-byte Folded Spill
	s_nop 0
	buffer_store_dword v9, off, s[0:3], s33 offset:188 ; 4-byte Folded Spill
	v_addc_co_u32_e32 v55, vcc, 0, v9, vcc
	v_add_co_u32_e32 v40, vcc, v0, v2
	v_addc_co_u32_e32 v41, vcc, 0, v1, vcc
	v_add_co_u32_e32 v42, vcc, v44, v2
	buffer_store_dword v44, off, s[0:3], s33 offset:176 ; 4-byte Folded Spill
	s_nop 0
	buffer_store_dword v45, off, s[0:3], s33 offset:180 ; 4-byte Folded Spill
	v_lshlrev_b64 v[0:1], s78, v[0:1]
	v_mov_b32_e32 v1, 0x7f800001
	v_lshlrev_b32_e32 v0, 20, v0
	v_and_b32_e32 v0, 0x700000, v0
	v_or_b32_e32 v0, s21, v0
	v_addc_co_u32_e32 v43, vcc, 0, v45, vcc
	s_cselect_b64 vcc, -1, 0
	v_cndmask_b32_e32 v0, v1, v0, vcc
	s_and_b32 s94, s20, 0xff
	buffer_store_dword v0, off, s[0:3], s33 offset:148 ; 4-byte Folded Spill
	s_branch .LBB4_124
.LBB4_123:                              ;   in Loop: Header=BB4_124 Depth=2
	s_or_b64 exec, exec, s[20:21]
	v_lshl_or_b32 v3, v34, 8, v3
	v_lshlrev_b32_e32 v11, 16, v46
	v_lshlrev_b32_e32 v12, 24, v23
	v_or3_b32 v28, v3, v11, v12
	v_lshl_or_b32 v0, v4, 8, v0
	v_lshlrev_b32_e32 v3, 16, v8
	v_lshlrev_b32_e32 v4, 24, v27
	v_or3_b32 v27, v0, v3, v4
	;; [unrolled: 4-line block ×3, first 2 shown]
	v_lshlrev_b32_e32 v0, 24, v17
	v_lshlrev_b32_e32 v2, 16, v52
	v_lshl_or_b32 v3, v32, 8, v20
	v_or3_b32 v30, v3, v2, v0
	v_lshl_or_b32 v0, v24, 8, v7
	v_lshlrev_b32_e32 v2, 16, v16
	v_lshlrev_b32_e32 v3, 24, v35
	v_or3_b32 v3, v0, v2, v3
	v_lshl_or_b32 v0, v33, 8, v19
	v_lshlrev_b32_e32 v2, 16, v50
	v_lshlrev_b32_e32 v4, 24, v53
	;; [unrolled: 4-line block ×3, first 2 shown]
	v_or3_b32 v4, v0, v4, v5
	v_lshlrev_b32_e32 v0, 24, v10
	v_lshlrev_b32_e32 v5, 16, v14
	v_lshl_or_b32 v1, v6, 8, v1
	v_or3_b32 v5, v1, v5, v0
	global_store_dwordx4 v[42:43], v[27:30], off glc slc
	global_store_dwordx4 v[42:43], v[2:5], off offset:1024 glc slc
	buffer_load_dword v1, off, s[0:3], s33 offset:140 ; 4-byte Folded Reload
	buffer_load_dword v0, off, s[0:3], s33 offset:136 ; 4-byte Folded Reload
	s_waitcnt vmcnt(1)
	v_add_co_u32_e32 v54, vcc, v54, v1
	v_addc_co_u32_e32 v55, vcc, 0, v55, vcc
	v_add_co_u32_e32 v40, vcc, v40, v1
	v_addc_co_u32_e32 v41, vcc, 0, v41, vcc
	s_waitcnt vmcnt(0)
	v_sub_u32_e32 v57, v57, v0
	v_cmp_gt_i32_e32 vcc, 1, v57
	s_or_b64 s[76:77], vcc, s[76:77]
	v_add_co_u32_e32 v42, vcc, v42, v1
	v_addc_co_u32_e32 v43, vcc, 0, v43, vcc
	s_andn2_b64 exec, exec, s[76:77]
	s_cbranch_execz .LBB4_1733
.LBB4_124:                              ;   Parent Loop BB4_49 Depth=1
                                        ; =>  This Inner Loop Header: Depth=2
	s_cmpk_lt_i32 s94, 0x80
	s_cbranch_scc1 .LBB4_128
; %bb.125:                              ;   in Loop: Header=BB4_124 Depth=2
	s_and_b32 s78, 0xffff, s94
	s_mov_b64 s[20:21], -1
	s_cmpk_eq_i32 s78, 0x80
	s_cbranch_scc0 .LBB4_127
; %bb.126:                              ;   in Loop: Header=BB4_124 Depth=2
	s_mov_b64 s[20:21], 0
.LBB4_127:                              ;   in Loop: Header=BB4_124 Depth=2
	s_brev_b32 s88, 1
	s_branch .LBB4_130
.LBB4_128:                              ;   in Loop: Header=BB4_124 Depth=2
	s_mov_b64 s[20:21], 0
	s_brev_b32 s88, 1
	s_cbranch_execz .LBB4_130
; %bb.129:                              ;   in Loop: Header=BB4_124 Depth=2
	s_and_b32 s20, 0xffff, s94
	s_cmp_lg_u32 s20, 0
	s_mov_b32 s88, 0
	s_cselect_b64 s[20:21], -1, 0
.LBB4_130:                              ;   in Loop: Header=BB4_124 Depth=2
	s_andn2_b64 vcc, exec, s[20:21]
	v_mov_b32_e32 v4, s88
	s_cbranch_vccnz .LBB4_132
; %bb.131:                              ;   in Loop: Header=BB4_124 Depth=2
	buffer_load_dword v4, off, s[0:3], s33 offset:148 ; 4-byte Folded Reload
.LBB4_132:                              ;   in Loop: Header=BB4_124 Depth=2
	global_load_dwordx4 v[10:13], v[54:55], off glc slc
	v_mov_b32_e32 v0, 0
	s_waitcnt vmcnt(0)
	v_cmp_ne_u16_sdwa s[78:79], v10, v37 src0_sel:BYTE_0 src1_sel:DWORD
	s_and_saveexec_b64 s[20:21], s[78:79]
	s_cbranch_execz .LBB4_138
; %bb.133:                              ;   in Loop: Header=BB4_124 Depth=2
	v_cmp_ne_u16_sdwa s[88:89], v10, s53 src0_sel:BYTE_0 src1_sel:DWORD
	v_bfrev_b32_e32 v0, 1
	s_and_saveexec_b64 s[78:79], s[88:89]
	s_cbranch_execz .LBB4_137
; %bb.134:                              ;   in Loop: Header=BB4_124 Depth=2
	v_and_b32_e32 v1, 0x7f, v10
	v_cmp_ne_u32_e32 vcc, s51, v1
	v_mov_b32_e32 v0, 0x7f800001
	s_and_saveexec_b64 s[88:89], vcc
	s_cbranch_execz .LBB4_136
; %bb.135:                              ;   in Loop: Header=BB4_124 Depth=2
	v_and_b32_e32 v0, 7, v10
	v_ffbh_u32_e32 v0, v0
	v_min_u32_e32 v0, 32, v0
	v_lshrrev_b32_e32 v2, 3, v1
	v_cmp_gt_u32_e32 vcc, 8, v1
	v_subrev_u32_e32 v1, 28, v0
	v_sub_u32_e32 v0, 29, v0
	v_cndmask_b32_e32 v2, v2, v0, vcc
	v_cndmask_b32_e32 v0, 0, v1, vcc
	v_lshlrev_b64 v[0:1], v0, v[10:11]
	v_lshlrev_b32_e32 v1, 24, v10
	v_lshlrev_b32_e32 v0, 20, v0
	v_and_b32_e32 v0, 0x700000, v0
	v_and_b32_e32 v1, 0x80000000, v1
	v_lshl_add_u32 v2, v2, 23, v58
	v_or3_b32 v0, v1, v2, v0
.LBB4_136:                              ;   in Loop: Header=BB4_124 Depth=2
	s_or_b64 exec, exec, s[88:89]
.LBB4_137:                              ;   in Loop: Header=BB4_124 Depth=2
	s_or_b64 exec, exec, s[78:79]
.LBB4_138:                              ;   in Loop: Header=BB4_124 Depth=2
	s_or_b64 exec, exec, s[20:21]
	v_mul_f32_e32 v2, v4, v0
	v_and_b32_e32 v36, 0x7f800000, v2
	v_cmp_ne_u64_e32 vcc, s[56:57], v[36:37]
                                        ; implicit-def: $vgpr0
	s_and_saveexec_b64 s[20:21], vcc
	s_xor_b64 s[78:79], exec, s[20:21]
	s_cbranch_execz .LBB4_152
; %bb.139:                              ;   in Loop: Header=BB4_124 Depth=2
	v_and_b32_e32 v36, 0x7fffffff, v2
	v_cmp_gt_u64_e32 vcc, s[58:59], v[36:37]
	v_and_b32_sdwa v1, v2, s53 dst_sel:DWORD dst_unused:UNUSED_PAD src0_sel:BYTE_3 src1_sel:DWORD
                                        ; implicit-def: $vgpr0
	s_and_saveexec_b64 s[20:21], vcc
	s_xor_b64 s[88:89], exec, s[20:21]
	s_cbranch_execz .LBB4_149
; %bb.140:                              ;   in Loop: Header=BB4_124 Depth=2
	v_mov_b32_e32 v0, 0
	v_cmp_ne_u32_e32 vcc, 0, v2
	s_and_saveexec_b64 s[90:91], vcc
	s_cbranch_execz .LBB4_148
; %bb.141:                              ;   in Loop: Header=BB4_124 Depth=2
	v_bfe_u32 v0, v2, 23, 8
	v_and_b32_e32 v3, 0x7fffff, v2
	v_cmp_gt_u32_e64 s[20:21], s54, v0
	v_sub_u32_e32 v2, 0x79, v0
	v_cmp_eq_u32_e32 vcc, 0, v0
	v_cndmask_b32_e64 v2, 0, v2, s[20:21]
	v_or_b32_e32 v5, 0x800000, v3
	v_cndmask_b32_e32 v2, v2, v31, vcc
	v_cndmask_b32_e32 v36, v5, v3, vcc
	v_add_u32_e32 v3, 20, v2
	v_lshlrev_b64 v[5:6], v3, -1
	v_add_u32_e32 v3, 19, v2
	v_lshlrev_b64 v[7:8], v3, 1
	v_lshrrev_b64 v[14:15], v2, v[36:37]
	v_bfi_b32 v6, v6, 0, 0
	v_bfi_b32 v5, v5, 0, v36
	v_cmp_eq_u64_e64 s[20:21], v[5:6], v[7:8]
	v_mov_b32_e32 v16, v15
	v_mov_b32_e32 v15, v14
	s_and_saveexec_b64 s[92:93], s[20:21]
; %bb.142:                              ;   in Loop: Header=BB4_124 Depth=2
	v_bfe_u32 v3, v14, 20, 1
	v_add_co_u32_e64 v3, s[20:21], v14, v3
	v_add_co_u32_e64 v15, s[20:21], -1, v3
; %bb.143:                              ;   in Loop: Header=BB4_124 Depth=2
	s_or_b64 exec, exec, s[92:93]
	v_add_u32_e32 v0, 0xffffff81, v0
	v_cndmask_b32_e32 v0, v0, v62, vcc
	v_lshrrev_b32_e32 v3, 23, v14
	v_add3_u32 v3, v2, v0, v3
	v_add_u32_e32 v2, 6, v3
	v_and_b32_e32 v0, 0xfffff, v15
	v_add_u32_e32 v36, v0, v14
	v_cmp_ne_u32_e32 vcc, 0, v2
                                        ; implicit-def: $vgpr14_vgpr15
                                        ; implicit-def: $vgpr0
	s_and_saveexec_b64 s[20:21], vcc
	s_xor_b64 s[20:21], exec, s[20:21]
; %bb.144:                              ;   in Loop: Header=BB4_124 Depth=2
	v_cmp_lt_u64_e32 vcc, s[60:61], v[36:37]
	v_add_u32_e32 v0, 7, v3
	v_cndmask_b32_e32 v0, v2, v0, vcc
	v_cndmask_b32_e64 v2, 0, 1, vcc
	v_lshrrev_b64 v[14:15], v2, v[36:37]
; %bb.145:                              ;   in Loop: Header=BB4_124 Depth=2
	s_andn2_saveexec_b64 s[20:21], s[20:21]
; %bb.146:                              ;   in Loop: Header=BB4_124 Depth=2
	v_mov_b32_e32 v14, v36
	v_bfe_u32 v0, v36, 23, 1
	v_mov_b32_e32 v15, v37
; %bb.147:                              ;   in Loop: Header=BB4_124 Depth=2
	s_or_b64 exec, exec, s[20:21]
	v_lshrrev_b64 v[2:3], 20, v[14:15]
	v_cmp_gt_i32_e32 vcc, 16, v0
	v_cndmask_b32_e32 v3, 0, v3, vcc
	v_cndmask_b32_e32 v2, 7, v2, vcc
	v_cmp_eq_u32_e32 vcc, 0, v0
	v_min_i32_e32 v0, 15, v0
	v_cmp_eq_u64_e64 s[20:21], 0, v[2:3]
	v_lshlrev_b32_e32 v0, 3, v0
	v_and_b32_e32 v0, 0xf8, v0
	v_and_or_b32 v0, v2, 7, v0
	s_and_b64 s[20:21], vcc, s[20:21]
	v_cndmask_b32_e64 v0, v0, 0, s[20:21]
	v_or_b32_e32 v0, v0, v1
.LBB4_148:                              ;   in Loop: Header=BB4_124 Depth=2
	s_or_b64 exec, exec, s[90:91]
                                        ; implicit-def: $vgpr1
.LBB4_149:                              ;   in Loop: Header=BB4_124 Depth=2
	s_andn2_saveexec_b64 s[20:21], s[88:89]
; %bb.150:                              ;   in Loop: Header=BB4_124 Depth=2
	v_or_b32_e32 v0, 0x7e, v1
; %bb.151:                              ;   in Loop: Header=BB4_124 Depth=2
	s_or_b64 exec, exec, s[20:21]
                                        ; implicit-def: $vgpr2
.LBB4_152:                              ;   in Loop: Header=BB4_124 Depth=2
	s_andn2_saveexec_b64 s[20:21], s[78:79]
; %bb.153:                              ;   in Loop: Header=BB4_124 Depth=2
	v_or_b32_sdwa v0, v2, s51 dst_sel:DWORD dst_unused:UNUSED_PAD src0_sel:BYTE_3 src1_sel:DWORD
; %bb.154:                              ;   in Loop: Header=BB4_124 Depth=2
	s_or_b64 exec, exec, s[20:21]
	v_lshrrev_b16_e32 v14, 8, v10
	v_cmp_ne_u16_e32 vcc, 0, v14
	v_mov_b32_e32 v1, 0
	s_and_saveexec_b64 s[20:21], vcc
	s_cbranch_execz .LBB4_160
; %bb.155:                              ;   in Loop: Header=BB4_124 Depth=2
	v_cmp_ne_u16_e32 vcc, s53, v14
	v_bfrev_b32_e32 v1, 1
	s_and_saveexec_b64 s[78:79], vcc
	s_cbranch_execz .LBB4_159
; %bb.156:                              ;   in Loop: Header=BB4_124 Depth=2
	v_and_b32_e32 v2, 0x7f, v14
	v_cmp_ne_u32_e32 vcc, s51, v2
	v_mov_b32_e32 v1, 0x7f800001
	s_and_saveexec_b64 s[88:89], vcc
	s_cbranch_execz .LBB4_158
; %bb.157:                              ;   in Loop: Header=BB4_124 Depth=2
	v_and_b32_e32 v3, 7, v14
	v_ffbh_u32_e32 v1, v3
	v_min_u32_e32 v6, 32, v1
	v_subrev_u32_e32 v1, 28, v6
	v_lshrrev_b32_e32 v5, 3, v2
	v_cmp_gt_u32_e32 vcc, 8, v2
	v_lshlrev_b64 v[1:2], v1, v[14:15]
	v_sub_u32_e32 v2, 29, v6
	v_and_b32_e32 v1, 7, v1
	v_cndmask_b32_e32 v2, v5, v2, vcc
	v_cndmask_b32_e32 v1, v3, v1, vcc
	v_lshlrev_b32_e32 v3, 16, v10
	v_lshlrev_b32_e32 v1, 20, v1
	v_and_b32_e32 v3, 0x80000000, v3
	v_lshl_add_u32 v2, v2, 23, v58
	v_or3_b32 v1, v3, v2, v1
.LBB4_158:                              ;   in Loop: Header=BB4_124 Depth=2
	s_or_b64 exec, exec, s[88:89]
.LBB4_159:                              ;   in Loop: Header=BB4_124 Depth=2
	s_or_b64 exec, exec, s[78:79]
.LBB4_160:                              ;   in Loop: Header=BB4_124 Depth=2
	s_or_b64 exec, exec, s[20:21]
	v_mul_f32_e32 v2, v4, v1
	v_and_b32_e32 v36, 0x7f800000, v2
	v_cmp_ne_u64_e32 vcc, s[56:57], v[36:37]
                                        ; implicit-def: $vgpr8
	s_and_saveexec_b64 s[20:21], vcc
	s_xor_b64 s[78:79], exec, s[20:21]
	s_cbranch_execz .LBB4_174
; %bb.161:                              ;   in Loop: Header=BB4_124 Depth=2
	v_and_b32_e32 v36, 0x7fffffff, v2
	v_cmp_gt_u64_e32 vcc, s[58:59], v[36:37]
	v_and_b32_sdwa v1, v2, s53 dst_sel:DWORD dst_unused:UNUSED_PAD src0_sel:BYTE_3 src1_sel:DWORD
                                        ; implicit-def: $vgpr8
	s_and_saveexec_b64 s[20:21], vcc
	s_xor_b64 s[88:89], exec, s[20:21]
	s_cbranch_execz .LBB4_171
; %bb.162:                              ;   in Loop: Header=BB4_124 Depth=2
	v_mov_b32_e32 v8, 0
	v_cmp_ne_u32_e32 vcc, 0, v2
	s_and_saveexec_b64 s[90:91], vcc
	s_cbranch_execz .LBB4_170
; %bb.163:                              ;   in Loop: Header=BB4_124 Depth=2
	v_and_b32_e32 v5, 0x7fffff, v2
	v_bfe_u32 v2, v2, 23, 8
	v_cmp_gt_u32_e64 s[20:21], s54, v2
	v_sub_u32_e32 v3, 0x79, v2
	v_cmp_eq_u32_e32 vcc, 0, v2
	v_cndmask_b32_e64 v3, 0, v3, s[20:21]
	v_or_b32_e32 v6, 0x800000, v5
	v_cndmask_b32_e32 v3, v3, v31, vcc
	v_cndmask_b32_e32 v36, v6, v5, vcc
	v_add_u32_e32 v5, 20, v3
	v_lshlrev_b64 v[5:6], v5, -1
	v_add_u32_e32 v7, 19, v3
	v_lshlrev_b64 v[7:8], v7, 1
	v_lshrrev_b64 v[14:15], v3, v[36:37]
	v_bfi_b32 v6, v6, 0, 0
	v_bfi_b32 v5, v5, 0, v36
	v_cmp_eq_u64_e64 s[20:21], v[5:6], v[7:8]
	v_mov_b32_e32 v16, v15
	v_mov_b32_e32 v15, v14
	s_and_saveexec_b64 s[92:93], s[20:21]
; %bb.164:                              ;   in Loop: Header=BB4_124 Depth=2
	v_bfe_u32 v5, v14, 20, 1
	v_add_co_u32_e64 v5, s[20:21], v14, v5
	v_add_co_u32_e64 v15, s[20:21], -1, v5
; %bb.165:                              ;   in Loop: Header=BB4_124 Depth=2
	s_or_b64 exec, exec, s[92:93]
	v_add_u32_e32 v2, 0xffffff81, v2
	v_cndmask_b32_e32 v2, v2, v62, vcc
	v_lshrrev_b32_e32 v5, 23, v14
	v_add3_u32 v5, v3, v2, v5
	v_add_u32_e32 v3, 6, v5
	v_and_b32_e32 v2, 0xfffff, v15
	v_add_u32_e32 v36, v2, v14
	v_cmp_ne_u32_e32 vcc, 0, v3
                                        ; implicit-def: $vgpr14_vgpr15
                                        ; implicit-def: $vgpr2
	s_and_saveexec_b64 s[20:21], vcc
	s_xor_b64 s[20:21], exec, s[20:21]
; %bb.166:                              ;   in Loop: Header=BB4_124 Depth=2
	v_cmp_lt_u64_e32 vcc, s[60:61], v[36:37]
	v_add_u32_e32 v2, 7, v5
	v_cndmask_b32_e32 v2, v3, v2, vcc
	v_cndmask_b32_e64 v3, 0, 1, vcc
	v_lshrrev_b64 v[14:15], v3, v[36:37]
; %bb.167:                              ;   in Loop: Header=BB4_124 Depth=2
	s_andn2_saveexec_b64 s[20:21], s[20:21]
; %bb.168:                              ;   in Loop: Header=BB4_124 Depth=2
	v_mov_b32_e32 v14, v36
	v_bfe_u32 v2, v36, 23, 1
	v_mov_b32_e32 v15, v37
; %bb.169:                              ;   in Loop: Header=BB4_124 Depth=2
	s_or_b64 exec, exec, s[20:21]
	v_lshrrev_b64 v[5:6], 20, v[14:15]
	v_cmp_gt_i32_e32 vcc, 16, v2
	v_cndmask_b32_e32 v6, 0, v6, vcc
	v_cndmask_b32_e32 v5, 7, v5, vcc
	v_cmp_eq_u32_e32 vcc, 0, v2
	v_min_i32_e32 v2, 15, v2
	v_cmp_eq_u64_e64 s[20:21], 0, v[5:6]
	v_lshlrev_b32_e32 v2, 3, v2
	v_and_b32_e32 v2, 0xf8, v2
	v_and_or_b32 v2, v5, 7, v2
	s_and_b64 s[20:21], vcc, s[20:21]
	v_cndmask_b32_e64 v2, v2, 0, s[20:21]
	v_or_b32_e32 v8, v2, v1
.LBB4_170:                              ;   in Loop: Header=BB4_124 Depth=2
	s_or_b64 exec, exec, s[90:91]
                                        ; implicit-def: $vgpr1
.LBB4_171:                              ;   in Loop: Header=BB4_124 Depth=2
	s_andn2_saveexec_b64 s[20:21], s[88:89]
; %bb.172:                              ;   in Loop: Header=BB4_124 Depth=2
	v_or_b32_e32 v8, 0x7e, v1
; %bb.173:                              ;   in Loop: Header=BB4_124 Depth=2
	s_or_b64 exec, exec, s[20:21]
                                        ; implicit-def: $vgpr2
.LBB4_174:                              ;   in Loop: Header=BB4_124 Depth=2
	s_andn2_saveexec_b64 s[20:21], s[78:79]
; %bb.175:                              ;   in Loop: Header=BB4_124 Depth=2
	v_or_b32_sdwa v8, v2, s51 dst_sel:DWORD dst_unused:UNUSED_PAD src0_sel:BYTE_3 src1_sel:DWORD
; %bb.176:                              ;   in Loop: Header=BB4_124 Depth=2
	s_or_b64 exec, exec, s[20:21]
	v_lshrrev_b32_e32 v14, 16, v10
	v_cmp_ne_u16_sdwa s[78:79], v14, v37 src0_sel:BYTE_0 src1_sel:DWORD
	v_mov_b32_e32 v1, 0
	s_and_saveexec_b64 s[20:21], s[78:79]
	s_cbranch_execz .LBB4_182
; %bb.177:                              ;   in Loop: Header=BB4_124 Depth=2
	v_cmp_ne_u16_sdwa s[88:89], v14, s53 src0_sel:BYTE_0 src1_sel:DWORD
	v_bfrev_b32_e32 v1, 1
	s_and_saveexec_b64 s[78:79], s[88:89]
	s_cbranch_execz .LBB4_181
; %bb.178:                              ;   in Loop: Header=BB4_124 Depth=2
	v_bfe_u32 v2, v10, 16, 7
	v_cmp_ne_u32_e32 vcc, s51, v2
	v_mov_b32_e32 v1, 0x7f800001
	s_and_saveexec_b64 s[88:89], vcc
	s_cbranch_execz .LBB4_180
; %bb.179:                              ;   in Loop: Header=BB4_124 Depth=2
	v_and_b32_e32 v3, 7, v14
	v_ffbh_u32_e32 v1, v3
	v_min_u32_e32 v6, 32, v1
	v_subrev_u32_e32 v1, 28, v6
	v_lshrrev_b32_e32 v5, 3, v2
	v_cmp_gt_u32_e32 vcc, 8, v2
	v_lshlrev_b64 v[1:2], v1, v[14:15]
	v_sub_u32_e32 v2, 29, v6
	v_and_b32_e32 v1, 7, v1
	v_cndmask_b32_e32 v2, v5, v2, vcc
	v_cndmask_b32_e32 v1, v3, v1, vcc
	v_lshlrev_b32_e32 v3, 24, v14
	v_lshlrev_b32_e32 v1, 20, v1
	v_and_b32_e32 v3, 0x80000000, v3
	v_lshl_add_u32 v2, v2, 23, v58
	v_or3_b32 v1, v3, v2, v1
.LBB4_180:                              ;   in Loop: Header=BB4_124 Depth=2
	s_or_b64 exec, exec, s[88:89]
.LBB4_181:                              ;   in Loop: Header=BB4_124 Depth=2
	s_or_b64 exec, exec, s[78:79]
.LBB4_182:                              ;   in Loop: Header=BB4_124 Depth=2
	s_or_b64 exec, exec, s[20:21]
	v_mul_f32_e32 v2, v4, v1
	v_and_b32_e32 v36, 0x7f800000, v2
	v_cmp_ne_u64_e32 vcc, s[56:57], v[36:37]
                                        ; implicit-def: $vgpr23
	s_and_saveexec_b64 s[20:21], vcc
	s_xor_b64 s[78:79], exec, s[20:21]
	s_cbranch_execz .LBB4_196
; %bb.183:                              ;   in Loop: Header=BB4_124 Depth=2
	v_and_b32_e32 v36, 0x7fffffff, v2
	v_cmp_gt_u64_e32 vcc, s[58:59], v[36:37]
	v_and_b32_sdwa v1, v2, s53 dst_sel:DWORD dst_unused:UNUSED_PAD src0_sel:BYTE_3 src1_sel:DWORD
                                        ; implicit-def: $vgpr23
	s_and_saveexec_b64 s[20:21], vcc
	s_xor_b64 s[88:89], exec, s[20:21]
	s_cbranch_execz .LBB4_193
; %bb.184:                              ;   in Loop: Header=BB4_124 Depth=2
	v_mov_b32_e32 v23, 0
	v_cmp_ne_u32_e32 vcc, 0, v2
	s_and_saveexec_b64 s[90:91], vcc
	s_cbranch_execz .LBB4_192
; %bb.185:                              ;   in Loop: Header=BB4_124 Depth=2
	v_and_b32_e32 v5, 0x7fffff, v2
	v_bfe_u32 v2, v2, 23, 8
	v_cmp_gt_u32_e64 s[20:21], s54, v2
	v_sub_u32_e32 v3, 0x79, v2
	v_cmp_eq_u32_e32 vcc, 0, v2
	v_cndmask_b32_e64 v3, 0, v3, s[20:21]
	v_or_b32_e32 v6, 0x800000, v5
	v_cndmask_b32_e32 v3, v3, v31, vcc
	v_cndmask_b32_e32 v36, v6, v5, vcc
	v_add_u32_e32 v5, 20, v3
	v_lshlrev_b64 v[5:6], v5, -1
	v_add_u32_e32 v7, 19, v3
	v_lshlrev_b64 v[14:15], v7, 1
	v_bfi_b32 v6, v6, 0, 0
	v_bfi_b32 v5, v5, 0, v36
	v_cmp_eq_u64_e64 s[20:21], v[5:6], v[14:15]
	v_lshrrev_b64 v[14:15], v3, v[36:37]
	v_mov_b32_e32 v16, v15
	v_mov_b32_e32 v15, v14
	s_and_saveexec_b64 s[92:93], s[20:21]
; %bb.186:                              ;   in Loop: Header=BB4_124 Depth=2
	v_bfe_u32 v5, v14, 20, 1
	v_add_co_u32_e64 v5, s[20:21], v14, v5
	v_add_co_u32_e64 v15, s[20:21], -1, v5
; %bb.187:                              ;   in Loop: Header=BB4_124 Depth=2
	s_or_b64 exec, exec, s[92:93]
	v_add_u32_e32 v2, 0xffffff81, v2
	v_cndmask_b32_e32 v2, v2, v62, vcc
	v_lshrrev_b32_e32 v5, 23, v14
	v_add3_u32 v5, v3, v2, v5
	v_add_u32_e32 v3, 6, v5
	v_and_b32_e32 v2, 0xfffff, v15
	v_add_u32_e32 v36, v2, v14
	v_cmp_ne_u32_e32 vcc, 0, v3
                                        ; implicit-def: $vgpr14_vgpr15
                                        ; implicit-def: $vgpr2
	s_and_saveexec_b64 s[20:21], vcc
	s_xor_b64 s[20:21], exec, s[20:21]
; %bb.188:                              ;   in Loop: Header=BB4_124 Depth=2
	v_cmp_lt_u64_e32 vcc, s[60:61], v[36:37]
	v_add_u32_e32 v2, 7, v5
	v_cndmask_b32_e32 v2, v3, v2, vcc
	v_cndmask_b32_e64 v3, 0, 1, vcc
	v_lshrrev_b64 v[14:15], v3, v[36:37]
; %bb.189:                              ;   in Loop: Header=BB4_124 Depth=2
	s_andn2_saveexec_b64 s[20:21], s[20:21]
; %bb.190:                              ;   in Loop: Header=BB4_124 Depth=2
	v_mov_b32_e32 v14, v36
	v_bfe_u32 v2, v36, 23, 1
	v_mov_b32_e32 v15, v37
; %bb.191:                              ;   in Loop: Header=BB4_124 Depth=2
	s_or_b64 exec, exec, s[20:21]
	v_lshrrev_b64 v[5:6], 20, v[14:15]
	v_cmp_gt_i32_e32 vcc, 16, v2
	v_cndmask_b32_e32 v6, 0, v6, vcc
	v_cndmask_b32_e32 v5, 7, v5, vcc
	v_cmp_eq_u32_e32 vcc, 0, v2
	v_min_i32_e32 v2, 15, v2
	v_cmp_eq_u64_e64 s[20:21], 0, v[5:6]
	v_lshlrev_b32_e32 v2, 3, v2
	v_and_b32_e32 v2, 0xf8, v2
	v_and_or_b32 v2, v5, 7, v2
	s_and_b64 s[20:21], vcc, s[20:21]
	v_cndmask_b32_e64 v2, v2, 0, s[20:21]
	v_or_b32_e32 v23, v2, v1
.LBB4_192:                              ;   in Loop: Header=BB4_124 Depth=2
	s_or_b64 exec, exec, s[90:91]
                                        ; implicit-def: $vgpr1
.LBB4_193:                              ;   in Loop: Header=BB4_124 Depth=2
	s_andn2_saveexec_b64 s[20:21], s[88:89]
; %bb.194:                              ;   in Loop: Header=BB4_124 Depth=2
	v_or_b32_e32 v23, 0x7e, v1
; %bb.195:                              ;   in Loop: Header=BB4_124 Depth=2
	s_or_b64 exec, exec, s[20:21]
                                        ; implicit-def: $vgpr2
.LBB4_196:                              ;   in Loop: Header=BB4_124 Depth=2
	s_andn2_saveexec_b64 s[20:21], s[78:79]
; %bb.197:                              ;   in Loop: Header=BB4_124 Depth=2
	v_or_b32_sdwa v23, v2, s51 dst_sel:DWORD dst_unused:UNUSED_PAD src0_sel:BYTE_3 src1_sel:DWORD
; %bb.198:                              ;   in Loop: Header=BB4_124 Depth=2
	s_or_b64 exec, exec, s[20:21]
	v_cmp_lt_u32_e32 vcc, s63, v10
	v_mov_b32_e32 v1, 0
	s_and_saveexec_b64 s[20:21], vcc
	s_cbranch_execz .LBB4_204
; %bb.199:                              ;   in Loop: Header=BB4_124 Depth=2
	v_lshrrev_b32_e32 v14, 24, v10
	v_cmp_ne_u32_e32 vcc, s53, v14
	v_bfrev_b32_e32 v1, 1
	s_and_saveexec_b64 s[78:79], vcc
	s_cbranch_execz .LBB4_203
; %bb.200:                              ;   in Loop: Header=BB4_124 Depth=2
	v_bfe_u32 v2, v10, 24, 7
	v_cmp_ne_u32_e32 vcc, s51, v2
	v_mov_b32_e32 v1, 0x7f800001
	s_and_saveexec_b64 s[88:89], vcc
	s_cbranch_execz .LBB4_202
; %bb.201:                              ;   in Loop: Header=BB4_124 Depth=2
	v_and_b32_e32 v3, 7, v14
	v_ffbh_u32_e32 v1, v3
	v_min_u32_e32 v6, 32, v1
	v_subrev_u32_e32 v1, 28, v6
	v_lshrrev_b32_e32 v5, 3, v2
	v_cmp_gt_u32_e32 vcc, 8, v2
	v_lshlrev_b64 v[1:2], v1, v[14:15]
	v_sub_u32_e32 v2, 29, v6
	v_and_b32_e32 v1, 7, v1
	v_cndmask_b32_e32 v2, v5, v2, vcc
	v_cndmask_b32_e32 v1, v3, v1, vcc
	v_lshlrev_b32_e32 v3, 24, v14
	v_lshlrev_b32_e32 v1, 20, v1
	v_and_b32_e32 v3, 0x80000000, v3
	v_lshl_add_u32 v2, v2, 23, v58
	v_or3_b32 v1, v3, v2, v1
.LBB4_202:                              ;   in Loop: Header=BB4_124 Depth=2
	s_or_b64 exec, exec, s[88:89]
.LBB4_203:                              ;   in Loop: Header=BB4_124 Depth=2
	s_or_b64 exec, exec, s[78:79]
.LBB4_204:                              ;   in Loop: Header=BB4_124 Depth=2
	s_or_b64 exec, exec, s[20:21]
	v_mul_f32_e32 v2, v4, v1
	v_and_b32_e32 v36, 0x7f800000, v2
	v_cmp_ne_u64_e32 vcc, s[56:57], v[36:37]
                                        ; implicit-def: $vgpr27
	s_and_saveexec_b64 s[20:21], vcc
	s_xor_b64 s[78:79], exec, s[20:21]
	s_cbranch_execz .LBB4_218
; %bb.205:                              ;   in Loop: Header=BB4_124 Depth=2
	v_and_b32_e32 v36, 0x7fffffff, v2
	v_cmp_gt_u64_e32 vcc, s[58:59], v[36:37]
	v_and_b32_sdwa v1, v2, s53 dst_sel:DWORD dst_unused:UNUSED_PAD src0_sel:BYTE_3 src1_sel:DWORD
                                        ; implicit-def: $vgpr27
	s_and_saveexec_b64 s[20:21], vcc
	s_xor_b64 s[88:89], exec, s[20:21]
	s_cbranch_execz .LBB4_215
; %bb.206:                              ;   in Loop: Header=BB4_124 Depth=2
	v_mov_b32_e32 v27, 0
	v_cmp_ne_u32_e32 vcc, 0, v2
	s_and_saveexec_b64 s[90:91], vcc
	s_cbranch_execz .LBB4_214
; %bb.207:                              ;   in Loop: Header=BB4_124 Depth=2
	v_and_b32_e32 v5, 0x7fffff, v2
	v_bfe_u32 v2, v2, 23, 8
	v_cmp_gt_u32_e64 s[20:21], s54, v2
	v_sub_u32_e32 v3, 0x79, v2
	v_cmp_eq_u32_e32 vcc, 0, v2
	v_cndmask_b32_e64 v3, 0, v3, s[20:21]
	v_or_b32_e32 v6, 0x800000, v5
	v_cndmask_b32_e32 v3, v3, v31, vcc
	v_cndmask_b32_e32 v36, v6, v5, vcc
	v_add_u32_e32 v5, 20, v3
	v_lshlrev_b64 v[5:6], v5, -1
	v_add_u32_e32 v7, 19, v3
	v_lshlrev_b64 v[14:15], v7, 1
	v_bfi_b32 v6, v6, 0, 0
	v_bfi_b32 v5, v5, 0, v36
	v_cmp_eq_u64_e64 s[20:21], v[5:6], v[14:15]
	v_lshrrev_b64 v[14:15], v3, v[36:37]
	v_mov_b32_e32 v16, v15
	v_mov_b32_e32 v15, v14
	s_and_saveexec_b64 s[92:93], s[20:21]
; %bb.208:                              ;   in Loop: Header=BB4_124 Depth=2
	v_bfe_u32 v5, v14, 20, 1
	v_add_co_u32_e64 v5, s[20:21], v14, v5
	v_add_co_u32_e64 v15, s[20:21], -1, v5
; %bb.209:                              ;   in Loop: Header=BB4_124 Depth=2
	s_or_b64 exec, exec, s[92:93]
	v_add_u32_e32 v2, 0xffffff81, v2
	v_cndmask_b32_e32 v2, v2, v62, vcc
	v_lshrrev_b32_e32 v5, 23, v14
	v_add3_u32 v5, v3, v2, v5
	v_add_u32_e32 v3, 6, v5
	v_and_b32_e32 v2, 0xfffff, v15
	v_add_u32_e32 v36, v2, v14
	v_cmp_ne_u32_e32 vcc, 0, v3
                                        ; implicit-def: $vgpr14_vgpr15
                                        ; implicit-def: $vgpr2
	s_and_saveexec_b64 s[20:21], vcc
	s_xor_b64 s[20:21], exec, s[20:21]
; %bb.210:                              ;   in Loop: Header=BB4_124 Depth=2
	v_cmp_lt_u64_e32 vcc, s[60:61], v[36:37]
	v_add_u32_e32 v2, 7, v5
	v_cndmask_b32_e32 v2, v3, v2, vcc
	v_cndmask_b32_e64 v3, 0, 1, vcc
	v_lshrrev_b64 v[14:15], v3, v[36:37]
; %bb.211:                              ;   in Loop: Header=BB4_124 Depth=2
	s_andn2_saveexec_b64 s[20:21], s[20:21]
; %bb.212:                              ;   in Loop: Header=BB4_124 Depth=2
	v_mov_b32_e32 v14, v36
	v_bfe_u32 v2, v36, 23, 1
	v_mov_b32_e32 v15, v37
; %bb.213:                              ;   in Loop: Header=BB4_124 Depth=2
	s_or_b64 exec, exec, s[20:21]
	v_lshrrev_b64 v[5:6], 20, v[14:15]
	v_cmp_gt_i32_e32 vcc, 16, v2
	v_cndmask_b32_e32 v6, 0, v6, vcc
	v_cndmask_b32_e32 v5, 7, v5, vcc
	v_cmp_eq_u32_e32 vcc, 0, v2
	v_min_i32_e32 v2, 15, v2
	v_cmp_eq_u64_e64 s[20:21], 0, v[5:6]
	v_lshlrev_b32_e32 v2, 3, v2
	v_and_b32_e32 v2, 0xf8, v2
	v_and_or_b32 v2, v5, 7, v2
	s_and_b64 s[20:21], vcc, s[20:21]
	v_cndmask_b32_e64 v2, v2, 0, s[20:21]
	v_or_b32_e32 v27, v2, v1
.LBB4_214:                              ;   in Loop: Header=BB4_124 Depth=2
	s_or_b64 exec, exec, s[90:91]
                                        ; implicit-def: $vgpr1
.LBB4_215:                              ;   in Loop: Header=BB4_124 Depth=2
	s_andn2_saveexec_b64 s[20:21], s[88:89]
; %bb.216:                              ;   in Loop: Header=BB4_124 Depth=2
	v_or_b32_e32 v27, 0x7e, v1
; %bb.217:                              ;   in Loop: Header=BB4_124 Depth=2
	s_or_b64 exec, exec, s[20:21]
                                        ; implicit-def: $vgpr2
.LBB4_218:                              ;   in Loop: Header=BB4_124 Depth=2
	s_andn2_saveexec_b64 s[20:21], s[78:79]
; %bb.219:                              ;   in Loop: Header=BB4_124 Depth=2
	v_or_b32_sdwa v27, v2, s51 dst_sel:DWORD dst_unused:UNUSED_PAD src0_sel:BYTE_3 src1_sel:DWORD
; %bb.220:                              ;   in Loop: Header=BB4_124 Depth=2
	s_or_b64 exec, exec, s[20:21]
	v_mov_b32_e32 v36, v11
	v_cmp_ne_u16_sdwa s[78:79], v11, v37 src0_sel:BYTE_0 src1_sel:DWORD
	v_mov_b32_e32 v1, 0
	s_and_saveexec_b64 s[20:21], s[78:79]
	s_cbranch_execz .LBB4_226
; %bb.221:                              ;   in Loop: Header=BB4_124 Depth=2
	v_cmp_ne_u16_sdwa s[88:89], v11, s53 src0_sel:BYTE_0 src1_sel:DWORD
	v_bfrev_b32_e32 v1, 1
	s_and_saveexec_b64 s[78:79], s[88:89]
	s_cbranch_execz .LBB4_225
; %bb.222:                              ;   in Loop: Header=BB4_124 Depth=2
	v_and_b32_e32 v2, 0x7f, v11
	v_cmp_ne_u32_e32 vcc, s51, v2
	v_mov_b32_e32 v1, 0x7f800001
	s_and_saveexec_b64 s[88:89], vcc
	s_cbranch_execz .LBB4_224
; %bb.223:                              ;   in Loop: Header=BB4_124 Depth=2
	v_and_b32_e32 v1, 7, v11
	v_ffbh_u32_e32 v1, v1
	v_min_u32_e32 v1, 32, v1
	v_lshrrev_b32_e32 v3, 3, v2
	v_cmp_gt_u32_e32 vcc, 8, v2
	v_subrev_u32_e32 v2, 28, v1
	v_sub_u32_e32 v1, 29, v1
	v_cndmask_b32_e32 v3, v3, v1, vcc
	v_cndmask_b32_e32 v1, 0, v2, vcc
	v_lshlrev_b64 v[1:2], v1, v[36:37]
	v_lshlrev_b32_e32 v2, 24, v36
	v_lshlrev_b32_e32 v1, 20, v1
	v_and_b32_e32 v1, 0x700000, v1
	v_and_b32_e32 v2, 0x80000000, v2
	v_lshl_add_u32 v3, v3, 23, v58
	v_or3_b32 v1, v2, v3, v1
.LBB4_224:                              ;   in Loop: Header=BB4_124 Depth=2
	s_or_b64 exec, exec, s[88:89]
.LBB4_225:                              ;   in Loop: Header=BB4_124 Depth=2
	s_or_b64 exec, exec, s[78:79]
.LBB4_226:                              ;   in Loop: Header=BB4_124 Depth=2
	s_or_b64 exec, exec, s[20:21]
	v_mul_f32_e32 v2, v4, v1
	v_and_b32_e32 v5, 0x7f800000, v2
	v_mov_b32_e32 v6, v37
	v_cmp_ne_u64_e32 vcc, s[56:57], v[5:6]
                                        ; implicit-def: $vgpr3
	s_and_saveexec_b64 s[20:21], vcc
	s_xor_b64 s[78:79], exec, s[20:21]
	s_cbranch_execz .LBB4_240
; %bb.227:                              ;   in Loop: Header=BB4_124 Depth=2
	v_and_b32_e32 v5, 0x7fffffff, v2
	v_mov_b32_e32 v6, v37
	v_cmp_gt_u64_e32 vcc, s[58:59], v[5:6]
	v_and_b32_sdwa v1, v2, s53 dst_sel:DWORD dst_unused:UNUSED_PAD src0_sel:BYTE_3 src1_sel:DWORD
                                        ; implicit-def: $vgpr3
	s_and_saveexec_b64 s[20:21], vcc
	s_xor_b64 s[88:89], exec, s[20:21]
	s_cbranch_execz .LBB4_237
; %bb.228:                              ;   in Loop: Header=BB4_124 Depth=2
	v_mov_b32_e32 v3, 0
	v_cmp_ne_u32_e32 vcc, 0, v2
	s_and_saveexec_b64 s[90:91], vcc
	s_cbranch_execz .LBB4_236
; %bb.229:                              ;   in Loop: Header=BB4_124 Depth=2
	v_and_b32_e32 v5, 0x7fffff, v2
	v_bfe_u32 v2, v2, 23, 8
	v_cmp_gt_u32_e64 s[20:21], s54, v2
	v_sub_u32_e32 v3, 0x79, v2
	v_cmp_eq_u32_e32 vcc, 0, v2
	v_cndmask_b32_e64 v3, 0, v3, s[20:21]
	v_cndmask_b32_e32 v3, v3, v31, vcc
	v_add_u32_e32 v7, 20, v3
	v_or_b32_e32 v6, 0x800000, v5
	v_lshlrev_b64 v[14:15], v7, -1
	v_add_u32_e32 v7, 19, v3
	v_cndmask_b32_e32 v5, v6, v5, vcc
	v_lshlrev_b64 v[16:17], v7, 1
	v_mov_b32_e32 v6, v37
	v_bfi_b32 v15, v15, 0, 0
	v_bfi_b32 v14, v14, 0, v5
	v_cmp_eq_u64_e64 s[20:21], v[14:15], v[16:17]
	v_lshrrev_b64 v[14:15], v3, v[5:6]
	v_mov_b32_e32 v16, v15
	v_mov_b32_e32 v15, v14
	s_and_saveexec_b64 s[92:93], s[20:21]
; %bb.230:                              ;   in Loop: Header=BB4_124 Depth=2
	v_bfe_u32 v5, v14, 20, 1
	v_add_co_u32_e64 v5, s[20:21], v14, v5
	v_add_co_u32_e64 v15, s[20:21], -1, v5
; %bb.231:                              ;   in Loop: Header=BB4_124 Depth=2
	s_or_b64 exec, exec, s[92:93]
	v_add_u32_e32 v2, 0xffffff81, v2
	v_cndmask_b32_e32 v2, v2, v62, vcc
	v_lshrrev_b32_e32 v5, 23, v14
	v_add3_u32 v5, v3, v2, v5
	v_add_u32_e32 v3, 6, v5
	v_and_b32_e32 v2, 0xfffff, v15
	v_add_u32_e32 v14, v2, v14
	v_mov_b32_e32 v15, v37
	v_cmp_ne_u32_e32 vcc, 0, v3
                                        ; implicit-def: $vgpr2
	s_and_saveexec_b64 s[20:21], vcc
	s_xor_b64 s[20:21], exec, s[20:21]
; %bb.232:                              ;   in Loop: Header=BB4_124 Depth=2
	v_cmp_lt_u64_e32 vcc, s[60:61], v[14:15]
	v_add_u32_e32 v2, 7, v5
	v_cndmask_b32_e32 v2, v3, v2, vcc
	v_cndmask_b32_e64 v3, 0, 1, vcc
	v_lshrrev_b64 v[14:15], v3, v[14:15]
; %bb.233:                              ;   in Loop: Header=BB4_124 Depth=2
	s_andn2_saveexec_b64 s[20:21], s[20:21]
; %bb.234:                              ;   in Loop: Header=BB4_124 Depth=2
	v_bfe_u32 v2, v14, 23, 1
; %bb.235:                              ;   in Loop: Header=BB4_124 Depth=2
	s_or_b64 exec, exec, s[20:21]
	v_lshrrev_b64 v[5:6], 20, v[14:15]
	v_cmp_gt_i32_e32 vcc, 16, v2
	v_cndmask_b32_e32 v6, 0, v6, vcc
	v_cndmask_b32_e32 v5, 7, v5, vcc
	v_cmp_eq_u32_e32 vcc, 0, v2
	v_min_i32_e32 v2, 15, v2
	v_cmp_eq_u64_e64 s[20:21], 0, v[5:6]
	v_lshlrev_b32_e32 v2, 3, v2
	v_and_b32_e32 v2, 0xf8, v2
	v_and_or_b32 v2, v5, 7, v2
	s_and_b64 s[20:21], vcc, s[20:21]
	v_cndmask_b32_e64 v2, v2, 0, s[20:21]
	v_or_b32_e32 v3, v2, v1
.LBB4_236:                              ;   in Loop: Header=BB4_124 Depth=2
	s_or_b64 exec, exec, s[90:91]
                                        ; implicit-def: $vgpr1
.LBB4_237:                              ;   in Loop: Header=BB4_124 Depth=2
	s_andn2_saveexec_b64 s[20:21], s[88:89]
; %bb.238:                              ;   in Loop: Header=BB4_124 Depth=2
	v_or_b32_e32 v3, 0x7e, v1
; %bb.239:                              ;   in Loop: Header=BB4_124 Depth=2
	s_or_b64 exec, exec, s[20:21]
                                        ; implicit-def: $vgpr2
.LBB4_240:                              ;   in Loop: Header=BB4_124 Depth=2
	s_andn2_saveexec_b64 s[20:21], s[78:79]
; %bb.241:                              ;   in Loop: Header=BB4_124 Depth=2
	v_or_b32_sdwa v3, v2, s51 dst_sel:DWORD dst_unused:UNUSED_PAD src0_sel:BYTE_3 src1_sel:DWORD
; %bb.242:                              ;   in Loop: Header=BB4_124 Depth=2
	s_or_b64 exec, exec, s[20:21]
	v_lshrrev_b16_e32 v14, 8, v36
	v_cmp_ne_u16_e32 vcc, 0, v14
	v_mov_b32_e32 v1, 0
	s_and_saveexec_b64 s[20:21], vcc
	s_cbranch_execz .LBB4_248
; %bb.243:                              ;   in Loop: Header=BB4_124 Depth=2
	v_cmp_ne_u16_e32 vcc, s53, v14
	v_bfrev_b32_e32 v1, 1
	s_and_saveexec_b64 s[78:79], vcc
	s_cbranch_execz .LBB4_247
; %bb.244:                              ;   in Loop: Header=BB4_124 Depth=2
	v_and_b32_e32 v2, 0x7f, v14
	v_cmp_ne_u32_e32 vcc, s51, v2
	v_mov_b32_e32 v1, 0x7f800001
	s_and_saveexec_b64 s[88:89], vcc
	s_cbranch_execz .LBB4_246
; %bb.245:                              ;   in Loop: Header=BB4_124 Depth=2
	v_and_b32_e32 v5, 7, v14
	v_ffbh_u32_e32 v1, v5
	v_min_u32_e32 v7, 32, v1
	v_subrev_u32_e32 v1, 28, v7
	v_lshrrev_b32_e32 v6, 3, v2
	v_cmp_gt_u32_e32 vcc, 8, v2
	v_lshlrev_b64 v[1:2], v1, v[14:15]
	v_sub_u32_e32 v2, 29, v7
	v_and_b32_e32 v1, 7, v1
	v_cndmask_b32_e32 v2, v6, v2, vcc
	v_cndmask_b32_e32 v1, v5, v1, vcc
	v_lshlrev_b32_e32 v5, 16, v36
	v_lshlrev_b32_e32 v1, 20, v1
	v_and_b32_e32 v5, 0x80000000, v5
	v_lshl_add_u32 v2, v2, 23, v58
	v_or3_b32 v1, v5, v2, v1
.LBB4_246:                              ;   in Loop: Header=BB4_124 Depth=2
	s_or_b64 exec, exec, s[88:89]
.LBB4_247:                              ;   in Loop: Header=BB4_124 Depth=2
	s_or_b64 exec, exec, s[78:79]
.LBB4_248:                              ;   in Loop: Header=BB4_124 Depth=2
	s_or_b64 exec, exec, s[20:21]
	v_mul_f32_e32 v2, v4, v1
	v_and_b32_e32 v36, 0x7f800000, v2
	v_cmp_ne_u64_e32 vcc, s[56:57], v[36:37]
                                        ; implicit-def: $vgpr34
	s_and_saveexec_b64 s[20:21], vcc
	s_xor_b64 s[78:79], exec, s[20:21]
	s_cbranch_execz .LBB4_262
; %bb.249:                              ;   in Loop: Header=BB4_124 Depth=2
	v_and_b32_e32 v36, 0x7fffffff, v2
	v_cmp_gt_u64_e32 vcc, s[58:59], v[36:37]
	v_and_b32_sdwa v1, v2, s53 dst_sel:DWORD dst_unused:UNUSED_PAD src0_sel:BYTE_3 src1_sel:DWORD
                                        ; implicit-def: $vgpr34
	s_and_saveexec_b64 s[20:21], vcc
	s_xor_b64 s[88:89], exec, s[20:21]
	s_cbranch_execz .LBB4_259
; %bb.250:                              ;   in Loop: Header=BB4_124 Depth=2
	v_mov_b32_e32 v34, 0
	v_cmp_ne_u32_e32 vcc, 0, v2
	s_and_saveexec_b64 s[90:91], vcc
	s_cbranch_execz .LBB4_258
; %bb.251:                              ;   in Loop: Header=BB4_124 Depth=2
	v_and_b32_e32 v6, 0x7fffff, v2
	v_bfe_u32 v2, v2, 23, 8
	v_cmp_gt_u32_e64 s[20:21], s54, v2
	v_sub_u32_e32 v5, 0x79, v2
	v_cmp_eq_u32_e32 vcc, 0, v2
	v_cndmask_b32_e64 v5, 0, v5, s[20:21]
	v_or_b32_e32 v7, 0x800000, v6
	v_cndmask_b32_e32 v5, v5, v31, vcc
	v_cndmask_b32_e32 v36, v7, v6, vcc
	v_add_u32_e32 v6, 20, v5
	v_lshlrev_b64 v[6:7], v6, -1
	v_add_u32_e32 v9, 19, v5
	v_lshlrev_b64 v[14:15], v9, 1
	v_bfi_b32 v7, v7, 0, 0
	v_bfi_b32 v6, v6, 0, v36
	v_cmp_eq_u64_e64 s[20:21], v[6:7], v[14:15]
	v_lshrrev_b64 v[14:15], v5, v[36:37]
	v_mov_b32_e32 v16, v15
	v_mov_b32_e32 v15, v14
	s_and_saveexec_b64 s[92:93], s[20:21]
; %bb.252:                              ;   in Loop: Header=BB4_124 Depth=2
	v_bfe_u32 v6, v14, 20, 1
	v_add_co_u32_e64 v6, s[20:21], v14, v6
	v_add_co_u32_e64 v15, s[20:21], -1, v6
; %bb.253:                              ;   in Loop: Header=BB4_124 Depth=2
	s_or_b64 exec, exec, s[92:93]
	v_add_u32_e32 v2, 0xffffff81, v2
	v_cndmask_b32_e32 v2, v2, v62, vcc
	v_lshrrev_b32_e32 v6, 23, v14
	v_add3_u32 v6, v5, v2, v6
	v_add_u32_e32 v5, 6, v6
	v_and_b32_e32 v2, 0xfffff, v15
	v_add_u32_e32 v36, v2, v14
	v_cmp_ne_u32_e32 vcc, 0, v5
                                        ; implicit-def: $vgpr14_vgpr15
                                        ; implicit-def: $vgpr2
	s_and_saveexec_b64 s[20:21], vcc
	s_xor_b64 s[20:21], exec, s[20:21]
; %bb.254:                              ;   in Loop: Header=BB4_124 Depth=2
	v_cmp_lt_u64_e32 vcc, s[60:61], v[36:37]
	v_add_u32_e32 v2, 7, v6
	v_cndmask_b32_e32 v2, v5, v2, vcc
	v_cndmask_b32_e64 v5, 0, 1, vcc
	v_lshrrev_b64 v[14:15], v5, v[36:37]
; %bb.255:                              ;   in Loop: Header=BB4_124 Depth=2
	s_andn2_saveexec_b64 s[20:21], s[20:21]
; %bb.256:                              ;   in Loop: Header=BB4_124 Depth=2
	v_mov_b32_e32 v14, v36
	v_bfe_u32 v2, v36, 23, 1
	v_mov_b32_e32 v15, v37
; %bb.257:                              ;   in Loop: Header=BB4_124 Depth=2
	s_or_b64 exec, exec, s[20:21]
	v_lshrrev_b64 v[5:6], 20, v[14:15]
	v_cmp_gt_i32_e32 vcc, 16, v2
	v_cndmask_b32_e32 v6, 0, v6, vcc
	v_cndmask_b32_e32 v5, 7, v5, vcc
	v_cmp_eq_u32_e32 vcc, 0, v2
	v_min_i32_e32 v2, 15, v2
	v_cmp_eq_u64_e64 s[20:21], 0, v[5:6]
	v_lshlrev_b32_e32 v2, 3, v2
	v_and_b32_e32 v2, 0xf8, v2
	v_and_or_b32 v2, v5, 7, v2
	s_and_b64 s[20:21], vcc, s[20:21]
	v_cndmask_b32_e64 v2, v2, 0, s[20:21]
	v_or_b32_e32 v34, v2, v1
.LBB4_258:                              ;   in Loop: Header=BB4_124 Depth=2
	s_or_b64 exec, exec, s[90:91]
                                        ; implicit-def: $vgpr1
.LBB4_259:                              ;   in Loop: Header=BB4_124 Depth=2
	s_andn2_saveexec_b64 s[20:21], s[88:89]
; %bb.260:                              ;   in Loop: Header=BB4_124 Depth=2
	v_or_b32_e32 v34, 0x7e, v1
; %bb.261:                              ;   in Loop: Header=BB4_124 Depth=2
	s_or_b64 exec, exec, s[20:21]
                                        ; implicit-def: $vgpr2
.LBB4_262:                              ;   in Loop: Header=BB4_124 Depth=2
	s_andn2_saveexec_b64 s[20:21], s[78:79]
; %bb.263:                              ;   in Loop: Header=BB4_124 Depth=2
	v_or_b32_sdwa v34, v2, s51 dst_sel:DWORD dst_unused:UNUSED_PAD src0_sel:BYTE_3 src1_sel:DWORD
; %bb.264:                              ;   in Loop: Header=BB4_124 Depth=2
	s_or_b64 exec, exec, s[20:21]
	v_lshrrev_b32_e32 v14, 16, v11
	v_cmp_ne_u16_sdwa s[78:79], v14, v37 src0_sel:BYTE_0 src1_sel:DWORD
	v_mov_b32_e32 v1, 0
	s_and_saveexec_b64 s[20:21], s[78:79]
	s_cbranch_execz .LBB4_270
; %bb.265:                              ;   in Loop: Header=BB4_124 Depth=2
	v_cmp_ne_u16_sdwa s[88:89], v14, s53 src0_sel:BYTE_0 src1_sel:DWORD
	v_bfrev_b32_e32 v1, 1
	s_and_saveexec_b64 s[78:79], s[88:89]
	s_cbranch_execz .LBB4_269
; %bb.266:                              ;   in Loop: Header=BB4_124 Depth=2
	v_bfe_u32 v2, v11, 16, 7
	v_cmp_ne_u32_e32 vcc, s51, v2
	v_mov_b32_e32 v1, 0x7f800001
	s_and_saveexec_b64 s[88:89], vcc
	s_cbranch_execz .LBB4_268
; %bb.267:                              ;   in Loop: Header=BB4_124 Depth=2
	v_and_b32_e32 v5, 7, v14
	v_ffbh_u32_e32 v1, v5
	v_min_u32_e32 v7, 32, v1
	v_subrev_u32_e32 v1, 28, v7
	v_lshrrev_b32_e32 v6, 3, v2
	v_cmp_gt_u32_e32 vcc, 8, v2
	v_lshlrev_b64 v[1:2], v1, v[14:15]
	v_sub_u32_e32 v2, 29, v7
	v_and_b32_e32 v1, 7, v1
	v_cndmask_b32_e32 v2, v6, v2, vcc
	v_cndmask_b32_e32 v1, v5, v1, vcc
	v_lshlrev_b32_e32 v5, 24, v14
	v_lshlrev_b32_e32 v1, 20, v1
	v_and_b32_e32 v5, 0x80000000, v5
	v_lshl_add_u32 v2, v2, 23, v58
	v_or3_b32 v1, v5, v2, v1
.LBB4_268:                              ;   in Loop: Header=BB4_124 Depth=2
	s_or_b64 exec, exec, s[88:89]
.LBB4_269:                              ;   in Loop: Header=BB4_124 Depth=2
	s_or_b64 exec, exec, s[78:79]
.LBB4_270:                              ;   in Loop: Header=BB4_124 Depth=2
	s_or_b64 exec, exec, s[20:21]
	v_mul_f32_e32 v2, v4, v1
	v_and_b32_e32 v36, 0x7f800000, v2
	v_cmp_ne_u64_e32 vcc, s[56:57], v[36:37]
                                        ; implicit-def: $vgpr47
	s_and_saveexec_b64 s[20:21], vcc
	s_xor_b64 s[78:79], exec, s[20:21]
	s_cbranch_execz .LBB4_284
; %bb.271:                              ;   in Loop: Header=BB4_124 Depth=2
	v_and_b32_e32 v36, 0x7fffffff, v2
	v_cmp_gt_u64_e32 vcc, s[58:59], v[36:37]
	v_and_b32_sdwa v1, v2, s53 dst_sel:DWORD dst_unused:UNUSED_PAD src0_sel:BYTE_3 src1_sel:DWORD
                                        ; implicit-def: $vgpr47
	s_and_saveexec_b64 s[20:21], vcc
	s_xor_b64 s[88:89], exec, s[20:21]
	s_cbranch_execz .LBB4_281
; %bb.272:                              ;   in Loop: Header=BB4_124 Depth=2
	v_mov_b32_e32 v47, 0
	v_cmp_ne_u32_e32 vcc, 0, v2
	s_and_saveexec_b64 s[90:91], vcc
	s_cbranch_execz .LBB4_280
; %bb.273:                              ;   in Loop: Header=BB4_124 Depth=2
	v_and_b32_e32 v6, 0x7fffff, v2
	v_bfe_u32 v2, v2, 23, 8
	v_cmp_gt_u32_e64 s[20:21], s54, v2
	v_sub_u32_e32 v5, 0x79, v2
	v_cmp_eq_u32_e32 vcc, 0, v2
	v_cndmask_b32_e64 v5, 0, v5, s[20:21]
	v_or_b32_e32 v7, 0x800000, v6
	v_cndmask_b32_e32 v5, v5, v31, vcc
	v_cndmask_b32_e32 v36, v7, v6, vcc
	v_add_u32_e32 v6, 20, v5
	v_lshlrev_b64 v[6:7], v6, -1
	v_add_u32_e32 v9, 19, v5
	v_lshlrev_b64 v[14:15], v9, 1
	v_bfi_b32 v7, v7, 0, 0
	v_bfi_b32 v6, v6, 0, v36
	v_cmp_eq_u64_e64 s[20:21], v[6:7], v[14:15]
	v_lshrrev_b64 v[14:15], v5, v[36:37]
	v_mov_b32_e32 v16, v15
	v_mov_b32_e32 v15, v14
	s_and_saveexec_b64 s[92:93], s[20:21]
; %bb.274:                              ;   in Loop: Header=BB4_124 Depth=2
	v_bfe_u32 v6, v14, 20, 1
	v_add_co_u32_e64 v6, s[20:21], v14, v6
	v_add_co_u32_e64 v15, s[20:21], -1, v6
; %bb.275:                              ;   in Loop: Header=BB4_124 Depth=2
	s_or_b64 exec, exec, s[92:93]
	v_add_u32_e32 v2, 0xffffff81, v2
	v_cndmask_b32_e32 v2, v2, v62, vcc
	v_lshrrev_b32_e32 v6, 23, v14
	v_add3_u32 v6, v5, v2, v6
	v_add_u32_e32 v5, 6, v6
	v_and_b32_e32 v2, 0xfffff, v15
	v_add_u32_e32 v36, v2, v14
	v_cmp_ne_u32_e32 vcc, 0, v5
                                        ; implicit-def: $vgpr14_vgpr15
                                        ; implicit-def: $vgpr2
	s_and_saveexec_b64 s[20:21], vcc
	s_xor_b64 s[20:21], exec, s[20:21]
; %bb.276:                              ;   in Loop: Header=BB4_124 Depth=2
	v_cmp_lt_u64_e32 vcc, s[60:61], v[36:37]
	v_add_u32_e32 v2, 7, v6
	v_cndmask_b32_e32 v2, v5, v2, vcc
	v_cndmask_b32_e64 v5, 0, 1, vcc
	v_lshrrev_b64 v[14:15], v5, v[36:37]
; %bb.277:                              ;   in Loop: Header=BB4_124 Depth=2
	s_andn2_saveexec_b64 s[20:21], s[20:21]
; %bb.278:                              ;   in Loop: Header=BB4_124 Depth=2
	v_mov_b32_e32 v14, v36
	v_bfe_u32 v2, v36, 23, 1
	v_mov_b32_e32 v15, v37
; %bb.279:                              ;   in Loop: Header=BB4_124 Depth=2
	s_or_b64 exec, exec, s[20:21]
	v_lshrrev_b64 v[5:6], 20, v[14:15]
	v_cmp_gt_i32_e32 vcc, 16, v2
	v_cndmask_b32_e32 v6, 0, v6, vcc
	v_cndmask_b32_e32 v5, 7, v5, vcc
	v_cmp_eq_u32_e32 vcc, 0, v2
	v_min_i32_e32 v2, 15, v2
	v_cmp_eq_u64_e64 s[20:21], 0, v[5:6]
	v_lshlrev_b32_e32 v2, 3, v2
	v_and_b32_e32 v2, 0xf8, v2
	v_and_or_b32 v2, v5, 7, v2
	s_and_b64 s[20:21], vcc, s[20:21]
	v_cndmask_b32_e64 v2, v2, 0, s[20:21]
	v_or_b32_e32 v47, v2, v1
.LBB4_280:                              ;   in Loop: Header=BB4_124 Depth=2
	s_or_b64 exec, exec, s[90:91]
                                        ; implicit-def: $vgpr1
.LBB4_281:                              ;   in Loop: Header=BB4_124 Depth=2
	s_andn2_saveexec_b64 s[20:21], s[88:89]
; %bb.282:                              ;   in Loop: Header=BB4_124 Depth=2
	v_or_b32_e32 v47, 0x7e, v1
; %bb.283:                              ;   in Loop: Header=BB4_124 Depth=2
	s_or_b64 exec, exec, s[20:21]
                                        ; implicit-def: $vgpr2
.LBB4_284:                              ;   in Loop: Header=BB4_124 Depth=2
	s_andn2_saveexec_b64 s[20:21], s[78:79]
; %bb.285:                              ;   in Loop: Header=BB4_124 Depth=2
	v_or_b32_sdwa v47, v2, s51 dst_sel:DWORD dst_unused:UNUSED_PAD src0_sel:BYTE_3 src1_sel:DWORD
; %bb.286:                              ;   in Loop: Header=BB4_124 Depth=2
	s_or_b64 exec, exec, s[20:21]
	v_cmp_lt_u64_e32 vcc, s[62:63], v[10:11]
	v_mov_b32_e32 v1, 0
	s_and_saveexec_b64 s[20:21], vcc
	s_cbranch_execz .LBB4_292
; %bb.287:                              ;   in Loop: Header=BB4_124 Depth=2
	v_lshrrev_b32_e32 v10, 24, v11
	v_cmp_ne_u32_e32 vcc, s53, v10
	v_bfrev_b32_e32 v1, 1
	s_and_saveexec_b64 s[78:79], vcc
	s_cbranch_execz .LBB4_291
; %bb.288:                              ;   in Loop: Header=BB4_124 Depth=2
	v_bfe_u32 v2, v11, 24, 7
	v_cmp_ne_u32_e32 vcc, s51, v2
	v_mov_b32_e32 v1, 0x7f800001
	s_and_saveexec_b64 s[88:89], vcc
	s_cbranch_execz .LBB4_290
; %bb.289:                              ;   in Loop: Header=BB4_124 Depth=2
	v_and_b32_e32 v5, 7, v10
	v_ffbh_u32_e32 v1, v5
	v_min_u32_e32 v7, 32, v1
	v_subrev_u32_e32 v1, 28, v7
	v_lshrrev_b32_e32 v6, 3, v2
	v_cmp_gt_u32_e32 vcc, 8, v2
	v_lshlrev_b64 v[1:2], v1, v[10:11]
	v_sub_u32_e32 v2, 29, v7
	v_and_b32_e32 v1, 7, v1
	v_cndmask_b32_e32 v2, v6, v2, vcc
	v_cndmask_b32_e32 v1, v5, v1, vcc
	v_lshlrev_b32_e32 v5, 24, v10
	v_lshlrev_b32_e32 v1, 20, v1
	v_and_b32_e32 v5, 0x80000000, v5
	v_lshl_add_u32 v2, v2, 23, v58
	v_or3_b32 v1, v5, v2, v1
.LBB4_290:                              ;   in Loop: Header=BB4_124 Depth=2
	s_or_b64 exec, exec, s[88:89]
.LBB4_291:                              ;   in Loop: Header=BB4_124 Depth=2
	s_or_b64 exec, exec, s[78:79]
.LBB4_292:                              ;   in Loop: Header=BB4_124 Depth=2
	s_or_b64 exec, exec, s[20:21]
	v_mul_f32_e32 v2, v4, v1
	v_and_b32_e32 v36, 0x7f800000, v2
	v_cmp_ne_u64_e32 vcc, s[56:57], v[36:37]
                                        ; implicit-def: $vgpr60
	s_and_saveexec_b64 s[20:21], vcc
	s_xor_b64 s[78:79], exec, s[20:21]
	s_cbranch_execz .LBB4_306
; %bb.293:                              ;   in Loop: Header=BB4_124 Depth=2
	v_and_b32_e32 v36, 0x7fffffff, v2
	v_cmp_gt_u64_e32 vcc, s[58:59], v[36:37]
	v_and_b32_sdwa v1, v2, s53 dst_sel:DWORD dst_unused:UNUSED_PAD src0_sel:BYTE_3 src1_sel:DWORD
                                        ; implicit-def: $vgpr60
	s_and_saveexec_b64 s[20:21], vcc
	s_xor_b64 s[88:89], exec, s[20:21]
	s_cbranch_execz .LBB4_303
; %bb.294:                              ;   in Loop: Header=BB4_124 Depth=2
	v_mov_b32_e32 v60, 0
	v_cmp_ne_u32_e32 vcc, 0, v2
	s_and_saveexec_b64 s[90:91], vcc
	s_cbranch_execz .LBB4_302
; %bb.295:                              ;   in Loop: Header=BB4_124 Depth=2
	v_and_b32_e32 v6, 0x7fffff, v2
	v_bfe_u32 v2, v2, 23, 8
	v_cmp_gt_u32_e64 s[20:21], s54, v2
	v_sub_u32_e32 v5, 0x79, v2
	v_cmp_eq_u32_e32 vcc, 0, v2
	v_cndmask_b32_e64 v5, 0, v5, s[20:21]
	v_or_b32_e32 v7, 0x800000, v6
	v_cndmask_b32_e32 v5, v5, v31, vcc
	v_cndmask_b32_e32 v36, v7, v6, vcc
	v_add_u32_e32 v6, 20, v5
	v_lshlrev_b64 v[6:7], v6, -1
	v_add_u32_e32 v9, 19, v5
	v_lshlrev_b64 v[9:10], v9, 1
	v_bfi_b32 v7, v7, 0, 0
	v_bfi_b32 v6, v6, 0, v36
	v_cmp_eq_u64_e64 s[20:21], v[6:7], v[9:10]
	v_lshrrev_b64 v[10:11], v5, v[36:37]
	v_mov_b32_e32 v15, v11
	v_mov_b32_e32 v14, v10
	s_and_saveexec_b64 s[92:93], s[20:21]
; %bb.296:                              ;   in Loop: Header=BB4_124 Depth=2
	v_bfe_u32 v6, v10, 20, 1
	v_add_co_u32_e64 v6, s[20:21], v10, v6
	v_add_co_u32_e64 v14, s[20:21], -1, v6
; %bb.297:                              ;   in Loop: Header=BB4_124 Depth=2
	s_or_b64 exec, exec, s[92:93]
	v_add_u32_e32 v2, 0xffffff81, v2
	v_cndmask_b32_e32 v2, v2, v62, vcc
	v_lshrrev_b32_e32 v6, 23, v10
	v_add3_u32 v6, v5, v2, v6
	v_add_u32_e32 v5, 6, v6
	v_and_b32_e32 v2, 0xfffff, v14
	v_add_u32_e32 v36, v2, v10
	v_cmp_ne_u32_e32 vcc, 0, v5
                                        ; implicit-def: $vgpr10_vgpr11
                                        ; implicit-def: $vgpr2
	s_and_saveexec_b64 s[20:21], vcc
	s_xor_b64 s[20:21], exec, s[20:21]
; %bb.298:                              ;   in Loop: Header=BB4_124 Depth=2
	v_cmp_lt_u64_e32 vcc, s[60:61], v[36:37]
	v_add_u32_e32 v2, 7, v6
	v_cndmask_b32_e32 v2, v5, v2, vcc
	v_cndmask_b32_e64 v5, 0, 1, vcc
	v_lshrrev_b64 v[10:11], v5, v[36:37]
; %bb.299:                              ;   in Loop: Header=BB4_124 Depth=2
	s_andn2_saveexec_b64 s[20:21], s[20:21]
; %bb.300:                              ;   in Loop: Header=BB4_124 Depth=2
	v_mov_b32_e32 v10, v36
	v_bfe_u32 v2, v36, 23, 1
	v_mov_b32_e32 v11, v37
; %bb.301:                              ;   in Loop: Header=BB4_124 Depth=2
	s_or_b64 exec, exec, s[20:21]
	v_lshrrev_b64 v[5:6], 20, v[10:11]
	v_cmp_gt_i32_e32 vcc, 16, v2
	v_cndmask_b32_e32 v6, 0, v6, vcc
	v_cndmask_b32_e32 v5, 7, v5, vcc
	v_cmp_eq_u32_e32 vcc, 0, v2
	v_min_i32_e32 v2, 15, v2
	v_cmp_eq_u64_e64 s[20:21], 0, v[5:6]
	v_lshlrev_b32_e32 v2, 3, v2
	v_and_b32_e32 v2, 0xf8, v2
	v_and_or_b32 v2, v5, 7, v2
	s_and_b64 s[20:21], vcc, s[20:21]
	v_cndmask_b32_e64 v2, v2, 0, s[20:21]
	v_or_b32_e32 v60, v2, v1
.LBB4_302:                              ;   in Loop: Header=BB4_124 Depth=2
	s_or_b64 exec, exec, s[90:91]
                                        ; implicit-def: $vgpr1
.LBB4_303:                              ;   in Loop: Header=BB4_124 Depth=2
	s_andn2_saveexec_b64 s[20:21], s[88:89]
; %bb.304:                              ;   in Loop: Header=BB4_124 Depth=2
	v_or_b32_e32 v60, 0x7e, v1
; %bb.305:                              ;   in Loop: Header=BB4_124 Depth=2
	s_or_b64 exec, exec, s[20:21]
                                        ; implicit-def: $vgpr2
.LBB4_306:                              ;   in Loop: Header=BB4_124 Depth=2
	s_andn2_saveexec_b64 s[20:21], s[78:79]
; %bb.307:                              ;   in Loop: Header=BB4_124 Depth=2
	v_or_b32_sdwa v60, v2, s51 dst_sel:DWORD dst_unused:UNUSED_PAD src0_sel:BYTE_3 src1_sel:DWORD
; %bb.308:                              ;   in Loop: Header=BB4_124 Depth=2
	s_or_b64 exec, exec, s[20:21]
	v_cmp_ne_u16_sdwa s[78:79], v12, v37 src0_sel:BYTE_0 src1_sel:DWORD
	v_mov_b32_e32 v1, 0
	s_and_saveexec_b64 s[20:21], s[78:79]
	s_cbranch_execz .LBB4_314
; %bb.309:                              ;   in Loop: Header=BB4_124 Depth=2
	v_cmp_ne_u16_sdwa s[88:89], v12, s53 src0_sel:BYTE_0 src1_sel:DWORD
	v_bfrev_b32_e32 v1, 1
	s_and_saveexec_b64 s[78:79], s[88:89]
	s_cbranch_execz .LBB4_313
; %bb.310:                              ;   in Loop: Header=BB4_124 Depth=2
	v_and_b32_e32 v2, 0x7f, v12
	v_cmp_ne_u32_e32 vcc, s51, v2
	v_mov_b32_e32 v1, 0x7f800001
	s_and_saveexec_b64 s[88:89], vcc
	s_cbranch_execz .LBB4_312
; %bb.311:                              ;   in Loop: Header=BB4_124 Depth=2
	v_and_b32_e32 v1, 7, v12
	v_ffbh_u32_e32 v1, v1
	v_min_u32_e32 v1, 32, v1
	v_lshrrev_b32_e32 v5, 3, v2
	v_cmp_gt_u32_e32 vcc, 8, v2
	v_subrev_u32_e32 v2, 28, v1
	v_sub_u32_e32 v1, 29, v1
	v_cndmask_b32_e32 v5, v5, v1, vcc
	v_cndmask_b32_e32 v1, 0, v2, vcc
	v_lshlrev_b64 v[1:2], v1, v[12:13]
	v_lshlrev_b32_e32 v2, 24, v12
	v_lshlrev_b32_e32 v1, 20, v1
	v_and_b32_e32 v1, 0x700000, v1
	v_and_b32_e32 v2, 0x80000000, v2
	v_lshl_add_u32 v5, v5, 23, v58
	v_or3_b32 v1, v2, v5, v1
.LBB4_312:                              ;   in Loop: Header=BB4_124 Depth=2
	s_or_b64 exec, exec, s[88:89]
.LBB4_313:                              ;   in Loop: Header=BB4_124 Depth=2
	s_or_b64 exec, exec, s[78:79]
.LBB4_314:                              ;   in Loop: Header=BB4_124 Depth=2
	s_or_b64 exec, exec, s[20:21]
	v_mul_f32_e32 v2, v4, v1
	v_and_b32_e32 v36, 0x7f800000, v2
	v_cmp_ne_u64_e32 vcc, s[56:57], v[36:37]
                                        ; implicit-def: $vgpr21
	s_and_saveexec_b64 s[20:21], vcc
	s_xor_b64 s[78:79], exec, s[20:21]
	s_cbranch_execz .LBB4_328
; %bb.315:                              ;   in Loop: Header=BB4_124 Depth=2
	v_and_b32_e32 v36, 0x7fffffff, v2
	v_cmp_gt_u64_e32 vcc, s[58:59], v[36:37]
	v_and_b32_sdwa v1, v2, s53 dst_sel:DWORD dst_unused:UNUSED_PAD src0_sel:BYTE_3 src1_sel:DWORD
                                        ; implicit-def: $vgpr21
	s_and_saveexec_b64 s[20:21], vcc
	s_xor_b64 s[88:89], exec, s[20:21]
	s_cbranch_execz .LBB4_325
; %bb.316:                              ;   in Loop: Header=BB4_124 Depth=2
	v_mov_b32_e32 v21, 0
	v_cmp_ne_u32_e32 vcc, 0, v2
	s_and_saveexec_b64 s[90:91], vcc
	s_cbranch_execz .LBB4_324
; %bb.317:                              ;   in Loop: Header=BB4_124 Depth=2
	v_and_b32_e32 v6, 0x7fffff, v2
	v_bfe_u32 v2, v2, 23, 8
	v_cmp_gt_u32_e64 s[20:21], s54, v2
	v_sub_u32_e32 v5, 0x79, v2
	v_cmp_eq_u32_e32 vcc, 0, v2
	v_cndmask_b32_e64 v5, 0, v5, s[20:21]
	v_or_b32_e32 v7, 0x800000, v6
	v_cndmask_b32_e32 v5, v5, v31, vcc
	v_cndmask_b32_e32 v36, v7, v6, vcc
	v_add_u32_e32 v6, 20, v5
	v_lshlrev_b64 v[6:7], v6, -1
	v_add_u32_e32 v9, 19, v5
	v_lshlrev_b64 v[9:10], v9, 1
	v_bfi_b32 v7, v7, 0, 0
	v_bfi_b32 v6, v6, 0, v36
	v_cmp_eq_u64_e64 s[20:21], v[6:7], v[9:10]
	v_lshrrev_b64 v[10:11], v5, v[36:37]
	v_mov_b32_e32 v15, v11
	v_mov_b32_e32 v14, v10
	s_and_saveexec_b64 s[92:93], s[20:21]
; %bb.318:                              ;   in Loop: Header=BB4_124 Depth=2
	v_bfe_u32 v6, v10, 20, 1
	v_add_co_u32_e64 v6, s[20:21], v10, v6
	v_add_co_u32_e64 v14, s[20:21], -1, v6
; %bb.319:                              ;   in Loop: Header=BB4_124 Depth=2
	s_or_b64 exec, exec, s[92:93]
	v_add_u32_e32 v2, 0xffffff81, v2
	v_cndmask_b32_e32 v2, v2, v62, vcc
	v_lshrrev_b32_e32 v6, 23, v10
	v_add3_u32 v6, v5, v2, v6
	v_add_u32_e32 v5, 6, v6
	v_and_b32_e32 v2, 0xfffff, v14
	v_add_u32_e32 v36, v2, v10
	v_cmp_ne_u32_e32 vcc, 0, v5
                                        ; implicit-def: $vgpr10_vgpr11
                                        ; implicit-def: $vgpr2
	s_and_saveexec_b64 s[20:21], vcc
	s_xor_b64 s[20:21], exec, s[20:21]
; %bb.320:                              ;   in Loop: Header=BB4_124 Depth=2
	v_cmp_lt_u64_e32 vcc, s[60:61], v[36:37]
	v_add_u32_e32 v2, 7, v6
	v_cndmask_b32_e32 v2, v5, v2, vcc
	v_cndmask_b32_e64 v5, 0, 1, vcc
	v_lshrrev_b64 v[10:11], v5, v[36:37]
; %bb.321:                              ;   in Loop: Header=BB4_124 Depth=2
	s_andn2_saveexec_b64 s[20:21], s[20:21]
; %bb.322:                              ;   in Loop: Header=BB4_124 Depth=2
	v_mov_b32_e32 v10, v36
	v_bfe_u32 v2, v36, 23, 1
	v_mov_b32_e32 v11, v37
; %bb.323:                              ;   in Loop: Header=BB4_124 Depth=2
	s_or_b64 exec, exec, s[20:21]
	v_lshrrev_b64 v[5:6], 20, v[10:11]
	v_cmp_gt_i32_e32 vcc, 16, v2
	v_cndmask_b32_e32 v6, 0, v6, vcc
	v_cndmask_b32_e32 v5, 7, v5, vcc
	v_cmp_eq_u32_e32 vcc, 0, v2
	v_min_i32_e32 v2, 15, v2
	v_cmp_eq_u64_e64 s[20:21], 0, v[5:6]
	v_lshlrev_b32_e32 v2, 3, v2
	v_and_b32_e32 v2, 0xf8, v2
	v_and_or_b32 v2, v5, 7, v2
	s_and_b64 s[20:21], vcc, s[20:21]
	v_cndmask_b32_e64 v2, v2, 0, s[20:21]
	v_or_b32_e32 v21, v2, v1
.LBB4_324:                              ;   in Loop: Header=BB4_124 Depth=2
	s_or_b64 exec, exec, s[90:91]
                                        ; implicit-def: $vgpr1
.LBB4_325:                              ;   in Loop: Header=BB4_124 Depth=2
	s_andn2_saveexec_b64 s[20:21], s[88:89]
; %bb.326:                              ;   in Loop: Header=BB4_124 Depth=2
	v_or_b32_e32 v21, 0x7e, v1
; %bb.327:                              ;   in Loop: Header=BB4_124 Depth=2
	s_or_b64 exec, exec, s[20:21]
                                        ; implicit-def: $vgpr2
.LBB4_328:                              ;   in Loop: Header=BB4_124 Depth=2
	s_andn2_saveexec_b64 s[20:21], s[78:79]
; %bb.329:                              ;   in Loop: Header=BB4_124 Depth=2
	v_or_b32_sdwa v21, v2, s51 dst_sel:DWORD dst_unused:UNUSED_PAD src0_sel:BYTE_3 src1_sel:DWORD
; %bb.330:                              ;   in Loop: Header=BB4_124 Depth=2
	s_or_b64 exec, exec, s[20:21]
	v_lshrrev_b16_e32 v10, 8, v12
	v_cmp_ne_u16_e32 vcc, 0, v10
	v_mov_b32_e32 v1, 0
	s_and_saveexec_b64 s[20:21], vcc
	s_cbranch_execz .LBB4_336
; %bb.331:                              ;   in Loop: Header=BB4_124 Depth=2
	v_cmp_ne_u16_e32 vcc, s53, v10
	v_bfrev_b32_e32 v1, 1
	s_and_saveexec_b64 s[78:79], vcc
	s_cbranch_execz .LBB4_335
; %bb.332:                              ;   in Loop: Header=BB4_124 Depth=2
	v_and_b32_e32 v2, 0x7f, v10
	v_cmp_ne_u32_e32 vcc, s51, v2
	v_mov_b32_e32 v1, 0x7f800001
	s_and_saveexec_b64 s[88:89], vcc
	s_cbranch_execz .LBB4_334
; %bb.333:                              ;   in Loop: Header=BB4_124 Depth=2
	v_and_b32_e32 v5, 7, v10
	v_ffbh_u32_e32 v1, v5
	v_min_u32_e32 v7, 32, v1
	v_subrev_u32_e32 v1, 28, v7
	v_lshrrev_b32_e32 v6, 3, v2
	v_cmp_gt_u32_e32 vcc, 8, v2
	v_lshlrev_b64 v[1:2], v1, v[10:11]
	v_sub_u32_e32 v2, 29, v7
	v_and_b32_e32 v1, 7, v1
	v_cndmask_b32_e32 v2, v6, v2, vcc
	v_cndmask_b32_e32 v1, v5, v1, vcc
	v_lshlrev_b32_e32 v5, 16, v12
	v_lshlrev_b32_e32 v1, 20, v1
	v_and_b32_e32 v5, 0x80000000, v5
	v_lshl_add_u32 v2, v2, 23, v58
	v_or3_b32 v1, v5, v2, v1
.LBB4_334:                              ;   in Loop: Header=BB4_124 Depth=2
	s_or_b64 exec, exec, s[88:89]
.LBB4_335:                              ;   in Loop: Header=BB4_124 Depth=2
	s_or_b64 exec, exec, s[78:79]
.LBB4_336:                              ;   in Loop: Header=BB4_124 Depth=2
	s_or_b64 exec, exec, s[20:21]
	v_mul_f32_e32 v5, v4, v1
	v_and_b32_e32 v36, 0x7f800000, v5
	v_cmp_ne_u64_e32 vcc, s[56:57], v[36:37]
                                        ; implicit-def: $vgpr2
	s_and_saveexec_b64 s[20:21], vcc
	s_xor_b64 s[78:79], exec, s[20:21]
	s_cbranch_execz .LBB4_350
; %bb.337:                              ;   in Loop: Header=BB4_124 Depth=2
	v_and_b32_e32 v36, 0x7fffffff, v5
	v_cmp_gt_u64_e32 vcc, s[58:59], v[36:37]
	v_and_b32_sdwa v1, v5, s53 dst_sel:DWORD dst_unused:UNUSED_PAD src0_sel:BYTE_3 src1_sel:DWORD
                                        ; implicit-def: $vgpr2
	s_and_saveexec_b64 s[20:21], vcc
	s_xor_b64 s[88:89], exec, s[20:21]
	s_cbranch_execz .LBB4_347
; %bb.338:                              ;   in Loop: Header=BB4_124 Depth=2
	v_mov_b32_e32 v2, 0
	v_cmp_ne_u32_e32 vcc, 0, v5
	s_and_saveexec_b64 s[90:91], vcc
	s_cbranch_execz .LBB4_346
; %bb.339:                              ;   in Loop: Header=BB4_124 Depth=2
	v_bfe_u32 v2, v5, 23, 8
	v_and_b32_e32 v6, 0x7fffff, v5
	v_cmp_gt_u32_e64 s[20:21], s54, v2
	v_sub_u32_e32 v5, 0x79, v2
	v_cmp_eq_u32_e32 vcc, 0, v2
	v_cndmask_b32_e64 v5, 0, v5, s[20:21]
	v_or_b32_e32 v7, 0x800000, v6
	v_cndmask_b32_e32 v5, v5, v31, vcc
	v_cndmask_b32_e32 v36, v7, v6, vcc
	v_add_u32_e32 v6, 20, v5
	v_lshlrev_b64 v[6:7], v6, -1
	v_add_u32_e32 v9, 19, v5
	v_lshlrev_b64 v[9:10], v9, 1
	v_bfi_b32 v7, v7, 0, 0
	v_bfi_b32 v6, v6, 0, v36
	v_cmp_eq_u64_e64 s[20:21], v[6:7], v[9:10]
	v_lshrrev_b64 v[10:11], v5, v[36:37]
	v_mov_b32_e32 v15, v11
	v_mov_b32_e32 v14, v10
	s_and_saveexec_b64 s[92:93], s[20:21]
; %bb.340:                              ;   in Loop: Header=BB4_124 Depth=2
	v_bfe_u32 v6, v10, 20, 1
	v_add_co_u32_e64 v6, s[20:21], v10, v6
	v_add_co_u32_e64 v14, s[20:21], -1, v6
; %bb.341:                              ;   in Loop: Header=BB4_124 Depth=2
	s_or_b64 exec, exec, s[92:93]
	v_add_u32_e32 v2, 0xffffff81, v2
	v_cndmask_b32_e32 v2, v2, v62, vcc
	v_lshrrev_b32_e32 v6, 23, v10
	v_add3_u32 v6, v5, v2, v6
	v_add_u32_e32 v5, 6, v6
	v_and_b32_e32 v2, 0xfffff, v14
	v_add_u32_e32 v36, v2, v10
	v_cmp_ne_u32_e32 vcc, 0, v5
                                        ; implicit-def: $vgpr10_vgpr11
                                        ; implicit-def: $vgpr2
	s_and_saveexec_b64 s[20:21], vcc
	s_xor_b64 s[20:21], exec, s[20:21]
; %bb.342:                              ;   in Loop: Header=BB4_124 Depth=2
	v_cmp_lt_u64_e32 vcc, s[60:61], v[36:37]
	v_add_u32_e32 v2, 7, v6
	v_cndmask_b32_e32 v2, v5, v2, vcc
	v_cndmask_b32_e64 v5, 0, 1, vcc
	v_lshrrev_b64 v[10:11], v5, v[36:37]
; %bb.343:                              ;   in Loop: Header=BB4_124 Depth=2
	s_andn2_saveexec_b64 s[20:21], s[20:21]
; %bb.344:                              ;   in Loop: Header=BB4_124 Depth=2
	v_mov_b32_e32 v10, v36
	v_bfe_u32 v2, v36, 23, 1
	v_mov_b32_e32 v11, v37
; %bb.345:                              ;   in Loop: Header=BB4_124 Depth=2
	s_or_b64 exec, exec, s[20:21]
	v_lshrrev_b64 v[5:6], 20, v[10:11]
	v_cmp_gt_i32_e32 vcc, 16, v2
	v_cndmask_b32_e32 v6, 0, v6, vcc
	v_cndmask_b32_e32 v5, 7, v5, vcc
	v_cmp_eq_u32_e32 vcc, 0, v2
	v_min_i32_e32 v2, 15, v2
	v_cmp_eq_u64_e64 s[20:21], 0, v[5:6]
	v_lshlrev_b32_e32 v2, 3, v2
	v_and_b32_e32 v2, 0xf8, v2
	v_and_or_b32 v2, v5, 7, v2
	s_and_b64 s[20:21], vcc, s[20:21]
	v_cndmask_b32_e64 v2, v2, 0, s[20:21]
	v_or_b32_e32 v2, v2, v1
.LBB4_346:                              ;   in Loop: Header=BB4_124 Depth=2
	s_or_b64 exec, exec, s[90:91]
                                        ; implicit-def: $vgpr1
.LBB4_347:                              ;   in Loop: Header=BB4_124 Depth=2
	s_andn2_saveexec_b64 s[20:21], s[88:89]
; %bb.348:                              ;   in Loop: Header=BB4_124 Depth=2
	v_or_b32_e32 v2, 0x7e, v1
; %bb.349:                              ;   in Loop: Header=BB4_124 Depth=2
	s_or_b64 exec, exec, s[20:21]
                                        ; implicit-def: $vgpr5
.LBB4_350:                              ;   in Loop: Header=BB4_124 Depth=2
	s_andn2_saveexec_b64 s[20:21], s[78:79]
; %bb.351:                              ;   in Loop: Header=BB4_124 Depth=2
	v_or_b32_sdwa v2, v5, s51 dst_sel:DWORD dst_unused:UNUSED_PAD src0_sel:BYTE_3 src1_sel:DWORD
; %bb.352:                              ;   in Loop: Header=BB4_124 Depth=2
	s_or_b64 exec, exec, s[20:21]
	v_lshrrev_b32_e32 v10, 16, v12
	v_cmp_ne_u16_sdwa s[78:79], v10, v37 src0_sel:BYTE_0 src1_sel:DWORD
	v_mov_b32_e32 v1, 0
	s_and_saveexec_b64 s[20:21], s[78:79]
	s_cbranch_execz .LBB4_358
; %bb.353:                              ;   in Loop: Header=BB4_124 Depth=2
	v_cmp_ne_u16_sdwa s[88:89], v10, s53 src0_sel:BYTE_0 src1_sel:DWORD
	v_bfrev_b32_e32 v1, 1
	s_and_saveexec_b64 s[78:79], s[88:89]
	s_cbranch_execz .LBB4_357
; %bb.354:                              ;   in Loop: Header=BB4_124 Depth=2
	v_bfe_u32 v5, v12, 16, 7
	v_cmp_ne_u32_e32 vcc, s51, v5
	v_mov_b32_e32 v1, 0x7f800001
	s_and_saveexec_b64 s[88:89], vcc
	s_cbranch_execz .LBB4_356
; %bb.355:                              ;   in Loop: Header=BB4_124 Depth=2
	v_and_b32_e32 v1, 7, v10
	v_lshrrev_b32_e32 v7, 3, v5
	v_cmp_gt_u32_e32 vcc, 8, v5
	v_ffbh_u32_e32 v5, v1
	v_min_u32_e32 v9, 32, v5
	v_subrev_u32_e32 v5, 28, v9
	v_lshlrev_b64 v[5:6], v5, v[10:11]
	v_sub_u32_e32 v6, 29, v9
	v_and_b32_e32 v5, 7, v5
	v_cndmask_b32_e32 v6, v7, v6, vcc
	v_cndmask_b32_e32 v1, v1, v5, vcc
	v_lshlrev_b32_e32 v5, 24, v10
	v_lshlrev_b32_e32 v1, 20, v1
	v_and_b32_e32 v5, 0x80000000, v5
	v_lshl_add_u32 v6, v6, 23, v58
	v_or3_b32 v1, v5, v6, v1
.LBB4_356:                              ;   in Loop: Header=BB4_124 Depth=2
	s_or_b64 exec, exec, s[88:89]
.LBB4_357:                              ;   in Loop: Header=BB4_124 Depth=2
	s_or_b64 exec, exec, s[78:79]
.LBB4_358:                              ;   in Loop: Header=BB4_124 Depth=2
	s_or_b64 exec, exec, s[20:21]
	v_mul_f32_e32 v5, v4, v1
	v_and_b32_e32 v36, 0x7f800000, v5
	v_cmp_ne_u64_e32 vcc, s[56:57], v[36:37]
                                        ; implicit-def: $vgpr61
	s_and_saveexec_b64 s[20:21], vcc
	s_xor_b64 s[78:79], exec, s[20:21]
	s_cbranch_execz .LBB4_372
; %bb.359:                              ;   in Loop: Header=BB4_124 Depth=2
	v_and_b32_e32 v36, 0x7fffffff, v5
	v_cmp_gt_u64_e32 vcc, s[58:59], v[36:37]
	v_and_b32_sdwa v1, v5, s53 dst_sel:DWORD dst_unused:UNUSED_PAD src0_sel:BYTE_3 src1_sel:DWORD
                                        ; implicit-def: $vgpr61
	s_and_saveexec_b64 s[20:21], vcc
	s_xor_b64 s[88:89], exec, s[20:21]
	s_cbranch_execz .LBB4_369
; %bb.360:                              ;   in Loop: Header=BB4_124 Depth=2
	v_mov_b32_e32 v61, 0
	v_cmp_ne_u32_e32 vcc, 0, v5
	s_and_saveexec_b64 s[90:91], vcc
	s_cbranch_execz .LBB4_368
; %bb.361:                              ;   in Loop: Header=BB4_124 Depth=2
	v_and_b32_e32 v7, 0x7fffff, v5
	v_bfe_u32 v5, v5, 23, 8
	v_cmp_gt_u32_e64 s[20:21], s54, v5
	v_sub_u32_e32 v6, 0x79, v5
	v_cmp_eq_u32_e32 vcc, 0, v5
	v_cndmask_b32_e64 v6, 0, v6, s[20:21]
	v_or_b32_e32 v9, 0x800000, v7
	v_cndmask_b32_e32 v6, v6, v31, vcc
	v_cndmask_b32_e32 v36, v9, v7, vcc
	v_add_u32_e32 v7, 20, v6
	v_lshlrev_b64 v[9:10], v7, -1
	v_add_u32_e32 v7, 19, v6
	v_lshlrev_b64 v[14:15], v7, 1
	v_bfi_b32 v10, v10, 0, 0
	v_bfi_b32 v9, v9, 0, v36
	v_cmp_eq_u64_e64 s[20:21], v[9:10], v[14:15]
	v_lshrrev_b64 v[10:11], v6, v[36:37]
	v_mov_b32_e32 v15, v11
	v_mov_b32_e32 v14, v10
	s_and_saveexec_b64 s[92:93], s[20:21]
; %bb.362:                              ;   in Loop: Header=BB4_124 Depth=2
	v_bfe_u32 v7, v10, 20, 1
	v_add_co_u32_e64 v7, s[20:21], v10, v7
	v_add_co_u32_e64 v14, s[20:21], -1, v7
; %bb.363:                              ;   in Loop: Header=BB4_124 Depth=2
	s_or_b64 exec, exec, s[92:93]
	v_add_u32_e32 v5, 0xffffff81, v5
	v_cndmask_b32_e32 v5, v5, v62, vcc
	v_lshrrev_b32_e32 v7, 23, v10
	v_add3_u32 v7, v6, v5, v7
	v_add_u32_e32 v6, 6, v7
	v_and_b32_e32 v5, 0xfffff, v14
	v_add_u32_e32 v36, v5, v10
	v_cmp_ne_u32_e32 vcc, 0, v6
                                        ; implicit-def: $vgpr10_vgpr11
                                        ; implicit-def: $vgpr5
	s_and_saveexec_b64 s[20:21], vcc
	s_xor_b64 s[20:21], exec, s[20:21]
; %bb.364:                              ;   in Loop: Header=BB4_124 Depth=2
	v_cmp_lt_u64_e32 vcc, s[60:61], v[36:37]
	v_add_u32_e32 v5, 7, v7
	v_cndmask_b32_e32 v5, v6, v5, vcc
	v_cndmask_b32_e64 v6, 0, 1, vcc
	v_lshrrev_b64 v[10:11], v6, v[36:37]
; %bb.365:                              ;   in Loop: Header=BB4_124 Depth=2
	s_andn2_saveexec_b64 s[20:21], s[20:21]
; %bb.366:                              ;   in Loop: Header=BB4_124 Depth=2
	v_mov_b32_e32 v10, v36
	v_bfe_u32 v5, v36, 23, 1
	v_mov_b32_e32 v11, v37
; %bb.367:                              ;   in Loop: Header=BB4_124 Depth=2
	s_or_b64 exec, exec, s[20:21]
	v_lshrrev_b64 v[6:7], 20, v[10:11]
	v_cmp_gt_i32_e32 vcc, 16, v5
	v_cndmask_b32_e32 v7, 0, v7, vcc
	v_cndmask_b32_e32 v6, 7, v6, vcc
	v_cmp_eq_u32_e32 vcc, 0, v5
	v_min_i32_e32 v5, 15, v5
	v_cmp_eq_u64_e64 s[20:21], 0, v[6:7]
	v_lshlrev_b32_e32 v5, 3, v5
	v_and_b32_e32 v5, 0xf8, v5
	v_and_or_b32 v5, v6, 7, v5
	s_and_b64 s[20:21], vcc, s[20:21]
	v_cndmask_b32_e64 v5, v5, 0, s[20:21]
	v_or_b32_e32 v61, v5, v1
.LBB4_368:                              ;   in Loop: Header=BB4_124 Depth=2
	s_or_b64 exec, exec, s[90:91]
                                        ; implicit-def: $vgpr1
.LBB4_369:                              ;   in Loop: Header=BB4_124 Depth=2
	s_andn2_saveexec_b64 s[20:21], s[88:89]
; %bb.370:                              ;   in Loop: Header=BB4_124 Depth=2
	v_or_b32_e32 v61, 0x7e, v1
; %bb.371:                              ;   in Loop: Header=BB4_124 Depth=2
	s_or_b64 exec, exec, s[20:21]
                                        ; implicit-def: $vgpr5
.LBB4_372:                              ;   in Loop: Header=BB4_124 Depth=2
	s_andn2_saveexec_b64 s[20:21], s[78:79]
; %bb.373:                              ;   in Loop: Header=BB4_124 Depth=2
	v_or_b32_sdwa v61, v5, s51 dst_sel:DWORD dst_unused:UNUSED_PAD src0_sel:BYTE_3 src1_sel:DWORD
; %bb.374:                              ;   in Loop: Header=BB4_124 Depth=2
	s_or_b64 exec, exec, s[20:21]
	v_cmp_lt_u32_e32 vcc, s63, v12
	v_mov_b32_e32 v1, 0
	s_and_saveexec_b64 s[20:21], vcc
	s_cbranch_execz .LBB4_380
; %bb.375:                              ;   in Loop: Header=BB4_124 Depth=2
	v_lshrrev_b32_e32 v10, 24, v12
	v_cmp_ne_u32_e32 vcc, s53, v10
	v_bfrev_b32_e32 v1, 1
	s_and_saveexec_b64 s[78:79], vcc
	s_cbranch_execz .LBB4_379
; %bb.376:                              ;   in Loop: Header=BB4_124 Depth=2
	v_bfe_u32 v5, v12, 24, 7
	v_cmp_ne_u32_e32 vcc, s51, v5
	v_mov_b32_e32 v1, 0x7f800001
	s_and_saveexec_b64 s[88:89], vcc
	s_cbranch_execz .LBB4_378
; %bb.377:                              ;   in Loop: Header=BB4_124 Depth=2
	v_and_b32_e32 v1, 7, v10
	v_lshrrev_b32_e32 v7, 3, v5
	v_cmp_gt_u32_e32 vcc, 8, v5
	v_ffbh_u32_e32 v5, v1
	v_min_u32_e32 v9, 32, v5
	v_subrev_u32_e32 v5, 28, v9
	v_lshlrev_b64 v[5:6], v5, v[10:11]
	v_sub_u32_e32 v6, 29, v9
	v_and_b32_e32 v5, 7, v5
	v_cndmask_b32_e32 v6, v7, v6, vcc
	v_cndmask_b32_e32 v1, v1, v5, vcc
	v_lshlrev_b32_e32 v5, 24, v10
	v_lshlrev_b32_e32 v1, 20, v1
	v_and_b32_e32 v5, 0x80000000, v5
	v_lshl_add_u32 v6, v6, 23, v58
	v_or3_b32 v1, v5, v6, v1
.LBB4_378:                              ;   in Loop: Header=BB4_124 Depth=2
	s_or_b64 exec, exec, s[88:89]
.LBB4_379:                              ;   in Loop: Header=BB4_124 Depth=2
	s_or_b64 exec, exec, s[78:79]
.LBB4_380:                              ;   in Loop: Header=BB4_124 Depth=2
	s_or_b64 exec, exec, s[20:21]
	v_mul_f32_e32 v5, v4, v1
	v_and_b32_e32 v36, 0x7f800000, v5
	v_cmp_ne_u64_e32 vcc, s[56:57], v[36:37]
                                        ; implicit-def: $vgpr22
	s_and_saveexec_b64 s[20:21], vcc
	s_xor_b64 s[78:79], exec, s[20:21]
	s_cbranch_execz .LBB4_394
; %bb.381:                              ;   in Loop: Header=BB4_124 Depth=2
	v_and_b32_e32 v36, 0x7fffffff, v5
	v_cmp_gt_u64_e32 vcc, s[58:59], v[36:37]
	v_and_b32_sdwa v1, v5, s53 dst_sel:DWORD dst_unused:UNUSED_PAD src0_sel:BYTE_3 src1_sel:DWORD
                                        ; implicit-def: $vgpr22
	s_and_saveexec_b64 s[20:21], vcc
	s_xor_b64 s[88:89], exec, s[20:21]
	s_cbranch_execz .LBB4_391
; %bb.382:                              ;   in Loop: Header=BB4_124 Depth=2
	v_mov_b32_e32 v22, 0
	v_cmp_ne_u32_e32 vcc, 0, v5
	s_and_saveexec_b64 s[90:91], vcc
	s_cbranch_execz .LBB4_390
; %bb.383:                              ;   in Loop: Header=BB4_124 Depth=2
	v_and_b32_e32 v7, 0x7fffff, v5
	v_bfe_u32 v5, v5, 23, 8
	v_cmp_gt_u32_e64 s[20:21], s54, v5
	v_sub_u32_e32 v6, 0x79, v5
	v_cmp_eq_u32_e32 vcc, 0, v5
	v_cndmask_b32_e64 v6, 0, v6, s[20:21]
	v_or_b32_e32 v9, 0x800000, v7
	v_cndmask_b32_e32 v6, v6, v31, vcc
	v_cndmask_b32_e32 v36, v9, v7, vcc
	v_add_u32_e32 v7, 20, v6
	v_lshlrev_b64 v[9:10], v7, -1
	v_add_u32_e32 v7, 19, v6
	v_lshlrev_b64 v[14:15], v7, 1
	v_bfi_b32 v10, v10, 0, 0
	v_bfi_b32 v9, v9, 0, v36
	v_cmp_eq_u64_e64 s[20:21], v[9:10], v[14:15]
	v_lshrrev_b64 v[10:11], v6, v[36:37]
	v_mov_b32_e32 v15, v11
	v_mov_b32_e32 v14, v10
	s_and_saveexec_b64 s[92:93], s[20:21]
; %bb.384:                              ;   in Loop: Header=BB4_124 Depth=2
	v_bfe_u32 v7, v10, 20, 1
	v_add_co_u32_e64 v7, s[20:21], v10, v7
	v_add_co_u32_e64 v14, s[20:21], -1, v7
; %bb.385:                              ;   in Loop: Header=BB4_124 Depth=2
	s_or_b64 exec, exec, s[92:93]
	v_add_u32_e32 v5, 0xffffff81, v5
	v_cndmask_b32_e32 v5, v5, v62, vcc
	v_lshrrev_b32_e32 v7, 23, v10
	v_add3_u32 v7, v6, v5, v7
	v_add_u32_e32 v6, 6, v7
	v_and_b32_e32 v5, 0xfffff, v14
	v_add_u32_e32 v36, v5, v10
	v_cmp_ne_u32_e32 vcc, 0, v6
                                        ; implicit-def: $vgpr10_vgpr11
                                        ; implicit-def: $vgpr5
	s_and_saveexec_b64 s[20:21], vcc
	s_xor_b64 s[20:21], exec, s[20:21]
; %bb.386:                              ;   in Loop: Header=BB4_124 Depth=2
	v_cmp_lt_u64_e32 vcc, s[60:61], v[36:37]
	v_add_u32_e32 v5, 7, v7
	v_cndmask_b32_e32 v5, v6, v5, vcc
	v_cndmask_b32_e64 v6, 0, 1, vcc
	v_lshrrev_b64 v[10:11], v6, v[36:37]
; %bb.387:                              ;   in Loop: Header=BB4_124 Depth=2
	s_andn2_saveexec_b64 s[20:21], s[20:21]
; %bb.388:                              ;   in Loop: Header=BB4_124 Depth=2
	v_mov_b32_e32 v10, v36
	v_bfe_u32 v5, v36, 23, 1
	v_mov_b32_e32 v11, v37
; %bb.389:                              ;   in Loop: Header=BB4_124 Depth=2
	s_or_b64 exec, exec, s[20:21]
	v_lshrrev_b64 v[6:7], 20, v[10:11]
	v_cmp_gt_i32_e32 vcc, 16, v5
	v_cndmask_b32_e32 v7, 0, v7, vcc
	v_cndmask_b32_e32 v6, 7, v6, vcc
	v_cmp_eq_u32_e32 vcc, 0, v5
	v_min_i32_e32 v5, 15, v5
	v_cmp_eq_u64_e64 s[20:21], 0, v[6:7]
	v_lshlrev_b32_e32 v5, 3, v5
	v_and_b32_e32 v5, 0xf8, v5
	v_and_or_b32 v5, v6, 7, v5
	s_and_b64 s[20:21], vcc, s[20:21]
	v_cndmask_b32_e64 v5, v5, 0, s[20:21]
	v_or_b32_e32 v22, v5, v1
.LBB4_390:                              ;   in Loop: Header=BB4_124 Depth=2
	s_or_b64 exec, exec, s[90:91]
                                        ; implicit-def: $vgpr1
.LBB4_391:                              ;   in Loop: Header=BB4_124 Depth=2
	s_andn2_saveexec_b64 s[20:21], s[88:89]
; %bb.392:                              ;   in Loop: Header=BB4_124 Depth=2
	v_or_b32_e32 v22, 0x7e, v1
; %bb.393:                              ;   in Loop: Header=BB4_124 Depth=2
	s_or_b64 exec, exec, s[20:21]
                                        ; implicit-def: $vgpr5
.LBB4_394:                              ;   in Loop: Header=BB4_124 Depth=2
	s_andn2_saveexec_b64 s[20:21], s[78:79]
; %bb.395:                              ;   in Loop: Header=BB4_124 Depth=2
	v_or_b32_sdwa v22, v5, s51 dst_sel:DWORD dst_unused:UNUSED_PAD src0_sel:BYTE_3 src1_sel:DWORD
; %bb.396:                              ;   in Loop: Header=BB4_124 Depth=2
	s_or_b64 exec, exec, s[20:21]
	v_mov_b32_e32 v36, v13
	v_cmp_ne_u16_sdwa s[78:79], v13, v37 src0_sel:BYTE_0 src1_sel:DWORD
	v_mov_b32_e32 v1, 0
	s_and_saveexec_b64 s[20:21], s[78:79]
	s_cbranch_execz .LBB4_402
; %bb.397:                              ;   in Loop: Header=BB4_124 Depth=2
	v_cmp_ne_u16_sdwa s[88:89], v13, s53 src0_sel:BYTE_0 src1_sel:DWORD
	v_bfrev_b32_e32 v1, 1
	s_and_saveexec_b64 s[78:79], s[88:89]
	s_cbranch_execz .LBB4_401
; %bb.398:                              ;   in Loop: Header=BB4_124 Depth=2
	v_and_b32_e32 v5, 0x7f, v13
	v_cmp_ne_u32_e32 vcc, s51, v5
	v_mov_b32_e32 v1, 0x7f800001
	s_and_saveexec_b64 s[88:89], vcc
	s_cbranch_execz .LBB4_400
; %bb.399:                              ;   in Loop: Header=BB4_124 Depth=2
	v_and_b32_e32 v1, 7, v13
	v_ffbh_u32_e32 v1, v1
	v_min_u32_e32 v1, 32, v1
	v_lshrrev_b32_e32 v6, 3, v5
	v_cmp_gt_u32_e32 vcc, 8, v5
	v_subrev_u32_e32 v5, 28, v1
	v_sub_u32_e32 v1, 29, v1
	v_cndmask_b32_e32 v5, 0, v5, vcc
	v_cndmask_b32_e32 v1, v6, v1, vcc
	v_lshlrev_b64 v[5:6], v5, v[36:37]
	v_lshlrev_b32_e32 v6, 24, v36
	v_lshlrev_b32_e32 v5, 20, v5
	v_and_b32_e32 v5, 0x700000, v5
	v_and_b32_e32 v6, 0x80000000, v6
	v_lshl_add_u32 v1, v1, 23, v58
	v_or3_b32 v1, v6, v1, v5
.LBB4_400:                              ;   in Loop: Header=BB4_124 Depth=2
	s_or_b64 exec, exec, s[88:89]
.LBB4_401:                              ;   in Loop: Header=BB4_124 Depth=2
	s_or_b64 exec, exec, s[78:79]
.LBB4_402:                              ;   in Loop: Header=BB4_124 Depth=2
	s_or_b64 exec, exec, s[20:21]
	v_mul_f32_e32 v5, v4, v1
	v_and_b32_e32 v6, 0x7f800000, v5
	v_mov_b32_e32 v7, v37
	v_cmp_ne_u64_e32 vcc, s[56:57], v[6:7]
                                        ; implicit-def: $vgpr32
	s_and_saveexec_b64 s[20:21], vcc
	s_xor_b64 s[78:79], exec, s[20:21]
	s_cbranch_execz .LBB4_416
; %bb.403:                              ;   in Loop: Header=BB4_124 Depth=2
	v_and_b32_e32 v6, 0x7fffffff, v5
	v_mov_b32_e32 v7, v37
	v_cmp_gt_u64_e32 vcc, s[58:59], v[6:7]
	v_and_b32_sdwa v1, v5, s53 dst_sel:DWORD dst_unused:UNUSED_PAD src0_sel:BYTE_3 src1_sel:DWORD
                                        ; implicit-def: $vgpr32
	s_and_saveexec_b64 s[20:21], vcc
	s_xor_b64 s[88:89], exec, s[20:21]
	s_cbranch_execz .LBB4_413
; %bb.404:                              ;   in Loop: Header=BB4_124 Depth=2
	v_mov_b32_e32 v32, 0
	v_cmp_ne_u32_e32 vcc, 0, v5
	s_and_saveexec_b64 s[90:91], vcc
	s_cbranch_execz .LBB4_412
; %bb.405:                              ;   in Loop: Header=BB4_124 Depth=2
	v_and_b32_e32 v7, 0x7fffff, v5
	v_bfe_u32 v5, v5, 23, 8
	v_cmp_gt_u32_e64 s[20:21], s54, v5
	v_sub_u32_e32 v6, 0x79, v5
	v_cmp_eq_u32_e32 vcc, 0, v5
	v_cndmask_b32_e64 v6, 0, v6, s[20:21]
	v_or_b32_e32 v9, 0x800000, v7
	v_cndmask_b32_e32 v6, v6, v31, vcc
	v_cndmask_b32_e32 v9, v9, v7, vcc
	v_add_u32_e32 v7, 20, v6
	v_mov_b32_e32 v10, v37
	v_lshlrev_b64 v[14:15], v7, -1
	v_add_u32_e32 v7, 19, v6
	v_lshlrev_b64 v[16:17], v7, 1
	v_lshrrev_b64 v[10:11], v6, v[9:10]
	v_bfi_b32 v15, v15, 0, 0
	v_bfi_b32 v14, v14, 0, v9
	v_cmp_eq_u64_e64 s[20:21], v[14:15], v[16:17]
	v_mov_b32_e32 v15, v11
	v_mov_b32_e32 v14, v10
	s_and_saveexec_b64 s[92:93], s[20:21]
; %bb.406:                              ;   in Loop: Header=BB4_124 Depth=2
	v_bfe_u32 v7, v10, 20, 1
	v_add_co_u32_e64 v7, s[20:21], v10, v7
	v_add_co_u32_e64 v14, s[20:21], -1, v7
; %bb.407:                              ;   in Loop: Header=BB4_124 Depth=2
	s_or_b64 exec, exec, s[92:93]
	v_add_u32_e32 v5, 0xffffff81, v5
	v_cndmask_b32_e32 v5, v5, v62, vcc
	v_lshrrev_b32_e32 v7, 23, v10
	v_add3_u32 v7, v6, v5, v7
	v_add_u32_e32 v6, 6, v7
	v_and_b32_e32 v5, 0xfffff, v14
	v_add_u32_e32 v10, v5, v10
	v_mov_b32_e32 v11, v37
	v_cmp_ne_u32_e32 vcc, 0, v6
                                        ; implicit-def: $vgpr5
	s_and_saveexec_b64 s[20:21], vcc
	s_xor_b64 s[20:21], exec, s[20:21]
; %bb.408:                              ;   in Loop: Header=BB4_124 Depth=2
	v_cmp_lt_u64_e32 vcc, s[60:61], v[10:11]
	v_add_u32_e32 v5, 7, v7
	v_cndmask_b32_e32 v5, v6, v5, vcc
	v_cndmask_b32_e64 v6, 0, 1, vcc
	v_lshrrev_b64 v[10:11], v6, v[10:11]
; %bb.409:                              ;   in Loop: Header=BB4_124 Depth=2
	s_andn2_saveexec_b64 s[20:21], s[20:21]
; %bb.410:                              ;   in Loop: Header=BB4_124 Depth=2
	v_bfe_u32 v5, v10, 23, 1
; %bb.411:                              ;   in Loop: Header=BB4_124 Depth=2
	s_or_b64 exec, exec, s[20:21]
	v_lshrrev_b64 v[6:7], 20, v[10:11]
	v_cmp_gt_i32_e32 vcc, 16, v5
	v_cndmask_b32_e32 v7, 0, v7, vcc
	v_cndmask_b32_e32 v6, 7, v6, vcc
	v_cmp_eq_u32_e32 vcc, 0, v5
	v_min_i32_e32 v5, 15, v5
	v_cmp_eq_u64_e64 s[20:21], 0, v[6:7]
	v_lshlrev_b32_e32 v5, 3, v5
	v_and_b32_e32 v5, 0xf8, v5
	v_and_or_b32 v5, v6, 7, v5
	s_and_b64 s[20:21], vcc, s[20:21]
	v_cndmask_b32_e64 v5, v5, 0, s[20:21]
	v_or_b32_e32 v32, v5, v1
.LBB4_412:                              ;   in Loop: Header=BB4_124 Depth=2
	s_or_b64 exec, exec, s[90:91]
                                        ; implicit-def: $vgpr1
.LBB4_413:                              ;   in Loop: Header=BB4_124 Depth=2
	s_andn2_saveexec_b64 s[20:21], s[88:89]
; %bb.414:                              ;   in Loop: Header=BB4_124 Depth=2
	v_or_b32_e32 v32, 0x7e, v1
; %bb.415:                              ;   in Loop: Header=BB4_124 Depth=2
	s_or_b64 exec, exec, s[20:21]
                                        ; implicit-def: $vgpr5
.LBB4_416:                              ;   in Loop: Header=BB4_124 Depth=2
	s_andn2_saveexec_b64 s[20:21], s[78:79]
; %bb.417:                              ;   in Loop: Header=BB4_124 Depth=2
	v_or_b32_sdwa v32, v5, s51 dst_sel:DWORD dst_unused:UNUSED_PAD src0_sel:BYTE_3 src1_sel:DWORD
; %bb.418:                              ;   in Loop: Header=BB4_124 Depth=2
	s_or_b64 exec, exec, s[20:21]
	v_lshrrev_b16_e32 v10, 8, v36
	v_cmp_ne_u16_e32 vcc, 0, v10
	v_mov_b32_e32 v1, 0
	s_and_saveexec_b64 s[20:21], vcc
	s_cbranch_execz .LBB4_424
; %bb.419:                              ;   in Loop: Header=BB4_124 Depth=2
	v_cmp_ne_u16_e32 vcc, s53, v10
	v_bfrev_b32_e32 v1, 1
	s_and_saveexec_b64 s[78:79], vcc
	s_cbranch_execz .LBB4_423
; %bb.420:                              ;   in Loop: Header=BB4_124 Depth=2
	v_and_b32_e32 v5, 0x7f, v10
	v_cmp_ne_u32_e32 vcc, s51, v5
	v_mov_b32_e32 v1, 0x7f800001
	s_and_saveexec_b64 s[88:89], vcc
	s_cbranch_execz .LBB4_422
; %bb.421:                              ;   in Loop: Header=BB4_124 Depth=2
	v_and_b32_e32 v1, 7, v10
	v_lshrrev_b32_e32 v7, 3, v5
	v_cmp_gt_u32_e32 vcc, 8, v5
	v_ffbh_u32_e32 v5, v1
	v_min_u32_e32 v9, 32, v5
	v_subrev_u32_e32 v5, 28, v9
	v_lshlrev_b64 v[5:6], v5, v[10:11]
	v_sub_u32_e32 v6, 29, v9
	v_and_b32_e32 v5, 7, v5
	v_cndmask_b32_e32 v6, v7, v6, vcc
	v_cndmask_b32_e32 v1, v1, v5, vcc
	v_lshlrev_b32_e32 v5, 16, v36
	v_lshlrev_b32_e32 v1, 20, v1
	v_and_b32_e32 v5, 0x80000000, v5
	v_lshl_add_u32 v6, v6, 23, v58
	v_or3_b32 v1, v5, v6, v1
.LBB4_422:                              ;   in Loop: Header=BB4_124 Depth=2
	s_or_b64 exec, exec, s[88:89]
.LBB4_423:                              ;   in Loop: Header=BB4_124 Depth=2
	s_or_b64 exec, exec, s[78:79]
.LBB4_424:                              ;   in Loop: Header=BB4_124 Depth=2
	s_or_b64 exec, exec, s[20:21]
	v_mul_f32_e32 v5, v4, v1
	v_and_b32_e32 v36, 0x7f800000, v5
	v_cmp_ne_u64_e32 vcc, s[56:57], v[36:37]
                                        ; implicit-def: $vgpr20
	s_and_saveexec_b64 s[20:21], vcc
	s_xor_b64 s[78:79], exec, s[20:21]
	s_cbranch_execz .LBB4_438
; %bb.425:                              ;   in Loop: Header=BB4_124 Depth=2
	v_and_b32_e32 v36, 0x7fffffff, v5
	v_cmp_gt_u64_e32 vcc, s[58:59], v[36:37]
	v_and_b32_sdwa v1, v5, s53 dst_sel:DWORD dst_unused:UNUSED_PAD src0_sel:BYTE_3 src1_sel:DWORD
                                        ; implicit-def: $vgpr20
	s_and_saveexec_b64 s[20:21], vcc
	s_xor_b64 s[88:89], exec, s[20:21]
	s_cbranch_execz .LBB4_435
; %bb.426:                              ;   in Loop: Header=BB4_124 Depth=2
	v_mov_b32_e32 v20, 0
	v_cmp_ne_u32_e32 vcc, 0, v5
	s_and_saveexec_b64 s[90:91], vcc
	s_cbranch_execz .LBB4_434
; %bb.427:                              ;   in Loop: Header=BB4_124 Depth=2
	v_and_b32_e32 v7, 0x7fffff, v5
	v_bfe_u32 v5, v5, 23, 8
	v_cmp_gt_u32_e64 s[20:21], s54, v5
	v_sub_u32_e32 v6, 0x79, v5
	v_cmp_eq_u32_e32 vcc, 0, v5
	v_cndmask_b32_e64 v6, 0, v6, s[20:21]
	v_or_b32_e32 v9, 0x800000, v7
	v_cndmask_b32_e32 v6, v6, v31, vcc
	v_cndmask_b32_e32 v36, v9, v7, vcc
	v_add_u32_e32 v7, 20, v6
	v_lshlrev_b64 v[9:10], v7, -1
	v_add_u32_e32 v7, 19, v6
	v_lshlrev_b64 v[14:15], v7, 1
	v_bfi_b32 v10, v10, 0, 0
	v_bfi_b32 v9, v9, 0, v36
	v_cmp_eq_u64_e64 s[20:21], v[9:10], v[14:15]
	v_lshrrev_b64 v[10:11], v6, v[36:37]
	v_mov_b32_e32 v15, v11
	v_mov_b32_e32 v14, v10
	s_and_saveexec_b64 s[92:93], s[20:21]
; %bb.428:                              ;   in Loop: Header=BB4_124 Depth=2
	v_bfe_u32 v7, v10, 20, 1
	v_add_co_u32_e64 v7, s[20:21], v10, v7
	v_add_co_u32_e64 v14, s[20:21], -1, v7
; %bb.429:                              ;   in Loop: Header=BB4_124 Depth=2
	s_or_b64 exec, exec, s[92:93]
	v_add_u32_e32 v5, 0xffffff81, v5
	v_cndmask_b32_e32 v5, v5, v62, vcc
	v_lshrrev_b32_e32 v7, 23, v10
	v_add3_u32 v7, v6, v5, v7
	v_add_u32_e32 v6, 6, v7
	v_and_b32_e32 v5, 0xfffff, v14
	v_add_u32_e32 v36, v5, v10
	v_cmp_ne_u32_e32 vcc, 0, v6
                                        ; implicit-def: $vgpr10_vgpr11
                                        ; implicit-def: $vgpr5
	s_and_saveexec_b64 s[20:21], vcc
	s_xor_b64 s[20:21], exec, s[20:21]
; %bb.430:                              ;   in Loop: Header=BB4_124 Depth=2
	v_cmp_lt_u64_e32 vcc, s[60:61], v[36:37]
	v_add_u32_e32 v5, 7, v7
	v_cndmask_b32_e32 v5, v6, v5, vcc
	v_cndmask_b32_e64 v6, 0, 1, vcc
	v_lshrrev_b64 v[10:11], v6, v[36:37]
; %bb.431:                              ;   in Loop: Header=BB4_124 Depth=2
	s_andn2_saveexec_b64 s[20:21], s[20:21]
; %bb.432:                              ;   in Loop: Header=BB4_124 Depth=2
	v_mov_b32_e32 v10, v36
	v_bfe_u32 v5, v36, 23, 1
	v_mov_b32_e32 v11, v37
; %bb.433:                              ;   in Loop: Header=BB4_124 Depth=2
	s_or_b64 exec, exec, s[20:21]
	v_lshrrev_b64 v[6:7], 20, v[10:11]
	v_cmp_gt_i32_e32 vcc, 16, v5
	v_cndmask_b32_e32 v7, 0, v7, vcc
	v_cndmask_b32_e32 v6, 7, v6, vcc
	v_cmp_eq_u32_e32 vcc, 0, v5
	v_min_i32_e32 v5, 15, v5
	v_cmp_eq_u64_e64 s[20:21], 0, v[6:7]
	v_lshlrev_b32_e32 v5, 3, v5
	v_and_b32_e32 v5, 0xf8, v5
	v_and_or_b32 v5, v6, 7, v5
	s_and_b64 s[20:21], vcc, s[20:21]
	v_cndmask_b32_e64 v5, v5, 0, s[20:21]
	v_or_b32_e32 v20, v5, v1
.LBB4_434:                              ;   in Loop: Header=BB4_124 Depth=2
	s_or_b64 exec, exec, s[90:91]
                                        ; implicit-def: $vgpr1
.LBB4_435:                              ;   in Loop: Header=BB4_124 Depth=2
	s_andn2_saveexec_b64 s[20:21], s[88:89]
; %bb.436:                              ;   in Loop: Header=BB4_124 Depth=2
	v_or_b32_e32 v20, 0x7e, v1
; %bb.437:                              ;   in Loop: Header=BB4_124 Depth=2
	s_or_b64 exec, exec, s[20:21]
                                        ; implicit-def: $vgpr5
.LBB4_438:                              ;   in Loop: Header=BB4_124 Depth=2
	s_andn2_saveexec_b64 s[20:21], s[78:79]
; %bb.439:                              ;   in Loop: Header=BB4_124 Depth=2
	v_or_b32_sdwa v20, v5, s51 dst_sel:DWORD dst_unused:UNUSED_PAD src0_sel:BYTE_3 src1_sel:DWORD
; %bb.440:                              ;   in Loop: Header=BB4_124 Depth=2
	s_or_b64 exec, exec, s[20:21]
	v_lshrrev_b32_e32 v10, 16, v13
	v_cmp_ne_u16_sdwa s[78:79], v10, v37 src0_sel:BYTE_0 src1_sel:DWORD
	v_mov_b32_e32 v1, 0
	s_and_saveexec_b64 s[20:21], s[78:79]
	s_cbranch_execz .LBB4_446
; %bb.441:                              ;   in Loop: Header=BB4_124 Depth=2
	v_cmp_ne_u16_sdwa s[88:89], v10, s53 src0_sel:BYTE_0 src1_sel:DWORD
	v_bfrev_b32_e32 v1, 1
	s_and_saveexec_b64 s[78:79], s[88:89]
	s_cbranch_execz .LBB4_445
; %bb.442:                              ;   in Loop: Header=BB4_124 Depth=2
	v_bfe_u32 v5, v13, 16, 7
	v_cmp_ne_u32_e32 vcc, s51, v5
	v_mov_b32_e32 v1, 0x7f800001
	s_and_saveexec_b64 s[88:89], vcc
	s_cbranch_execz .LBB4_444
; %bb.443:                              ;   in Loop: Header=BB4_124 Depth=2
	v_and_b32_e32 v1, 7, v10
	v_lshrrev_b32_e32 v7, 3, v5
	v_cmp_gt_u32_e32 vcc, 8, v5
	v_ffbh_u32_e32 v5, v1
	v_min_u32_e32 v9, 32, v5
	v_subrev_u32_e32 v5, 28, v9
	v_lshlrev_b64 v[5:6], v5, v[10:11]
	v_sub_u32_e32 v6, 29, v9
	v_and_b32_e32 v5, 7, v5
	v_cndmask_b32_e32 v6, v7, v6, vcc
	v_cndmask_b32_e32 v1, v1, v5, vcc
	v_lshlrev_b32_e32 v5, 24, v10
	v_lshlrev_b32_e32 v1, 20, v1
	v_and_b32_e32 v5, 0x80000000, v5
	v_lshl_add_u32 v6, v6, 23, v58
	v_or3_b32 v1, v5, v6, v1
.LBB4_444:                              ;   in Loop: Header=BB4_124 Depth=2
	s_or_b64 exec, exec, s[88:89]
.LBB4_445:                              ;   in Loop: Header=BB4_124 Depth=2
	s_or_b64 exec, exec, s[78:79]
.LBB4_446:                              ;   in Loop: Header=BB4_124 Depth=2
	s_or_b64 exec, exec, s[20:21]
	v_mul_f32_e32 v5, v4, v1
	v_and_b32_e32 v36, 0x7f800000, v5
	v_cmp_ne_u64_e32 vcc, s[56:57], v[36:37]
                                        ; implicit-def: $vgpr52
	s_and_saveexec_b64 s[20:21], vcc
	s_xor_b64 s[78:79], exec, s[20:21]
	s_cbranch_execz .LBB4_460
; %bb.447:                              ;   in Loop: Header=BB4_124 Depth=2
	v_and_b32_e32 v36, 0x7fffffff, v5
	v_cmp_gt_u64_e32 vcc, s[58:59], v[36:37]
	v_and_b32_sdwa v1, v5, s53 dst_sel:DWORD dst_unused:UNUSED_PAD src0_sel:BYTE_3 src1_sel:DWORD
                                        ; implicit-def: $vgpr52
	s_and_saveexec_b64 s[20:21], vcc
	s_xor_b64 s[88:89], exec, s[20:21]
	s_cbranch_execz .LBB4_457
; %bb.448:                              ;   in Loop: Header=BB4_124 Depth=2
	v_mov_b32_e32 v52, 0
	v_cmp_ne_u32_e32 vcc, 0, v5
	s_and_saveexec_b64 s[90:91], vcc
	s_cbranch_execz .LBB4_456
; %bb.449:                              ;   in Loop: Header=BB4_124 Depth=2
	v_and_b32_e32 v7, 0x7fffff, v5
	v_bfe_u32 v5, v5, 23, 8
	v_cmp_gt_u32_e64 s[20:21], s54, v5
	v_sub_u32_e32 v6, 0x79, v5
	v_cmp_eq_u32_e32 vcc, 0, v5
	v_cndmask_b32_e64 v6, 0, v6, s[20:21]
	v_or_b32_e32 v9, 0x800000, v7
	v_cndmask_b32_e32 v6, v6, v31, vcc
	v_cndmask_b32_e32 v36, v9, v7, vcc
	v_add_u32_e32 v7, 20, v6
	v_lshlrev_b64 v[9:10], v7, -1
	v_add_u32_e32 v7, 19, v6
	v_lshlrev_b64 v[14:15], v7, 1
	v_bfi_b32 v10, v10, 0, 0
	v_bfi_b32 v9, v9, 0, v36
	v_cmp_eq_u64_e64 s[20:21], v[9:10], v[14:15]
	v_lshrrev_b64 v[10:11], v6, v[36:37]
	v_mov_b32_e32 v15, v11
	v_mov_b32_e32 v14, v10
	s_and_saveexec_b64 s[92:93], s[20:21]
; %bb.450:                              ;   in Loop: Header=BB4_124 Depth=2
	v_bfe_u32 v7, v10, 20, 1
	v_add_co_u32_e64 v7, s[20:21], v10, v7
	v_add_co_u32_e64 v14, s[20:21], -1, v7
; %bb.451:                              ;   in Loop: Header=BB4_124 Depth=2
	s_or_b64 exec, exec, s[92:93]
	v_add_u32_e32 v5, 0xffffff81, v5
	v_cndmask_b32_e32 v5, v5, v62, vcc
	v_lshrrev_b32_e32 v7, 23, v10
	v_add3_u32 v7, v6, v5, v7
	v_add_u32_e32 v6, 6, v7
	v_and_b32_e32 v5, 0xfffff, v14
	v_add_u32_e32 v36, v5, v10
	v_cmp_ne_u32_e32 vcc, 0, v6
                                        ; implicit-def: $vgpr10_vgpr11
                                        ; implicit-def: $vgpr5
	s_and_saveexec_b64 s[20:21], vcc
	s_xor_b64 s[20:21], exec, s[20:21]
; %bb.452:                              ;   in Loop: Header=BB4_124 Depth=2
	v_cmp_lt_u64_e32 vcc, s[60:61], v[36:37]
	v_add_u32_e32 v5, 7, v7
	v_cndmask_b32_e32 v5, v6, v5, vcc
	v_cndmask_b32_e64 v6, 0, 1, vcc
	v_lshrrev_b64 v[10:11], v6, v[36:37]
; %bb.453:                              ;   in Loop: Header=BB4_124 Depth=2
	s_andn2_saveexec_b64 s[20:21], s[20:21]
; %bb.454:                              ;   in Loop: Header=BB4_124 Depth=2
	v_mov_b32_e32 v10, v36
	v_bfe_u32 v5, v36, 23, 1
	v_mov_b32_e32 v11, v37
; %bb.455:                              ;   in Loop: Header=BB4_124 Depth=2
	s_or_b64 exec, exec, s[20:21]
	v_lshrrev_b64 v[6:7], 20, v[10:11]
	v_cmp_gt_i32_e32 vcc, 16, v5
	v_cndmask_b32_e32 v7, 0, v7, vcc
	v_cndmask_b32_e32 v6, 7, v6, vcc
	v_cmp_eq_u32_e32 vcc, 0, v5
	v_min_i32_e32 v5, 15, v5
	v_cmp_eq_u64_e64 s[20:21], 0, v[6:7]
	v_lshlrev_b32_e32 v5, 3, v5
	v_and_b32_e32 v5, 0xf8, v5
	v_and_or_b32 v5, v6, 7, v5
	s_and_b64 s[20:21], vcc, s[20:21]
	v_cndmask_b32_e64 v5, v5, 0, s[20:21]
	v_or_b32_e32 v52, v5, v1
.LBB4_456:                              ;   in Loop: Header=BB4_124 Depth=2
	s_or_b64 exec, exec, s[90:91]
                                        ; implicit-def: $vgpr1
.LBB4_457:                              ;   in Loop: Header=BB4_124 Depth=2
	s_andn2_saveexec_b64 s[20:21], s[88:89]
; %bb.458:                              ;   in Loop: Header=BB4_124 Depth=2
	v_or_b32_e32 v52, 0x7e, v1
; %bb.459:                              ;   in Loop: Header=BB4_124 Depth=2
	s_or_b64 exec, exec, s[20:21]
                                        ; implicit-def: $vgpr5
.LBB4_460:                              ;   in Loop: Header=BB4_124 Depth=2
	s_andn2_saveexec_b64 s[20:21], s[78:79]
; %bb.461:                              ;   in Loop: Header=BB4_124 Depth=2
	v_or_b32_sdwa v52, v5, s51 dst_sel:DWORD dst_unused:UNUSED_PAD src0_sel:BYTE_3 src1_sel:DWORD
; %bb.462:                              ;   in Loop: Header=BB4_124 Depth=2
	s_or_b64 exec, exec, s[20:21]
	v_cmp_lt_u64_e32 vcc, s[62:63], v[12:13]
	v_mov_b32_e32 v1, 0
	s_and_saveexec_b64 s[20:21], vcc
	s_cbranch_execz .LBB4_468
; %bb.463:                              ;   in Loop: Header=BB4_124 Depth=2
	v_lshrrev_b32_e32 v10, 24, v13
	v_cmp_ne_u32_e32 vcc, s53, v10
	v_bfrev_b32_e32 v1, 1
	s_and_saveexec_b64 s[78:79], vcc
	s_cbranch_execz .LBB4_467
; %bb.464:                              ;   in Loop: Header=BB4_124 Depth=2
	v_bfe_u32 v5, v13, 24, 7
	v_cmp_ne_u32_e32 vcc, s51, v5
	v_mov_b32_e32 v1, 0x7f800001
	s_and_saveexec_b64 s[88:89], vcc
	s_cbranch_execz .LBB4_466
; %bb.465:                              ;   in Loop: Header=BB4_124 Depth=2
	v_and_b32_e32 v1, 7, v10
	v_lshrrev_b32_e32 v7, 3, v5
	v_cmp_gt_u32_e32 vcc, 8, v5
	v_ffbh_u32_e32 v5, v1
	v_min_u32_e32 v9, 32, v5
	v_subrev_u32_e32 v5, 28, v9
	v_lshlrev_b64 v[5:6], v5, v[10:11]
	v_sub_u32_e32 v6, 29, v9
	v_and_b32_e32 v5, 7, v5
	v_cndmask_b32_e32 v6, v7, v6, vcc
	v_cndmask_b32_e32 v1, v1, v5, vcc
	v_lshlrev_b32_e32 v5, 24, v10
	v_lshlrev_b32_e32 v1, 20, v1
	v_and_b32_e32 v5, 0x80000000, v5
	v_lshl_add_u32 v6, v6, 23, v58
	v_or3_b32 v1, v5, v6, v1
.LBB4_466:                              ;   in Loop: Header=BB4_124 Depth=2
	s_or_b64 exec, exec, s[88:89]
.LBB4_467:                              ;   in Loop: Header=BB4_124 Depth=2
	s_or_b64 exec, exec, s[78:79]
.LBB4_468:                              ;   in Loop: Header=BB4_124 Depth=2
	s_or_b64 exec, exec, s[20:21]
	v_mul_f32_e32 v5, v4, v1
	v_and_b32_e32 v36, 0x7f800000, v5
	v_cmp_ne_u64_e32 vcc, s[56:57], v[36:37]
                                        ; implicit-def: $vgpr59
	s_and_saveexec_b64 s[20:21], vcc
	s_xor_b64 s[78:79], exec, s[20:21]
	s_cbranch_execz .LBB4_482
; %bb.469:                              ;   in Loop: Header=BB4_124 Depth=2
	v_and_b32_e32 v36, 0x7fffffff, v5
	v_cmp_gt_u64_e32 vcc, s[58:59], v[36:37]
	v_and_b32_sdwa v1, v5, s53 dst_sel:DWORD dst_unused:UNUSED_PAD src0_sel:BYTE_3 src1_sel:DWORD
                                        ; implicit-def: $vgpr59
	s_and_saveexec_b64 s[20:21], vcc
	s_xor_b64 s[88:89], exec, s[20:21]
	s_cbranch_execz .LBB4_479
; %bb.470:                              ;   in Loop: Header=BB4_124 Depth=2
	v_mov_b32_e32 v59, 0
	v_cmp_ne_u32_e32 vcc, 0, v5
	s_and_saveexec_b64 s[90:91], vcc
	s_cbranch_execz .LBB4_478
; %bb.471:                              ;   in Loop: Header=BB4_124 Depth=2
	v_and_b32_e32 v7, 0x7fffff, v5
	v_bfe_u32 v5, v5, 23, 8
	v_cmp_gt_u32_e64 s[20:21], s54, v5
	v_sub_u32_e32 v6, 0x79, v5
	v_cmp_eq_u32_e32 vcc, 0, v5
	v_cndmask_b32_e64 v6, 0, v6, s[20:21]
	v_or_b32_e32 v9, 0x800000, v7
	v_cndmask_b32_e32 v6, v6, v31, vcc
	v_cndmask_b32_e32 v36, v9, v7, vcc
	v_add_u32_e32 v7, 20, v6
	v_lshlrev_b64 v[9:10], v7, -1
	v_add_u32_e32 v7, 19, v6
	v_lshlrev_b64 v[11:12], v7, 1
	v_bfi_b32 v10, v10, 0, 0
	v_bfi_b32 v9, v9, 0, v36
	v_cmp_eq_u64_e64 s[20:21], v[9:10], v[11:12]
	v_lshrrev_b64 v[10:11], v6, v[36:37]
	v_mov_b32_e32 v12, v11
	v_mov_b32_e32 v11, v10
	s_and_saveexec_b64 s[92:93], s[20:21]
; %bb.472:                              ;   in Loop: Header=BB4_124 Depth=2
	v_bfe_u32 v7, v10, 20, 1
	v_add_co_u32_e64 v7, s[20:21], v10, v7
	v_add_co_u32_e64 v11, s[20:21], -1, v7
; %bb.473:                              ;   in Loop: Header=BB4_124 Depth=2
	s_or_b64 exec, exec, s[92:93]
	v_add_u32_e32 v5, 0xffffff81, v5
	v_cndmask_b32_e32 v5, v5, v62, vcc
	v_lshrrev_b32_e32 v7, 23, v10
	v_add3_u32 v7, v6, v5, v7
	v_add_u32_e32 v6, 6, v7
	v_and_b32_e32 v5, 0xfffff, v11
	v_add_u32_e32 v36, v5, v10
	v_cmp_ne_u32_e32 vcc, 0, v6
                                        ; implicit-def: $vgpr10_vgpr11
                                        ; implicit-def: $vgpr5
	s_and_saveexec_b64 s[20:21], vcc
	s_xor_b64 s[20:21], exec, s[20:21]
; %bb.474:                              ;   in Loop: Header=BB4_124 Depth=2
	v_cmp_lt_u64_e32 vcc, s[60:61], v[36:37]
	v_add_u32_e32 v5, 7, v7
	v_cndmask_b32_e32 v5, v6, v5, vcc
	v_cndmask_b32_e64 v6, 0, 1, vcc
	v_lshrrev_b64 v[10:11], v6, v[36:37]
; %bb.475:                              ;   in Loop: Header=BB4_124 Depth=2
	s_andn2_saveexec_b64 s[20:21], s[20:21]
; %bb.476:                              ;   in Loop: Header=BB4_124 Depth=2
	v_mov_b32_e32 v10, v36
	v_bfe_u32 v5, v36, 23, 1
	v_mov_b32_e32 v11, v37
; %bb.477:                              ;   in Loop: Header=BB4_124 Depth=2
	s_or_b64 exec, exec, s[20:21]
	v_lshrrev_b64 v[6:7], 20, v[10:11]
	v_cmp_gt_i32_e32 vcc, 16, v5
	v_cndmask_b32_e32 v7, 0, v7, vcc
	v_cndmask_b32_e32 v6, 7, v6, vcc
	v_cmp_eq_u32_e32 vcc, 0, v5
	v_min_i32_e32 v5, 15, v5
	v_cmp_eq_u64_e64 s[20:21], 0, v[6:7]
	v_lshlrev_b32_e32 v5, 3, v5
	v_and_b32_e32 v5, 0xf8, v5
	v_and_or_b32 v5, v6, 7, v5
	s_and_b64 s[20:21], vcc, s[20:21]
	v_cndmask_b32_e64 v5, v5, 0, s[20:21]
	v_or_b32_e32 v59, v5, v1
.LBB4_478:                              ;   in Loop: Header=BB4_124 Depth=2
	s_or_b64 exec, exec, s[90:91]
                                        ; implicit-def: $vgpr1
.LBB4_479:                              ;   in Loop: Header=BB4_124 Depth=2
	s_andn2_saveexec_b64 s[20:21], s[88:89]
; %bb.480:                              ;   in Loop: Header=BB4_124 Depth=2
	v_or_b32_e32 v59, 0x7e, v1
; %bb.481:                              ;   in Loop: Header=BB4_124 Depth=2
	s_or_b64 exec, exec, s[20:21]
                                        ; implicit-def: $vgpr5
.LBB4_482:                              ;   in Loop: Header=BB4_124 Depth=2
	s_andn2_saveexec_b64 s[20:21], s[78:79]
; %bb.483:                              ;   in Loop: Header=BB4_124 Depth=2
	v_or_b32_sdwa v59, v5, s51 dst_sel:DWORD dst_unused:UNUSED_PAD src0_sel:BYTE_3 src1_sel:DWORD
; %bb.484:                              ;   in Loop: Header=BB4_124 Depth=2
	s_or_b64 exec, exec, s[20:21]
	global_load_dwordx4 v[10:13], v[54:55], off offset:1024 glc slc
	v_mov_b32_e32 v1, 0
	s_waitcnt vmcnt(0)
	v_cmp_ne_u16_sdwa s[78:79], v10, v37 src0_sel:BYTE_0 src1_sel:DWORD
	s_and_saveexec_b64 s[20:21], s[78:79]
	s_cbranch_execz .LBB4_490
; %bb.485:                              ;   in Loop: Header=BB4_124 Depth=2
	v_cmp_ne_u16_sdwa s[88:89], v10, s53 src0_sel:BYTE_0 src1_sel:DWORD
	v_bfrev_b32_e32 v1, 1
	s_and_saveexec_b64 s[78:79], s[88:89]
	s_cbranch_execz .LBB4_489
; %bb.486:                              ;   in Loop: Header=BB4_124 Depth=2
	v_and_b32_e32 v5, 0x7f, v10
	v_cmp_ne_u32_e32 vcc, s51, v5
	v_mov_b32_e32 v1, 0x7f800001
	s_and_saveexec_b64 s[88:89], vcc
	s_cbranch_execz .LBB4_488
; %bb.487:                              ;   in Loop: Header=BB4_124 Depth=2
	v_and_b32_e32 v1, 7, v10
	v_ffbh_u32_e32 v1, v1
	v_min_u32_e32 v1, 32, v1
	v_lshrrev_b32_e32 v6, 3, v5
	v_cmp_gt_u32_e32 vcc, 8, v5
	v_subrev_u32_e32 v5, 28, v1
	v_sub_u32_e32 v1, 29, v1
	v_cndmask_b32_e32 v5, 0, v5, vcc
	v_cndmask_b32_e32 v1, v6, v1, vcc
	v_lshlrev_b64 v[5:6], v5, v[10:11]
	v_lshlrev_b32_e32 v6, 24, v10
	v_lshlrev_b32_e32 v5, 20, v5
	v_and_b32_e32 v5, 0x700000, v5
	v_and_b32_e32 v6, 0x80000000, v6
	v_lshl_add_u32 v1, v1, 23, v58
	v_or3_b32 v1, v6, v1, v5
.LBB4_488:                              ;   in Loop: Header=BB4_124 Depth=2
	s_or_b64 exec, exec, s[88:89]
.LBB4_489:                              ;   in Loop: Header=BB4_124 Depth=2
	s_or_b64 exec, exec, s[78:79]
.LBB4_490:                              ;   in Loop: Header=BB4_124 Depth=2
	s_or_b64 exec, exec, s[20:21]
	v_mul_f32_e32 v5, v4, v1
	v_and_b32_e32 v36, 0x7f800000, v5
	v_cmp_ne_u64_e32 vcc, s[56:57], v[36:37]
                                        ; implicit-def: $vgpr19
	s_and_saveexec_b64 s[20:21], vcc
	s_xor_b64 s[78:79], exec, s[20:21]
	s_cbranch_execz .LBB4_504
; %bb.491:                              ;   in Loop: Header=BB4_124 Depth=2
	v_and_b32_e32 v36, 0x7fffffff, v5
	v_cmp_gt_u64_e32 vcc, s[58:59], v[36:37]
	v_and_b32_sdwa v1, v5, s53 dst_sel:DWORD dst_unused:UNUSED_PAD src0_sel:BYTE_3 src1_sel:DWORD
                                        ; implicit-def: $vgpr19
	s_and_saveexec_b64 s[20:21], vcc
	s_xor_b64 s[88:89], exec, s[20:21]
	s_cbranch_execz .LBB4_501
; %bb.492:                              ;   in Loop: Header=BB4_124 Depth=2
	v_mov_b32_e32 v19, 0
	v_cmp_ne_u32_e32 vcc, 0, v5
	s_and_saveexec_b64 s[90:91], vcc
	s_cbranch_execz .LBB4_500
; %bb.493:                              ;   in Loop: Header=BB4_124 Depth=2
	v_and_b32_e32 v7, 0x7fffff, v5
	v_bfe_u32 v5, v5, 23, 8
	v_cmp_gt_u32_e64 s[20:21], s54, v5
	v_sub_u32_e32 v6, 0x79, v5
	v_cmp_eq_u32_e32 vcc, 0, v5
	v_cndmask_b32_e64 v6, 0, v6, s[20:21]
	v_or_b32_e32 v9, 0x800000, v7
	v_cndmask_b32_e32 v6, v6, v31, vcc
	v_cndmask_b32_e32 v36, v9, v7, vcc
	v_add_u32_e32 v7, 20, v6
	v_lshlrev_b64 v[14:15], v7, -1
	v_add_u32_e32 v7, 19, v6
	v_lshlrev_b64 v[16:17], v7, 1
	v_bfi_b32 v15, v15, 0, 0
	v_bfi_b32 v14, v14, 0, v36
	v_cmp_eq_u64_e64 s[20:21], v[14:15], v[16:17]
	v_lshrrev_b64 v[14:15], v6, v[36:37]
	v_mov_b32_e32 v16, v15
	v_mov_b32_e32 v15, v14
	s_and_saveexec_b64 s[92:93], s[20:21]
; %bb.494:                              ;   in Loop: Header=BB4_124 Depth=2
	v_bfe_u32 v7, v14, 20, 1
	v_add_co_u32_e64 v7, s[20:21], v14, v7
	v_add_co_u32_e64 v15, s[20:21], -1, v7
; %bb.495:                              ;   in Loop: Header=BB4_124 Depth=2
	s_or_b64 exec, exec, s[92:93]
	v_add_u32_e32 v5, 0xffffff81, v5
	v_cndmask_b32_e32 v5, v5, v62, vcc
	v_lshrrev_b32_e32 v7, 23, v14
	v_add3_u32 v7, v6, v5, v7
	v_add_u32_e32 v6, 6, v7
	v_and_b32_e32 v5, 0xfffff, v15
	v_add_u32_e32 v36, v5, v14
	v_cmp_ne_u32_e32 vcc, 0, v6
                                        ; implicit-def: $vgpr14_vgpr15
                                        ; implicit-def: $vgpr5
	s_and_saveexec_b64 s[20:21], vcc
	s_xor_b64 s[20:21], exec, s[20:21]
; %bb.496:                              ;   in Loop: Header=BB4_124 Depth=2
	v_cmp_lt_u64_e32 vcc, s[60:61], v[36:37]
	v_add_u32_e32 v5, 7, v7
	v_cndmask_b32_e32 v5, v6, v5, vcc
	v_cndmask_b32_e64 v6, 0, 1, vcc
	v_lshrrev_b64 v[14:15], v6, v[36:37]
; %bb.497:                              ;   in Loop: Header=BB4_124 Depth=2
	s_andn2_saveexec_b64 s[20:21], s[20:21]
; %bb.498:                              ;   in Loop: Header=BB4_124 Depth=2
	v_mov_b32_e32 v14, v36
	v_bfe_u32 v5, v36, 23, 1
	v_mov_b32_e32 v15, v37
; %bb.499:                              ;   in Loop: Header=BB4_124 Depth=2
	s_or_b64 exec, exec, s[20:21]
	v_lshrrev_b64 v[6:7], 20, v[14:15]
	v_cmp_gt_i32_e32 vcc, 16, v5
	v_cndmask_b32_e32 v7, 0, v7, vcc
	v_cndmask_b32_e32 v6, 7, v6, vcc
	v_cmp_eq_u32_e32 vcc, 0, v5
	v_min_i32_e32 v5, 15, v5
	v_cmp_eq_u64_e64 s[20:21], 0, v[6:7]
	v_lshlrev_b32_e32 v5, 3, v5
	v_and_b32_e32 v5, 0xf8, v5
	v_and_or_b32 v5, v6, 7, v5
	s_and_b64 s[20:21], vcc, s[20:21]
	v_cndmask_b32_e64 v5, v5, 0, s[20:21]
	v_or_b32_e32 v19, v5, v1
.LBB4_500:                              ;   in Loop: Header=BB4_124 Depth=2
	s_or_b64 exec, exec, s[90:91]
                                        ; implicit-def: $vgpr1
.LBB4_501:                              ;   in Loop: Header=BB4_124 Depth=2
	s_andn2_saveexec_b64 s[20:21], s[88:89]
; %bb.502:                              ;   in Loop: Header=BB4_124 Depth=2
	v_or_b32_e32 v19, 0x7e, v1
; %bb.503:                              ;   in Loop: Header=BB4_124 Depth=2
	s_or_b64 exec, exec, s[20:21]
                                        ; implicit-def: $vgpr5
.LBB4_504:                              ;   in Loop: Header=BB4_124 Depth=2
	s_andn2_saveexec_b64 s[20:21], s[78:79]
; %bb.505:                              ;   in Loop: Header=BB4_124 Depth=2
	v_or_b32_sdwa v19, v5, s51 dst_sel:DWORD dst_unused:UNUSED_PAD src0_sel:BYTE_3 src1_sel:DWORD
; %bb.506:                              ;   in Loop: Header=BB4_124 Depth=2
	s_or_b64 exec, exec, s[20:21]
	v_lshrrev_b16_e32 v14, 8, v10
	v_cmp_ne_u16_e32 vcc, 0, v14
	v_mov_b32_e32 v1, 0
	s_and_saveexec_b64 s[20:21], vcc
	s_cbranch_execz .LBB4_512
; %bb.507:                              ;   in Loop: Header=BB4_124 Depth=2
	v_cmp_ne_u16_e32 vcc, s53, v14
	v_bfrev_b32_e32 v1, 1
	s_and_saveexec_b64 s[78:79], vcc
	s_cbranch_execz .LBB4_511
; %bb.508:                              ;   in Loop: Header=BB4_124 Depth=2
	v_and_b32_e32 v5, 0x7f, v14
	v_cmp_ne_u32_e32 vcc, s51, v5
	v_mov_b32_e32 v1, 0x7f800001
	s_and_saveexec_b64 s[88:89], vcc
	s_cbranch_execz .LBB4_510
; %bb.509:                              ;   in Loop: Header=BB4_124 Depth=2
	v_and_b32_e32 v1, 7, v14
	v_lshrrev_b32_e32 v7, 3, v5
	v_cmp_gt_u32_e32 vcc, 8, v5
	v_ffbh_u32_e32 v5, v1
	v_min_u32_e32 v9, 32, v5
	v_subrev_u32_e32 v5, 28, v9
	v_lshlrev_b64 v[5:6], v5, v[14:15]
	v_sub_u32_e32 v6, 29, v9
	v_and_b32_e32 v5, 7, v5
	v_cndmask_b32_e32 v6, v7, v6, vcc
	v_cndmask_b32_e32 v1, v1, v5, vcc
	v_lshlrev_b32_e32 v5, 16, v10
	v_lshlrev_b32_e32 v1, 20, v1
	v_and_b32_e32 v5, 0x80000000, v5
	v_lshl_add_u32 v6, v6, 23, v58
	v_or3_b32 v1, v5, v6, v1
.LBB4_510:                              ;   in Loop: Header=BB4_124 Depth=2
	s_or_b64 exec, exec, s[88:89]
.LBB4_511:                              ;   in Loop: Header=BB4_124 Depth=2
	s_or_b64 exec, exec, s[78:79]
.LBB4_512:                              ;   in Loop: Header=BB4_124 Depth=2
	s_or_b64 exec, exec, s[20:21]
	v_mul_f32_e32 v5, v4, v1
	v_and_b32_e32 v36, 0x7f800000, v5
	v_cmp_ne_u64_e32 vcc, s[56:57], v[36:37]
                                        ; implicit-def: $vgpr33
	s_and_saveexec_b64 s[20:21], vcc
	s_xor_b64 s[78:79], exec, s[20:21]
	s_cbranch_execz .LBB4_526
; %bb.513:                              ;   in Loop: Header=BB4_124 Depth=2
	v_and_b32_e32 v36, 0x7fffffff, v5
	v_cmp_gt_u64_e32 vcc, s[58:59], v[36:37]
	v_and_b32_sdwa v1, v5, s53 dst_sel:DWORD dst_unused:UNUSED_PAD src0_sel:BYTE_3 src1_sel:DWORD
                                        ; implicit-def: $vgpr33
	s_and_saveexec_b64 s[20:21], vcc
	s_xor_b64 s[88:89], exec, s[20:21]
	s_cbranch_execz .LBB4_523
; %bb.514:                              ;   in Loop: Header=BB4_124 Depth=2
	v_mov_b32_e32 v33, 0
	v_cmp_ne_u32_e32 vcc, 0, v5
	s_and_saveexec_b64 s[90:91], vcc
	s_cbranch_execz .LBB4_522
; %bb.515:                              ;   in Loop: Header=BB4_124 Depth=2
	v_and_b32_e32 v7, 0x7fffff, v5
	v_bfe_u32 v5, v5, 23, 8
	v_cmp_gt_u32_e64 s[20:21], s54, v5
	v_sub_u32_e32 v6, 0x79, v5
	v_cmp_eq_u32_e32 vcc, 0, v5
	v_cndmask_b32_e64 v6, 0, v6, s[20:21]
	v_or_b32_e32 v9, 0x800000, v7
	v_cndmask_b32_e32 v6, v6, v31, vcc
	v_cndmask_b32_e32 v36, v9, v7, vcc
	v_add_u32_e32 v7, 20, v6
	v_lshlrev_b64 v[14:15], v7, -1
	v_add_u32_e32 v7, 19, v6
	v_lshlrev_b64 v[16:17], v7, 1
	v_bfi_b32 v15, v15, 0, 0
	v_bfi_b32 v14, v14, 0, v36
	v_cmp_eq_u64_e64 s[20:21], v[14:15], v[16:17]
	v_lshrrev_b64 v[14:15], v6, v[36:37]
	v_mov_b32_e32 v16, v15
	v_mov_b32_e32 v15, v14
	s_and_saveexec_b64 s[92:93], s[20:21]
; %bb.516:                              ;   in Loop: Header=BB4_124 Depth=2
	v_bfe_u32 v7, v14, 20, 1
	v_add_co_u32_e64 v7, s[20:21], v14, v7
	v_add_co_u32_e64 v15, s[20:21], -1, v7
; %bb.517:                              ;   in Loop: Header=BB4_124 Depth=2
	s_or_b64 exec, exec, s[92:93]
	v_add_u32_e32 v5, 0xffffff81, v5
	v_cndmask_b32_e32 v5, v5, v62, vcc
	v_lshrrev_b32_e32 v7, 23, v14
	v_add3_u32 v7, v6, v5, v7
	v_add_u32_e32 v6, 6, v7
	v_and_b32_e32 v5, 0xfffff, v15
	v_add_u32_e32 v36, v5, v14
	v_cmp_ne_u32_e32 vcc, 0, v6
                                        ; implicit-def: $vgpr14_vgpr15
                                        ; implicit-def: $vgpr5
	s_and_saveexec_b64 s[20:21], vcc
	s_xor_b64 s[20:21], exec, s[20:21]
; %bb.518:                              ;   in Loop: Header=BB4_124 Depth=2
	v_cmp_lt_u64_e32 vcc, s[60:61], v[36:37]
	v_add_u32_e32 v5, 7, v7
	v_cndmask_b32_e32 v5, v6, v5, vcc
	v_cndmask_b32_e64 v6, 0, 1, vcc
	v_lshrrev_b64 v[14:15], v6, v[36:37]
; %bb.519:                              ;   in Loop: Header=BB4_124 Depth=2
	s_andn2_saveexec_b64 s[20:21], s[20:21]
; %bb.520:                              ;   in Loop: Header=BB4_124 Depth=2
	v_mov_b32_e32 v14, v36
	v_bfe_u32 v5, v36, 23, 1
	v_mov_b32_e32 v15, v37
; %bb.521:                              ;   in Loop: Header=BB4_124 Depth=2
	s_or_b64 exec, exec, s[20:21]
	v_lshrrev_b64 v[6:7], 20, v[14:15]
	v_cmp_gt_i32_e32 vcc, 16, v5
	v_cndmask_b32_e32 v7, 0, v7, vcc
	v_cndmask_b32_e32 v6, 7, v6, vcc
	v_cmp_eq_u32_e32 vcc, 0, v5
	v_min_i32_e32 v5, 15, v5
	v_cmp_eq_u64_e64 s[20:21], 0, v[6:7]
	v_lshlrev_b32_e32 v5, 3, v5
	v_and_b32_e32 v5, 0xf8, v5
	v_and_or_b32 v5, v6, 7, v5
	s_and_b64 s[20:21], vcc, s[20:21]
	v_cndmask_b32_e64 v5, v5, 0, s[20:21]
	v_or_b32_e32 v33, v5, v1
.LBB4_522:                              ;   in Loop: Header=BB4_124 Depth=2
	s_or_b64 exec, exec, s[90:91]
                                        ; implicit-def: $vgpr1
.LBB4_523:                              ;   in Loop: Header=BB4_124 Depth=2
	s_andn2_saveexec_b64 s[20:21], s[88:89]
; %bb.524:                              ;   in Loop: Header=BB4_124 Depth=2
	v_or_b32_e32 v33, 0x7e, v1
; %bb.525:                              ;   in Loop: Header=BB4_124 Depth=2
	s_or_b64 exec, exec, s[20:21]
                                        ; implicit-def: $vgpr5
.LBB4_526:                              ;   in Loop: Header=BB4_124 Depth=2
	s_andn2_saveexec_b64 s[20:21], s[78:79]
; %bb.527:                              ;   in Loop: Header=BB4_124 Depth=2
	v_or_b32_sdwa v33, v5, s51 dst_sel:DWORD dst_unused:UNUSED_PAD src0_sel:BYTE_3 src1_sel:DWORD
; %bb.528:                              ;   in Loop: Header=BB4_124 Depth=2
	s_or_b64 exec, exec, s[20:21]
	v_lshrrev_b32_e32 v14, 16, v10
	v_cmp_ne_u16_sdwa s[78:79], v14, v37 src0_sel:BYTE_0 src1_sel:DWORD
	v_mov_b32_e32 v1, 0
	s_and_saveexec_b64 s[20:21], s[78:79]
	s_cbranch_execz .LBB4_534
; %bb.529:                              ;   in Loop: Header=BB4_124 Depth=2
	v_cmp_ne_u16_sdwa s[88:89], v14, s53 src0_sel:BYTE_0 src1_sel:DWORD
	v_bfrev_b32_e32 v1, 1
	s_and_saveexec_b64 s[78:79], s[88:89]
	s_cbranch_execz .LBB4_533
; %bb.530:                              ;   in Loop: Header=BB4_124 Depth=2
	v_bfe_u32 v5, v10, 16, 7
	v_cmp_ne_u32_e32 vcc, s51, v5
	v_mov_b32_e32 v1, 0x7f800001
	s_and_saveexec_b64 s[88:89], vcc
	s_cbranch_execz .LBB4_532
; %bb.531:                              ;   in Loop: Header=BB4_124 Depth=2
	v_and_b32_e32 v1, 7, v14
	v_lshrrev_b32_e32 v7, 3, v5
	v_cmp_gt_u32_e32 vcc, 8, v5
	v_ffbh_u32_e32 v5, v1
	v_min_u32_e32 v9, 32, v5
	v_subrev_u32_e32 v5, 28, v9
	v_lshlrev_b64 v[5:6], v5, v[14:15]
	v_sub_u32_e32 v6, 29, v9
	v_and_b32_e32 v5, 7, v5
	v_cndmask_b32_e32 v6, v7, v6, vcc
	v_cndmask_b32_e32 v1, v1, v5, vcc
	v_lshlrev_b32_e32 v5, 24, v14
	v_lshlrev_b32_e32 v1, 20, v1
	v_and_b32_e32 v5, 0x80000000, v5
	v_lshl_add_u32 v6, v6, 23, v58
	v_or3_b32 v1, v5, v6, v1
.LBB4_532:                              ;   in Loop: Header=BB4_124 Depth=2
	s_or_b64 exec, exec, s[88:89]
.LBB4_533:                              ;   in Loop: Header=BB4_124 Depth=2
	s_or_b64 exec, exec, s[78:79]
.LBB4_534:                              ;   in Loop: Header=BB4_124 Depth=2
	s_or_b64 exec, exec, s[20:21]
	v_mul_f32_e32 v5, v4, v1
	v_and_b32_e32 v36, 0x7f800000, v5
	v_cmp_ne_u64_e32 vcc, s[56:57], v[36:37]
                                        ; implicit-def: $vgpr50
	s_and_saveexec_b64 s[20:21], vcc
	s_xor_b64 s[78:79], exec, s[20:21]
	s_cbranch_execz .LBB4_548
; %bb.535:                              ;   in Loop: Header=BB4_124 Depth=2
	v_and_b32_e32 v36, 0x7fffffff, v5
	v_cmp_gt_u64_e32 vcc, s[58:59], v[36:37]
	v_and_b32_sdwa v1, v5, s53 dst_sel:DWORD dst_unused:UNUSED_PAD src0_sel:BYTE_3 src1_sel:DWORD
                                        ; implicit-def: $vgpr50
	s_and_saveexec_b64 s[20:21], vcc
	s_xor_b64 s[88:89], exec, s[20:21]
	s_cbranch_execz .LBB4_545
; %bb.536:                              ;   in Loop: Header=BB4_124 Depth=2
	v_mov_b32_e32 v50, 0
	v_cmp_ne_u32_e32 vcc, 0, v5
	s_and_saveexec_b64 s[90:91], vcc
	s_cbranch_execz .LBB4_544
; %bb.537:                              ;   in Loop: Header=BB4_124 Depth=2
	v_and_b32_e32 v7, 0x7fffff, v5
	v_bfe_u32 v5, v5, 23, 8
	v_cmp_gt_u32_e64 s[20:21], s54, v5
	v_sub_u32_e32 v6, 0x79, v5
	v_cmp_eq_u32_e32 vcc, 0, v5
	v_cndmask_b32_e64 v6, 0, v6, s[20:21]
	v_or_b32_e32 v9, 0x800000, v7
	v_cndmask_b32_e32 v6, v6, v31, vcc
	v_cndmask_b32_e32 v36, v9, v7, vcc
	v_add_u32_e32 v7, 20, v6
	v_lshlrev_b64 v[14:15], v7, -1
	v_add_u32_e32 v7, 19, v6
	v_lshlrev_b64 v[16:17], v7, 1
	v_bfi_b32 v15, v15, 0, 0
	v_bfi_b32 v14, v14, 0, v36
	v_cmp_eq_u64_e64 s[20:21], v[14:15], v[16:17]
	v_lshrrev_b64 v[14:15], v6, v[36:37]
	v_mov_b32_e32 v16, v15
	v_mov_b32_e32 v15, v14
	s_and_saveexec_b64 s[92:93], s[20:21]
; %bb.538:                              ;   in Loop: Header=BB4_124 Depth=2
	v_bfe_u32 v7, v14, 20, 1
	v_add_co_u32_e64 v7, s[20:21], v14, v7
	v_add_co_u32_e64 v15, s[20:21], -1, v7
; %bb.539:                              ;   in Loop: Header=BB4_124 Depth=2
	s_or_b64 exec, exec, s[92:93]
	v_add_u32_e32 v5, 0xffffff81, v5
	v_cndmask_b32_e32 v5, v5, v62, vcc
	v_lshrrev_b32_e32 v7, 23, v14
	v_add3_u32 v7, v6, v5, v7
	v_add_u32_e32 v6, 6, v7
	v_and_b32_e32 v5, 0xfffff, v15
	v_add_u32_e32 v36, v5, v14
	v_cmp_ne_u32_e32 vcc, 0, v6
                                        ; implicit-def: $vgpr14_vgpr15
                                        ; implicit-def: $vgpr5
	s_and_saveexec_b64 s[20:21], vcc
	s_xor_b64 s[20:21], exec, s[20:21]
; %bb.540:                              ;   in Loop: Header=BB4_124 Depth=2
	v_cmp_lt_u64_e32 vcc, s[60:61], v[36:37]
	v_add_u32_e32 v5, 7, v7
	v_cndmask_b32_e32 v5, v6, v5, vcc
	v_cndmask_b32_e64 v6, 0, 1, vcc
	v_lshrrev_b64 v[14:15], v6, v[36:37]
; %bb.541:                              ;   in Loop: Header=BB4_124 Depth=2
	s_andn2_saveexec_b64 s[20:21], s[20:21]
; %bb.542:                              ;   in Loop: Header=BB4_124 Depth=2
	v_mov_b32_e32 v14, v36
	v_bfe_u32 v5, v36, 23, 1
	v_mov_b32_e32 v15, v37
; %bb.543:                              ;   in Loop: Header=BB4_124 Depth=2
	s_or_b64 exec, exec, s[20:21]
	v_lshrrev_b64 v[6:7], 20, v[14:15]
	v_cmp_gt_i32_e32 vcc, 16, v5
	v_cndmask_b32_e32 v7, 0, v7, vcc
	v_cndmask_b32_e32 v6, 7, v6, vcc
	v_cmp_eq_u32_e32 vcc, 0, v5
	v_min_i32_e32 v5, 15, v5
	v_cmp_eq_u64_e64 s[20:21], 0, v[6:7]
	v_lshlrev_b32_e32 v5, 3, v5
	v_and_b32_e32 v5, 0xf8, v5
	v_and_or_b32 v5, v6, 7, v5
	s_and_b64 s[20:21], vcc, s[20:21]
	v_cndmask_b32_e64 v5, v5, 0, s[20:21]
	v_or_b32_e32 v50, v5, v1
.LBB4_544:                              ;   in Loop: Header=BB4_124 Depth=2
	s_or_b64 exec, exec, s[90:91]
                                        ; implicit-def: $vgpr1
.LBB4_545:                              ;   in Loop: Header=BB4_124 Depth=2
	s_andn2_saveexec_b64 s[20:21], s[88:89]
; %bb.546:                              ;   in Loop: Header=BB4_124 Depth=2
	v_or_b32_e32 v50, 0x7e, v1
; %bb.547:                              ;   in Loop: Header=BB4_124 Depth=2
	s_or_b64 exec, exec, s[20:21]
                                        ; implicit-def: $vgpr5
.LBB4_548:                              ;   in Loop: Header=BB4_124 Depth=2
	s_andn2_saveexec_b64 s[20:21], s[78:79]
; %bb.549:                              ;   in Loop: Header=BB4_124 Depth=2
	v_or_b32_sdwa v50, v5, s51 dst_sel:DWORD dst_unused:UNUSED_PAD src0_sel:BYTE_3 src1_sel:DWORD
; %bb.550:                              ;   in Loop: Header=BB4_124 Depth=2
	s_or_b64 exec, exec, s[20:21]
	v_cmp_lt_u32_e32 vcc, s63, v10
	v_mov_b32_e32 v1, 0
	s_and_saveexec_b64 s[20:21], vcc
	s_cbranch_execz .LBB4_556
; %bb.551:                              ;   in Loop: Header=BB4_124 Depth=2
	v_lshrrev_b32_e32 v14, 24, v10
	v_cmp_ne_u32_e32 vcc, s53, v14
	v_bfrev_b32_e32 v1, 1
	s_and_saveexec_b64 s[78:79], vcc
	s_cbranch_execz .LBB4_555
; %bb.552:                              ;   in Loop: Header=BB4_124 Depth=2
	v_bfe_u32 v5, v10, 24, 7
	v_cmp_ne_u32_e32 vcc, s51, v5
	v_mov_b32_e32 v1, 0x7f800001
	s_and_saveexec_b64 s[88:89], vcc
	s_cbranch_execz .LBB4_554
; %bb.553:                              ;   in Loop: Header=BB4_124 Depth=2
	v_and_b32_e32 v1, 7, v14
	v_lshrrev_b32_e32 v7, 3, v5
	v_cmp_gt_u32_e32 vcc, 8, v5
	v_ffbh_u32_e32 v5, v1
	v_min_u32_e32 v9, 32, v5
	v_subrev_u32_e32 v5, 28, v9
	v_lshlrev_b64 v[5:6], v5, v[14:15]
	v_sub_u32_e32 v6, 29, v9
	v_and_b32_e32 v5, 7, v5
	v_cndmask_b32_e32 v6, v7, v6, vcc
	v_cndmask_b32_e32 v1, v1, v5, vcc
	v_lshlrev_b32_e32 v5, 24, v14
	v_lshlrev_b32_e32 v1, 20, v1
	v_and_b32_e32 v5, 0x80000000, v5
	v_lshl_add_u32 v6, v6, 23, v58
	v_or3_b32 v1, v5, v6, v1
.LBB4_554:                              ;   in Loop: Header=BB4_124 Depth=2
	s_or_b64 exec, exec, s[88:89]
.LBB4_555:                              ;   in Loop: Header=BB4_124 Depth=2
	s_or_b64 exec, exec, s[78:79]
.LBB4_556:                              ;   in Loop: Header=BB4_124 Depth=2
	s_or_b64 exec, exec, s[20:21]
	v_mul_f32_e32 v5, v4, v1
	v_and_b32_e32 v36, 0x7f800000, v5
	v_cmp_ne_u64_e32 vcc, s[56:57], v[36:37]
                                        ; implicit-def: $vgpr53
	s_and_saveexec_b64 s[20:21], vcc
	s_xor_b64 s[78:79], exec, s[20:21]
	s_cbranch_execz .LBB4_570
; %bb.557:                              ;   in Loop: Header=BB4_124 Depth=2
	v_and_b32_e32 v36, 0x7fffffff, v5
	v_cmp_gt_u64_e32 vcc, s[58:59], v[36:37]
	v_and_b32_sdwa v1, v5, s53 dst_sel:DWORD dst_unused:UNUSED_PAD src0_sel:BYTE_3 src1_sel:DWORD
                                        ; implicit-def: $vgpr53
	s_and_saveexec_b64 s[20:21], vcc
	s_xor_b64 s[88:89], exec, s[20:21]
	s_cbranch_execz .LBB4_567
; %bb.558:                              ;   in Loop: Header=BB4_124 Depth=2
	v_mov_b32_e32 v53, 0
	v_cmp_ne_u32_e32 vcc, 0, v5
	s_and_saveexec_b64 s[90:91], vcc
	s_cbranch_execz .LBB4_566
; %bb.559:                              ;   in Loop: Header=BB4_124 Depth=2
	v_and_b32_e32 v7, 0x7fffff, v5
	v_bfe_u32 v5, v5, 23, 8
	v_cmp_gt_u32_e64 s[20:21], s54, v5
	v_sub_u32_e32 v6, 0x79, v5
	v_cmp_eq_u32_e32 vcc, 0, v5
	v_cndmask_b32_e64 v6, 0, v6, s[20:21]
	v_or_b32_e32 v9, 0x800000, v7
	v_cndmask_b32_e32 v6, v6, v31, vcc
	v_cndmask_b32_e32 v36, v9, v7, vcc
	v_add_u32_e32 v7, 20, v6
	v_lshlrev_b64 v[14:15], v7, -1
	v_add_u32_e32 v7, 19, v6
	v_lshlrev_b64 v[16:17], v7, 1
	v_bfi_b32 v15, v15, 0, 0
	v_bfi_b32 v14, v14, 0, v36
	v_cmp_eq_u64_e64 s[20:21], v[14:15], v[16:17]
	v_lshrrev_b64 v[14:15], v6, v[36:37]
	v_mov_b32_e32 v16, v15
	v_mov_b32_e32 v15, v14
	s_and_saveexec_b64 s[92:93], s[20:21]
; %bb.560:                              ;   in Loop: Header=BB4_124 Depth=2
	v_bfe_u32 v7, v14, 20, 1
	v_add_co_u32_e64 v7, s[20:21], v14, v7
	v_add_co_u32_e64 v15, s[20:21], -1, v7
; %bb.561:                              ;   in Loop: Header=BB4_124 Depth=2
	s_or_b64 exec, exec, s[92:93]
	v_add_u32_e32 v5, 0xffffff81, v5
	v_cndmask_b32_e32 v5, v5, v62, vcc
	v_lshrrev_b32_e32 v7, 23, v14
	v_add3_u32 v7, v6, v5, v7
	v_add_u32_e32 v6, 6, v7
	v_and_b32_e32 v5, 0xfffff, v15
	v_add_u32_e32 v36, v5, v14
	v_cmp_ne_u32_e32 vcc, 0, v6
                                        ; implicit-def: $vgpr14_vgpr15
                                        ; implicit-def: $vgpr5
	s_and_saveexec_b64 s[20:21], vcc
	s_xor_b64 s[20:21], exec, s[20:21]
; %bb.562:                              ;   in Loop: Header=BB4_124 Depth=2
	v_cmp_lt_u64_e32 vcc, s[60:61], v[36:37]
	v_add_u32_e32 v5, 7, v7
	v_cndmask_b32_e32 v5, v6, v5, vcc
	v_cndmask_b32_e64 v6, 0, 1, vcc
	v_lshrrev_b64 v[14:15], v6, v[36:37]
; %bb.563:                              ;   in Loop: Header=BB4_124 Depth=2
	s_andn2_saveexec_b64 s[20:21], s[20:21]
; %bb.564:                              ;   in Loop: Header=BB4_124 Depth=2
	v_mov_b32_e32 v14, v36
	v_bfe_u32 v5, v36, 23, 1
	v_mov_b32_e32 v15, v37
; %bb.565:                              ;   in Loop: Header=BB4_124 Depth=2
	s_or_b64 exec, exec, s[20:21]
	v_lshrrev_b64 v[6:7], 20, v[14:15]
	v_cmp_gt_i32_e32 vcc, 16, v5
	v_cndmask_b32_e32 v7, 0, v7, vcc
	v_cndmask_b32_e32 v6, 7, v6, vcc
	v_cmp_eq_u32_e32 vcc, 0, v5
	v_min_i32_e32 v5, 15, v5
	v_cmp_eq_u64_e64 s[20:21], 0, v[6:7]
	v_lshlrev_b32_e32 v5, 3, v5
	v_and_b32_e32 v5, 0xf8, v5
	v_and_or_b32 v5, v6, 7, v5
	s_and_b64 s[20:21], vcc, s[20:21]
	v_cndmask_b32_e64 v5, v5, 0, s[20:21]
	v_or_b32_e32 v53, v5, v1
.LBB4_566:                              ;   in Loop: Header=BB4_124 Depth=2
	s_or_b64 exec, exec, s[90:91]
                                        ; implicit-def: $vgpr1
.LBB4_567:                              ;   in Loop: Header=BB4_124 Depth=2
	s_andn2_saveexec_b64 s[20:21], s[88:89]
; %bb.568:                              ;   in Loop: Header=BB4_124 Depth=2
	v_or_b32_e32 v53, 0x7e, v1
; %bb.569:                              ;   in Loop: Header=BB4_124 Depth=2
	s_or_b64 exec, exec, s[20:21]
                                        ; implicit-def: $vgpr5
.LBB4_570:                              ;   in Loop: Header=BB4_124 Depth=2
	s_andn2_saveexec_b64 s[20:21], s[78:79]
; %bb.571:                              ;   in Loop: Header=BB4_124 Depth=2
	v_or_b32_sdwa v53, v5, s51 dst_sel:DWORD dst_unused:UNUSED_PAD src0_sel:BYTE_3 src1_sel:DWORD
; %bb.572:                              ;   in Loop: Header=BB4_124 Depth=2
	s_or_b64 exec, exec, s[20:21]
	v_mov_b32_e32 v36, v11
	v_cmp_ne_u16_sdwa s[78:79], v11, v37 src0_sel:BYTE_0 src1_sel:DWORD
	v_mov_b32_e32 v1, 0
	s_and_saveexec_b64 s[20:21], s[78:79]
	s_cbranch_execz .LBB4_578
; %bb.573:                              ;   in Loop: Header=BB4_124 Depth=2
	v_cmp_ne_u16_sdwa s[88:89], v11, s53 src0_sel:BYTE_0 src1_sel:DWORD
	v_bfrev_b32_e32 v1, 1
	s_and_saveexec_b64 s[78:79], s[88:89]
	s_cbranch_execz .LBB4_577
; %bb.574:                              ;   in Loop: Header=BB4_124 Depth=2
	v_and_b32_e32 v5, 0x7f, v11
	v_cmp_ne_u32_e32 vcc, s51, v5
	v_mov_b32_e32 v1, 0x7f800001
	s_and_saveexec_b64 s[88:89], vcc
	s_cbranch_execz .LBB4_576
; %bb.575:                              ;   in Loop: Header=BB4_124 Depth=2
	v_and_b32_e32 v1, 7, v11
	v_ffbh_u32_e32 v1, v1
	v_min_u32_e32 v1, 32, v1
	v_lshrrev_b32_e32 v6, 3, v5
	v_cmp_gt_u32_e32 vcc, 8, v5
	v_subrev_u32_e32 v5, 28, v1
	v_sub_u32_e32 v1, 29, v1
	v_cndmask_b32_e32 v5, 0, v5, vcc
	v_cndmask_b32_e32 v1, v6, v1, vcc
	v_lshlrev_b64 v[5:6], v5, v[36:37]
	v_lshlrev_b32_e32 v6, 24, v36
	v_lshlrev_b32_e32 v5, 20, v5
	v_and_b32_e32 v5, 0x700000, v5
	v_and_b32_e32 v6, 0x80000000, v6
	v_lshl_add_u32 v1, v1, 23, v58
	v_or3_b32 v1, v6, v1, v5
.LBB4_576:                              ;   in Loop: Header=BB4_124 Depth=2
	s_or_b64 exec, exec, s[88:89]
.LBB4_577:                              ;   in Loop: Header=BB4_124 Depth=2
	s_or_b64 exec, exec, s[78:79]
.LBB4_578:                              ;   in Loop: Header=BB4_124 Depth=2
	s_or_b64 exec, exec, s[20:21]
	v_mul_f32_e32 v5, v4, v1
	v_and_b32_e32 v6, 0x7f800000, v5
	v_mov_b32_e32 v7, v37
	v_cmp_ne_u64_e32 vcc, s[56:57], v[6:7]
                                        ; implicit-def: $vgpr7
	s_and_saveexec_b64 s[20:21], vcc
	s_xor_b64 s[78:79], exec, s[20:21]
	s_cbranch_execz .LBB4_592
; %bb.579:                              ;   in Loop: Header=BB4_124 Depth=2
	v_and_b32_e32 v6, 0x7fffffff, v5
	v_mov_b32_e32 v7, v37
	v_cmp_gt_u64_e32 vcc, s[58:59], v[6:7]
	v_and_b32_sdwa v1, v5, s53 dst_sel:DWORD dst_unused:UNUSED_PAD src0_sel:BYTE_3 src1_sel:DWORD
                                        ; implicit-def: $vgpr7
	s_and_saveexec_b64 s[20:21], vcc
	s_xor_b64 s[88:89], exec, s[20:21]
	s_cbranch_execz .LBB4_589
; %bb.580:                              ;   in Loop: Header=BB4_124 Depth=2
	v_mov_b32_e32 v7, 0
	v_cmp_ne_u32_e32 vcc, 0, v5
	s_and_saveexec_b64 s[90:91], vcc
	s_cbranch_execz .LBB4_588
; %bb.581:                              ;   in Loop: Header=BB4_124 Depth=2
	v_and_b32_e32 v7, 0x7fffff, v5
	v_bfe_u32 v5, v5, 23, 8
	v_cmp_gt_u32_e64 s[20:21], s54, v5
	v_sub_u32_e32 v6, 0x79, v5
	v_cmp_eq_u32_e32 vcc, 0, v5
	v_cndmask_b32_e64 v6, 0, v6, s[20:21]
	v_or_b32_e32 v9, 0x800000, v7
	v_cndmask_b32_e32 v6, v6, v31, vcc
	v_cndmask_b32_e32 v14, v9, v7, vcc
	v_add_u32_e32 v7, 20, v6
	v_lshlrev_b64 v[16:17], v7, -1
	v_mov_b32_e32 v15, v37
	v_add_u32_e32 v7, 19, v6
	v_bfi_b32 v16, v16, 0, v14
	v_lshlrev_b64 v[24:25], v7, 1
	v_lshrrev_b64 v[14:15], v6, v[14:15]
	v_bfi_b32 v17, v17, 0, 0
	v_cmp_eq_u64_e64 s[20:21], v[16:17], v[24:25]
	v_mov_b32_e32 v16, v15
	v_mov_b32_e32 v15, v14
	s_and_saveexec_b64 s[92:93], s[20:21]
; %bb.582:                              ;   in Loop: Header=BB4_124 Depth=2
	v_bfe_u32 v7, v14, 20, 1
	v_add_co_u32_e64 v7, s[20:21], v14, v7
	v_add_co_u32_e64 v15, s[20:21], -1, v7
; %bb.583:                              ;   in Loop: Header=BB4_124 Depth=2
	s_or_b64 exec, exec, s[92:93]
	v_add_u32_e32 v5, 0xffffff81, v5
	v_cndmask_b32_e32 v5, v5, v62, vcc
	v_lshrrev_b32_e32 v7, 23, v14
	v_add3_u32 v7, v6, v5, v7
	v_add_u32_e32 v6, 6, v7
	v_and_b32_e32 v5, 0xfffff, v15
	v_add_u32_e32 v14, v5, v14
	v_mov_b32_e32 v15, v37
	v_cmp_ne_u32_e32 vcc, 0, v6
                                        ; implicit-def: $vgpr5
	s_and_saveexec_b64 s[20:21], vcc
	s_xor_b64 s[20:21], exec, s[20:21]
; %bb.584:                              ;   in Loop: Header=BB4_124 Depth=2
	v_cmp_lt_u64_e32 vcc, s[60:61], v[14:15]
	v_add_u32_e32 v5, 7, v7
	v_cndmask_b32_e32 v5, v6, v5, vcc
	v_cndmask_b32_e64 v6, 0, 1, vcc
	v_lshrrev_b64 v[14:15], v6, v[14:15]
; %bb.585:                              ;   in Loop: Header=BB4_124 Depth=2
	s_andn2_saveexec_b64 s[20:21], s[20:21]
; %bb.586:                              ;   in Loop: Header=BB4_124 Depth=2
	v_bfe_u32 v5, v14, 23, 1
; %bb.587:                              ;   in Loop: Header=BB4_124 Depth=2
	s_or_b64 exec, exec, s[20:21]
	v_lshrrev_b64 v[6:7], 20, v[14:15]
	v_cmp_gt_i32_e32 vcc, 16, v5
	v_cndmask_b32_e32 v7, 0, v7, vcc
	v_cndmask_b32_e32 v6, 7, v6, vcc
	v_cmp_eq_u32_e32 vcc, 0, v5
	v_min_i32_e32 v5, 15, v5
	v_cmp_eq_u64_e64 s[20:21], 0, v[6:7]
	v_lshlrev_b32_e32 v5, 3, v5
	v_and_b32_e32 v5, 0xf8, v5
	v_and_or_b32 v5, v6, 7, v5
	s_and_b64 s[20:21], vcc, s[20:21]
	v_cndmask_b32_e64 v5, v5, 0, s[20:21]
	v_or_b32_e32 v7, v5, v1
.LBB4_588:                              ;   in Loop: Header=BB4_124 Depth=2
	s_or_b64 exec, exec, s[90:91]
                                        ; implicit-def: $vgpr1
.LBB4_589:                              ;   in Loop: Header=BB4_124 Depth=2
	s_andn2_saveexec_b64 s[20:21], s[88:89]
; %bb.590:                              ;   in Loop: Header=BB4_124 Depth=2
	v_or_b32_e32 v7, 0x7e, v1
; %bb.591:                              ;   in Loop: Header=BB4_124 Depth=2
	s_or_b64 exec, exec, s[20:21]
                                        ; implicit-def: $vgpr5
.LBB4_592:                              ;   in Loop: Header=BB4_124 Depth=2
	s_andn2_saveexec_b64 s[20:21], s[78:79]
; %bb.593:                              ;   in Loop: Header=BB4_124 Depth=2
	v_or_b32_sdwa v7, v5, s51 dst_sel:DWORD dst_unused:UNUSED_PAD src0_sel:BYTE_3 src1_sel:DWORD
; %bb.594:                              ;   in Loop: Header=BB4_124 Depth=2
	s_or_b64 exec, exec, s[20:21]
	v_lshrrev_b16_e32 v14, 8, v36
	v_cmp_ne_u16_e32 vcc, 0, v14
	v_mov_b32_e32 v1, 0
	s_and_saveexec_b64 s[20:21], vcc
	s_cbranch_execz .LBB4_600
; %bb.595:                              ;   in Loop: Header=BB4_124 Depth=2
	v_cmp_ne_u16_e32 vcc, s53, v14
	v_bfrev_b32_e32 v1, 1
	s_and_saveexec_b64 s[78:79], vcc
	s_cbranch_execz .LBB4_599
; %bb.596:                              ;   in Loop: Header=BB4_124 Depth=2
	v_and_b32_e32 v5, 0x7f, v14
	v_cmp_ne_u32_e32 vcc, s51, v5
	v_mov_b32_e32 v1, 0x7f800001
	s_and_saveexec_b64 s[88:89], vcc
	s_cbranch_execz .LBB4_598
; %bb.597:                              ;   in Loop: Header=BB4_124 Depth=2
	v_and_b32_e32 v1, 7, v14
	v_lshrrev_b32_e32 v9, 3, v5
	v_cmp_gt_u32_e32 vcc, 8, v5
	v_ffbh_u32_e32 v5, v1
	v_min_u32_e32 v15, 32, v5
	v_subrev_u32_e32 v5, 28, v15
	v_lshlrev_b64 v[5:6], v5, v[14:15]
	v_sub_u32_e32 v6, 29, v15
	v_and_b32_e32 v5, 7, v5
	v_cndmask_b32_e32 v6, v9, v6, vcc
	v_cndmask_b32_e32 v1, v1, v5, vcc
	v_lshlrev_b32_e32 v5, 16, v36
	v_lshlrev_b32_e32 v1, 20, v1
	v_and_b32_e32 v5, 0x80000000, v5
	v_lshl_add_u32 v6, v6, 23, v58
	v_or3_b32 v1, v5, v6, v1
.LBB4_598:                              ;   in Loop: Header=BB4_124 Depth=2
	s_or_b64 exec, exec, s[88:89]
.LBB4_599:                              ;   in Loop: Header=BB4_124 Depth=2
	s_or_b64 exec, exec, s[78:79]
.LBB4_600:                              ;   in Loop: Header=BB4_124 Depth=2
	s_or_b64 exec, exec, s[20:21]
	v_mul_f32_e32 v5, v4, v1
	v_and_b32_e32 v36, 0x7f800000, v5
	v_cmp_ne_u64_e32 vcc, s[56:57], v[36:37]
                                        ; implicit-def: $vgpr24
	s_and_saveexec_b64 s[20:21], vcc
	s_xor_b64 s[78:79], exec, s[20:21]
	s_cbranch_execz .LBB4_614
; %bb.601:                              ;   in Loop: Header=BB4_124 Depth=2
	v_and_b32_e32 v36, 0x7fffffff, v5
	v_cmp_gt_u64_e32 vcc, s[58:59], v[36:37]
	v_and_b32_sdwa v1, v5, s53 dst_sel:DWORD dst_unused:UNUSED_PAD src0_sel:BYTE_3 src1_sel:DWORD
                                        ; implicit-def: $vgpr24
	s_and_saveexec_b64 s[20:21], vcc
	s_xor_b64 s[88:89], exec, s[20:21]
	s_cbranch_execz .LBB4_611
; %bb.602:                              ;   in Loop: Header=BB4_124 Depth=2
	v_mov_b32_e32 v24, 0
	v_cmp_ne_u32_e32 vcc, 0, v5
	s_and_saveexec_b64 s[90:91], vcc
	s_cbranch_execz .LBB4_610
; %bb.603:                              ;   in Loop: Header=BB4_124 Depth=2
	v_and_b32_e32 v9, 0x7fffff, v5
	v_bfe_u32 v5, v5, 23, 8
	v_cmp_gt_u32_e64 s[20:21], s54, v5
	v_sub_u32_e32 v6, 0x79, v5
	v_cmp_eq_u32_e32 vcc, 0, v5
	v_cndmask_b32_e64 v6, 0, v6, s[20:21]
	v_or_b32_e32 v14, 0x800000, v9
	v_cndmask_b32_e32 v6, v6, v31, vcc
	v_cndmask_b32_e32 v36, v14, v9, vcc
	v_add_u32_e32 v9, 20, v6
	v_lshlrev_b64 v[14:15], v9, -1
	v_add_u32_e32 v9, 19, v6
	v_lshlrev_b64 v[16:17], v9, 1
	v_bfi_b32 v15, v15, 0, 0
	v_bfi_b32 v14, v14, 0, v36
	v_cmp_eq_u64_e64 s[20:21], v[14:15], v[16:17]
	v_lshrrev_b64 v[14:15], v6, v[36:37]
	v_mov_b32_e32 v16, v15
	v_mov_b32_e32 v15, v14
	s_and_saveexec_b64 s[92:93], s[20:21]
; %bb.604:                              ;   in Loop: Header=BB4_124 Depth=2
	v_bfe_u32 v9, v14, 20, 1
	v_add_co_u32_e64 v9, s[20:21], v14, v9
	v_add_co_u32_e64 v15, s[20:21], -1, v9
; %bb.605:                              ;   in Loop: Header=BB4_124 Depth=2
	s_or_b64 exec, exec, s[92:93]
	v_add_u32_e32 v5, 0xffffff81, v5
	v_cndmask_b32_e32 v5, v5, v62, vcc
	v_lshrrev_b32_e32 v9, 23, v14
	v_add3_u32 v9, v6, v5, v9
	v_add_u32_e32 v6, 6, v9
	v_and_b32_e32 v5, 0xfffff, v15
	v_add_u32_e32 v36, v5, v14
	v_cmp_ne_u32_e32 vcc, 0, v6
                                        ; implicit-def: $vgpr14_vgpr15
                                        ; implicit-def: $vgpr5
	s_and_saveexec_b64 s[20:21], vcc
	s_xor_b64 s[20:21], exec, s[20:21]
; %bb.606:                              ;   in Loop: Header=BB4_124 Depth=2
	v_cmp_lt_u64_e32 vcc, s[60:61], v[36:37]
	v_add_u32_e32 v5, 7, v9
	v_cndmask_b32_e32 v5, v6, v5, vcc
	v_cndmask_b32_e64 v6, 0, 1, vcc
	v_lshrrev_b64 v[14:15], v6, v[36:37]
; %bb.607:                              ;   in Loop: Header=BB4_124 Depth=2
	s_andn2_saveexec_b64 s[20:21], s[20:21]
; %bb.608:                              ;   in Loop: Header=BB4_124 Depth=2
	v_mov_b32_e32 v14, v36
	v_bfe_u32 v5, v36, 23, 1
	v_mov_b32_e32 v15, v37
; %bb.609:                              ;   in Loop: Header=BB4_124 Depth=2
	s_or_b64 exec, exec, s[20:21]
	v_lshrrev_b64 v[14:15], 20, v[14:15]
	v_cmp_gt_i32_e32 vcc, 16, v5
	v_cndmask_b32_e32 v15, 0, v15, vcc
	v_cndmask_b32_e32 v14, 7, v14, vcc
	v_cmp_eq_u32_e32 vcc, 0, v5
	v_min_i32_e32 v5, 15, v5
	v_cmp_eq_u64_e64 s[20:21], 0, v[14:15]
	v_lshlrev_b32_e32 v5, 3, v5
	v_and_b32_e32 v5, 0xf8, v5
	v_and_or_b32 v5, v14, 7, v5
	s_and_b64 s[20:21], vcc, s[20:21]
	v_cndmask_b32_e64 v5, v5, 0, s[20:21]
	v_or_b32_e32 v24, v5, v1
.LBB4_610:                              ;   in Loop: Header=BB4_124 Depth=2
	s_or_b64 exec, exec, s[90:91]
                                        ; implicit-def: $vgpr1
.LBB4_611:                              ;   in Loop: Header=BB4_124 Depth=2
	s_andn2_saveexec_b64 s[20:21], s[88:89]
; %bb.612:                              ;   in Loop: Header=BB4_124 Depth=2
	v_or_b32_e32 v24, 0x7e, v1
; %bb.613:                              ;   in Loop: Header=BB4_124 Depth=2
	s_or_b64 exec, exec, s[20:21]
                                        ; implicit-def: $vgpr5
.LBB4_614:                              ;   in Loop: Header=BB4_124 Depth=2
	s_andn2_saveexec_b64 s[20:21], s[78:79]
; %bb.615:                              ;   in Loop: Header=BB4_124 Depth=2
	v_or_b32_sdwa v24, v5, s51 dst_sel:DWORD dst_unused:UNUSED_PAD src0_sel:BYTE_3 src1_sel:DWORD
; %bb.616:                              ;   in Loop: Header=BB4_124 Depth=2
	s_or_b64 exec, exec, s[20:21]
	v_lshrrev_b32_e32 v14, 16, v11
	v_cmp_ne_u16_sdwa s[78:79], v14, v37 src0_sel:BYTE_0 src1_sel:DWORD
	v_mov_b32_e32 v1, 0
	s_and_saveexec_b64 s[20:21], s[78:79]
	s_cbranch_execz .LBB4_622
; %bb.617:                              ;   in Loop: Header=BB4_124 Depth=2
	v_cmp_ne_u16_sdwa s[88:89], v14, s53 src0_sel:BYTE_0 src1_sel:DWORD
	v_bfrev_b32_e32 v1, 1
	s_and_saveexec_b64 s[78:79], s[88:89]
	s_cbranch_execz .LBB4_621
; %bb.618:                              ;   in Loop: Header=BB4_124 Depth=2
	v_bfe_u32 v5, v11, 16, 7
	v_cmp_ne_u32_e32 vcc, s51, v5
	v_mov_b32_e32 v1, 0x7f800001
	s_and_saveexec_b64 s[88:89], vcc
	s_cbranch_execz .LBB4_620
; %bb.619:                              ;   in Loop: Header=BB4_124 Depth=2
	v_and_b32_e32 v1, 7, v14
	v_lshrrev_b32_e32 v9, 3, v5
	v_cmp_gt_u32_e32 vcc, 8, v5
	v_ffbh_u32_e32 v5, v1
	v_min_u32_e32 v15, 32, v5
	v_subrev_u32_e32 v5, 28, v15
	v_lshlrev_b64 v[5:6], v5, v[14:15]
	v_sub_u32_e32 v6, 29, v15
	v_and_b32_e32 v5, 7, v5
	v_cndmask_b32_e32 v6, v9, v6, vcc
	v_cndmask_b32_e32 v1, v1, v5, vcc
	v_lshlrev_b32_e32 v5, 24, v14
	v_lshlrev_b32_e32 v1, 20, v1
	v_and_b32_e32 v5, 0x80000000, v5
	v_lshl_add_u32 v6, v6, 23, v58
	v_or3_b32 v1, v5, v6, v1
.LBB4_620:                              ;   in Loop: Header=BB4_124 Depth=2
	s_or_b64 exec, exec, s[88:89]
.LBB4_621:                              ;   in Loop: Header=BB4_124 Depth=2
	s_or_b64 exec, exec, s[78:79]
.LBB4_622:                              ;   in Loop: Header=BB4_124 Depth=2
	s_or_b64 exec, exec, s[20:21]
	v_mul_f32_e32 v5, v4, v1
	v_and_b32_e32 v36, 0x7f800000, v5
	v_cmp_ne_u64_e32 vcc, s[56:57], v[36:37]
                                        ; implicit-def: $vgpr35
	s_and_saveexec_b64 s[20:21], vcc
	s_xor_b64 s[78:79], exec, s[20:21]
	s_cbranch_execz .LBB4_636
; %bb.623:                              ;   in Loop: Header=BB4_124 Depth=2
	v_and_b32_e32 v36, 0x7fffffff, v5
	v_cmp_gt_u64_e32 vcc, s[58:59], v[36:37]
	v_and_b32_sdwa v1, v5, s53 dst_sel:DWORD dst_unused:UNUSED_PAD src0_sel:BYTE_3 src1_sel:DWORD
                                        ; implicit-def: $vgpr35
	s_and_saveexec_b64 s[20:21], vcc
	s_xor_b64 s[88:89], exec, s[20:21]
	s_cbranch_execz .LBB4_633
; %bb.624:                              ;   in Loop: Header=BB4_124 Depth=2
	v_mov_b32_e32 v35, 0
	v_cmp_ne_u32_e32 vcc, 0, v5
	s_and_saveexec_b64 s[90:91], vcc
	s_cbranch_execz .LBB4_632
; %bb.625:                              ;   in Loop: Header=BB4_124 Depth=2
	v_and_b32_e32 v9, 0x7fffff, v5
	v_bfe_u32 v5, v5, 23, 8
	v_cmp_gt_u32_e64 s[20:21], s54, v5
	v_sub_u32_e32 v6, 0x79, v5
	v_cmp_eq_u32_e32 vcc, 0, v5
	v_cndmask_b32_e64 v6, 0, v6, s[20:21]
	v_or_b32_e32 v14, 0x800000, v9
	v_cndmask_b32_e32 v6, v6, v31, vcc
	v_cndmask_b32_e32 v36, v14, v9, vcc
	v_add_u32_e32 v9, 20, v6
	v_lshlrev_b64 v[14:15], v9, -1
	v_add_u32_e32 v9, 19, v6
	v_lshlrev_b64 v[16:17], v9, 1
	v_bfi_b32 v15, v15, 0, 0
	v_bfi_b32 v14, v14, 0, v36
	v_cmp_eq_u64_e64 s[20:21], v[14:15], v[16:17]
	v_lshrrev_b64 v[14:15], v6, v[36:37]
	v_mov_b32_e32 v16, v15
	v_mov_b32_e32 v15, v14
	s_and_saveexec_b64 s[92:93], s[20:21]
; %bb.626:                              ;   in Loop: Header=BB4_124 Depth=2
	v_bfe_u32 v9, v14, 20, 1
	v_add_co_u32_e64 v9, s[20:21], v14, v9
	v_add_co_u32_e64 v15, s[20:21], -1, v9
; %bb.627:                              ;   in Loop: Header=BB4_124 Depth=2
	s_or_b64 exec, exec, s[92:93]
	v_add_u32_e32 v5, 0xffffff81, v5
	v_cndmask_b32_e32 v5, v5, v62, vcc
	v_lshrrev_b32_e32 v9, 23, v14
	v_add3_u32 v9, v6, v5, v9
	v_add_u32_e32 v6, 6, v9
	v_and_b32_e32 v5, 0xfffff, v15
	v_add_u32_e32 v36, v5, v14
	v_cmp_ne_u32_e32 vcc, 0, v6
                                        ; implicit-def: $vgpr14_vgpr15
                                        ; implicit-def: $vgpr5
	s_and_saveexec_b64 s[20:21], vcc
	s_xor_b64 s[20:21], exec, s[20:21]
; %bb.628:                              ;   in Loop: Header=BB4_124 Depth=2
	v_cmp_lt_u64_e32 vcc, s[60:61], v[36:37]
	v_add_u32_e32 v5, 7, v9
	v_cndmask_b32_e32 v5, v6, v5, vcc
	v_cndmask_b32_e64 v6, 0, 1, vcc
	v_lshrrev_b64 v[14:15], v6, v[36:37]
; %bb.629:                              ;   in Loop: Header=BB4_124 Depth=2
	s_andn2_saveexec_b64 s[20:21], s[20:21]
; %bb.630:                              ;   in Loop: Header=BB4_124 Depth=2
	v_mov_b32_e32 v14, v36
	v_bfe_u32 v5, v36, 23, 1
	v_mov_b32_e32 v15, v37
; %bb.631:                              ;   in Loop: Header=BB4_124 Depth=2
	s_or_b64 exec, exec, s[20:21]
	v_lshrrev_b64 v[14:15], 20, v[14:15]
	v_cmp_gt_i32_e32 vcc, 16, v5
	v_cndmask_b32_e32 v15, 0, v15, vcc
	v_cndmask_b32_e32 v14, 7, v14, vcc
	v_cmp_eq_u32_e32 vcc, 0, v5
	v_min_i32_e32 v5, 15, v5
	v_cmp_eq_u64_e64 s[20:21], 0, v[14:15]
	v_lshlrev_b32_e32 v5, 3, v5
	v_and_b32_e32 v5, 0xf8, v5
	v_and_or_b32 v5, v14, 7, v5
	s_and_b64 s[20:21], vcc, s[20:21]
	v_cndmask_b32_e64 v5, v5, 0, s[20:21]
	v_or_b32_e32 v35, v5, v1
.LBB4_632:                              ;   in Loop: Header=BB4_124 Depth=2
	s_or_b64 exec, exec, s[90:91]
                                        ; implicit-def: $vgpr1
.LBB4_633:                              ;   in Loop: Header=BB4_124 Depth=2
	s_andn2_saveexec_b64 s[20:21], s[88:89]
; %bb.634:                              ;   in Loop: Header=BB4_124 Depth=2
	v_or_b32_e32 v35, 0x7e, v1
; %bb.635:                              ;   in Loop: Header=BB4_124 Depth=2
	s_or_b64 exec, exec, s[20:21]
                                        ; implicit-def: $vgpr5
.LBB4_636:                              ;   in Loop: Header=BB4_124 Depth=2
	s_andn2_saveexec_b64 s[20:21], s[78:79]
; %bb.637:                              ;   in Loop: Header=BB4_124 Depth=2
	v_or_b32_sdwa v35, v5, s51 dst_sel:DWORD dst_unused:UNUSED_PAD src0_sel:BYTE_3 src1_sel:DWORD
; %bb.638:                              ;   in Loop: Header=BB4_124 Depth=2
	s_or_b64 exec, exec, s[20:21]
	v_cmp_lt_u64_e32 vcc, s[62:63], v[10:11]
	v_mov_b32_e32 v1, 0
	s_and_saveexec_b64 s[20:21], vcc
	s_cbranch_execz .LBB4_644
; %bb.639:                              ;   in Loop: Header=BB4_124 Depth=2
	v_lshrrev_b32_e32 v10, 24, v11
	v_cmp_ne_u32_e32 vcc, s53, v10
	v_bfrev_b32_e32 v1, 1
	s_and_saveexec_b64 s[78:79], vcc
	s_cbranch_execz .LBB4_643
; %bb.640:                              ;   in Loop: Header=BB4_124 Depth=2
	v_bfe_u32 v5, v11, 24, 7
	v_cmp_ne_u32_e32 vcc, s51, v5
	v_mov_b32_e32 v1, 0x7f800001
	s_and_saveexec_b64 s[88:89], vcc
	s_cbranch_execz .LBB4_642
; %bb.641:                              ;   in Loop: Header=BB4_124 Depth=2
	v_and_b32_e32 v1, 7, v10
	v_lshrrev_b32_e32 v9, 3, v5
	v_cmp_gt_u32_e32 vcc, 8, v5
	v_ffbh_u32_e32 v5, v1
	v_min_u32_e32 v11, 32, v5
	v_subrev_u32_e32 v5, 28, v11
	v_lshlrev_b64 v[5:6], v5, v[10:11]
	v_sub_u32_e32 v6, 29, v11
	v_and_b32_e32 v5, 7, v5
	v_cndmask_b32_e32 v6, v9, v6, vcc
	v_cndmask_b32_e32 v1, v1, v5, vcc
	v_lshlrev_b32_e32 v5, 24, v10
	v_lshlrev_b32_e32 v1, 20, v1
	v_and_b32_e32 v5, 0x80000000, v5
	v_lshl_add_u32 v6, v6, 23, v58
	v_or3_b32 v1, v5, v6, v1
.LBB4_642:                              ;   in Loop: Header=BB4_124 Depth=2
	s_or_b64 exec, exec, s[88:89]
.LBB4_643:                              ;   in Loop: Header=BB4_124 Depth=2
	s_or_b64 exec, exec, s[78:79]
.LBB4_644:                              ;   in Loop: Header=BB4_124 Depth=2
	s_or_b64 exec, exec, s[20:21]
	v_mul_f32_e32 v5, v4, v1
	v_and_b32_e32 v36, 0x7f800000, v5
	v_cmp_ne_u64_e32 vcc, s[56:57], v[36:37]
                                        ; implicit-def: $vgpr51
	s_and_saveexec_b64 s[20:21], vcc
	s_xor_b64 s[78:79], exec, s[20:21]
	s_cbranch_execz .LBB4_658
; %bb.645:                              ;   in Loop: Header=BB4_124 Depth=2
	v_and_b32_e32 v36, 0x7fffffff, v5
	v_cmp_gt_u64_e32 vcc, s[58:59], v[36:37]
	v_and_b32_sdwa v1, v5, s53 dst_sel:DWORD dst_unused:UNUSED_PAD src0_sel:BYTE_3 src1_sel:DWORD
                                        ; implicit-def: $vgpr51
	s_and_saveexec_b64 s[20:21], vcc
	s_xor_b64 s[88:89], exec, s[20:21]
	s_cbranch_execz .LBB4_655
; %bb.646:                              ;   in Loop: Header=BB4_124 Depth=2
	v_mov_b32_e32 v51, 0
	v_cmp_ne_u32_e32 vcc, 0, v5
	s_and_saveexec_b64 s[90:91], vcc
	s_cbranch_execz .LBB4_654
; %bb.647:                              ;   in Loop: Header=BB4_124 Depth=2
	v_and_b32_e32 v9, 0x7fffff, v5
	v_bfe_u32 v5, v5, 23, 8
	v_cmp_gt_u32_e64 s[20:21], s54, v5
	v_sub_u32_e32 v6, 0x79, v5
	v_cmp_eq_u32_e32 vcc, 0, v5
	v_cndmask_b32_e64 v6, 0, v6, s[20:21]
	v_or_b32_e32 v10, 0x800000, v9
	v_cndmask_b32_e32 v6, v6, v31, vcc
	v_cndmask_b32_e32 v36, v10, v9, vcc
	v_add_u32_e32 v9, 20, v6
	v_lshlrev_b64 v[9:10], v9, -1
	v_add_u32_e32 v11, 19, v6
	v_lshlrev_b64 v[14:15], v11, 1
	v_bfi_b32 v10, v10, 0, 0
	v_bfi_b32 v9, v9, 0, v36
	v_cmp_eq_u64_e64 s[20:21], v[9:10], v[14:15]
	v_lshrrev_b64 v[10:11], v6, v[36:37]
	v_mov_b32_e32 v15, v11
	v_mov_b32_e32 v14, v10
	s_and_saveexec_b64 s[92:93], s[20:21]
; %bb.648:                              ;   in Loop: Header=BB4_124 Depth=2
	v_bfe_u32 v9, v10, 20, 1
	v_add_co_u32_e64 v9, s[20:21], v10, v9
	v_add_co_u32_e64 v14, s[20:21], -1, v9
; %bb.649:                              ;   in Loop: Header=BB4_124 Depth=2
	s_or_b64 exec, exec, s[92:93]
	v_add_u32_e32 v5, 0xffffff81, v5
	v_cndmask_b32_e32 v5, v5, v62, vcc
	v_lshrrev_b32_e32 v9, 23, v10
	v_add3_u32 v9, v6, v5, v9
	v_add_u32_e32 v6, 6, v9
	v_and_b32_e32 v5, 0xfffff, v14
	v_add_u32_e32 v36, v5, v10
	v_cmp_ne_u32_e32 vcc, 0, v6
                                        ; implicit-def: $vgpr10_vgpr11
                                        ; implicit-def: $vgpr5
	s_and_saveexec_b64 s[20:21], vcc
	s_xor_b64 s[20:21], exec, s[20:21]
; %bb.650:                              ;   in Loop: Header=BB4_124 Depth=2
	v_cmp_lt_u64_e32 vcc, s[60:61], v[36:37]
	v_add_u32_e32 v5, 7, v9
	v_cndmask_b32_e32 v5, v6, v5, vcc
	v_cndmask_b32_e64 v6, 0, 1, vcc
	v_lshrrev_b64 v[10:11], v6, v[36:37]
; %bb.651:                              ;   in Loop: Header=BB4_124 Depth=2
	s_andn2_saveexec_b64 s[20:21], s[20:21]
; %bb.652:                              ;   in Loop: Header=BB4_124 Depth=2
	v_mov_b32_e32 v10, v36
	v_bfe_u32 v5, v36, 23, 1
	v_mov_b32_e32 v11, v37
; %bb.653:                              ;   in Loop: Header=BB4_124 Depth=2
	s_or_b64 exec, exec, s[20:21]
	v_lshrrev_b64 v[9:10], 20, v[10:11]
	v_cmp_gt_i32_e32 vcc, 16, v5
	v_cndmask_b32_e32 v10, 0, v10, vcc
	v_cndmask_b32_e32 v9, 7, v9, vcc
	v_cmp_eq_u32_e32 vcc, 0, v5
	v_min_i32_e32 v5, 15, v5
	v_cmp_eq_u64_e64 s[20:21], 0, v[9:10]
	v_lshlrev_b32_e32 v5, 3, v5
	v_and_b32_e32 v5, 0xf8, v5
	v_and_or_b32 v5, v9, 7, v5
	s_and_b64 s[20:21], vcc, s[20:21]
	v_cndmask_b32_e64 v5, v5, 0, s[20:21]
	v_or_b32_e32 v51, v5, v1
.LBB4_654:                              ;   in Loop: Header=BB4_124 Depth=2
	s_or_b64 exec, exec, s[90:91]
                                        ; implicit-def: $vgpr1
.LBB4_655:                              ;   in Loop: Header=BB4_124 Depth=2
	s_andn2_saveexec_b64 s[20:21], s[88:89]
; %bb.656:                              ;   in Loop: Header=BB4_124 Depth=2
	v_or_b32_e32 v51, 0x7e, v1
; %bb.657:                              ;   in Loop: Header=BB4_124 Depth=2
	s_or_b64 exec, exec, s[20:21]
                                        ; implicit-def: $vgpr5
.LBB4_658:                              ;   in Loop: Header=BB4_124 Depth=2
	s_andn2_saveexec_b64 s[20:21], s[78:79]
; %bb.659:                              ;   in Loop: Header=BB4_124 Depth=2
	v_or_b32_sdwa v51, v5, s51 dst_sel:DWORD dst_unused:UNUSED_PAD src0_sel:BYTE_3 src1_sel:DWORD
; %bb.660:                              ;   in Loop: Header=BB4_124 Depth=2
	s_or_b64 exec, exec, s[20:21]
	v_cmp_ne_u16_sdwa s[78:79], v12, v37 src0_sel:BYTE_0 src1_sel:DWORD
	v_mov_b32_e32 v1, 0
	s_and_saveexec_b64 s[20:21], s[78:79]
	s_cbranch_execz .LBB4_666
; %bb.661:                              ;   in Loop: Header=BB4_124 Depth=2
	v_cmp_ne_u16_sdwa s[88:89], v12, s53 src0_sel:BYTE_0 src1_sel:DWORD
	v_bfrev_b32_e32 v1, 1
	s_and_saveexec_b64 s[78:79], s[88:89]
	s_cbranch_execz .LBB4_665
; %bb.662:                              ;   in Loop: Header=BB4_124 Depth=2
	v_and_b32_e32 v5, 0x7f, v12
	v_cmp_ne_u32_e32 vcc, s51, v5
	v_mov_b32_e32 v1, 0x7f800001
	s_and_saveexec_b64 s[88:89], vcc
	s_cbranch_execz .LBB4_664
; %bb.663:                              ;   in Loop: Header=BB4_124 Depth=2
	v_and_b32_e32 v1, 7, v12
	v_ffbh_u32_e32 v1, v1
	v_min_u32_e32 v1, 32, v1
	v_lshrrev_b32_e32 v6, 3, v5
	v_cmp_gt_u32_e32 vcc, 8, v5
	v_subrev_u32_e32 v5, 28, v1
	v_sub_u32_e32 v1, 29, v1
	v_cndmask_b32_e32 v5, 0, v5, vcc
	v_cndmask_b32_e32 v1, v6, v1, vcc
	v_lshlrev_b64 v[5:6], v5, v[12:13]
	v_lshlrev_b32_e32 v6, 24, v12
	v_lshlrev_b32_e32 v5, 20, v5
	v_and_b32_e32 v5, 0x700000, v5
	v_and_b32_e32 v6, 0x80000000, v6
	v_lshl_add_u32 v1, v1, 23, v58
	v_or3_b32 v1, v6, v1, v5
.LBB4_664:                              ;   in Loop: Header=BB4_124 Depth=2
	s_or_b64 exec, exec, s[88:89]
.LBB4_665:                              ;   in Loop: Header=BB4_124 Depth=2
	s_or_b64 exec, exec, s[78:79]
.LBB4_666:                              ;   in Loop: Header=BB4_124 Depth=2
	s_or_b64 exec, exec, s[20:21]
	v_mul_f32_e32 v6, v4, v1
	v_and_b32_e32 v36, 0x7f800000, v6
	v_cmp_ne_u64_e32 vcc, s[56:57], v[36:37]
                                        ; implicit-def: $vgpr5
	s_and_saveexec_b64 s[20:21], vcc
	s_xor_b64 s[78:79], exec, s[20:21]
	s_cbranch_execz .LBB4_680
; %bb.667:                              ;   in Loop: Header=BB4_124 Depth=2
	v_and_b32_e32 v36, 0x7fffffff, v6
	v_cmp_gt_u64_e32 vcc, s[58:59], v[36:37]
	v_and_b32_sdwa v1, v6, s53 dst_sel:DWORD dst_unused:UNUSED_PAD src0_sel:BYTE_3 src1_sel:DWORD
                                        ; implicit-def: $vgpr5
	s_and_saveexec_b64 s[20:21], vcc
	s_xor_b64 s[88:89], exec, s[20:21]
	s_cbranch_execz .LBB4_677
; %bb.668:                              ;   in Loop: Header=BB4_124 Depth=2
	v_mov_b32_e32 v5, 0
	v_cmp_ne_u32_e32 vcc, 0, v6
	s_and_saveexec_b64 s[90:91], vcc
	s_cbranch_execz .LBB4_676
; %bb.669:                              ;   in Loop: Header=BB4_124 Depth=2
	v_bfe_u32 v5, v6, 23, 8
	v_and_b32_e32 v9, 0x7fffff, v6
	v_cmp_gt_u32_e64 s[20:21], s54, v5
	v_sub_u32_e32 v6, 0x79, v5
	v_cmp_eq_u32_e32 vcc, 0, v5
	v_cndmask_b32_e64 v6, 0, v6, s[20:21]
	v_or_b32_e32 v10, 0x800000, v9
	v_cndmask_b32_e32 v6, v6, v31, vcc
	v_cndmask_b32_e32 v36, v10, v9, vcc
	v_add_u32_e32 v9, 20, v6
	v_lshlrev_b64 v[9:10], v9, -1
	v_add_u32_e32 v11, 19, v6
	v_lshlrev_b64 v[14:15], v11, 1
	v_bfi_b32 v10, v10, 0, 0
	v_bfi_b32 v9, v9, 0, v36
	v_cmp_eq_u64_e64 s[20:21], v[9:10], v[14:15]
	v_lshrrev_b64 v[10:11], v6, v[36:37]
	v_mov_b32_e32 v15, v11
	v_mov_b32_e32 v14, v10
	s_and_saveexec_b64 s[92:93], s[20:21]
; %bb.670:                              ;   in Loop: Header=BB4_124 Depth=2
	v_bfe_u32 v9, v10, 20, 1
	v_add_co_u32_e64 v9, s[20:21], v10, v9
	v_add_co_u32_e64 v14, s[20:21], -1, v9
; %bb.671:                              ;   in Loop: Header=BB4_124 Depth=2
	s_or_b64 exec, exec, s[92:93]
	v_add_u32_e32 v5, 0xffffff81, v5
	v_cndmask_b32_e32 v5, v5, v62, vcc
	v_lshrrev_b32_e32 v9, 23, v10
	v_add3_u32 v9, v6, v5, v9
	v_add_u32_e32 v6, 6, v9
	v_and_b32_e32 v5, 0xfffff, v14
	v_add_u32_e32 v36, v5, v10
	v_cmp_ne_u32_e32 vcc, 0, v6
                                        ; implicit-def: $vgpr10_vgpr11
                                        ; implicit-def: $vgpr5
	s_and_saveexec_b64 s[20:21], vcc
	s_xor_b64 s[20:21], exec, s[20:21]
; %bb.672:                              ;   in Loop: Header=BB4_124 Depth=2
	v_cmp_lt_u64_e32 vcc, s[60:61], v[36:37]
	v_add_u32_e32 v5, 7, v9
	v_cndmask_b32_e32 v5, v6, v5, vcc
	v_cndmask_b32_e64 v6, 0, 1, vcc
	v_lshrrev_b64 v[10:11], v6, v[36:37]
; %bb.673:                              ;   in Loop: Header=BB4_124 Depth=2
	s_andn2_saveexec_b64 s[20:21], s[20:21]
; %bb.674:                              ;   in Loop: Header=BB4_124 Depth=2
	v_mov_b32_e32 v10, v36
	v_bfe_u32 v5, v36, 23, 1
	v_mov_b32_e32 v11, v37
; %bb.675:                              ;   in Loop: Header=BB4_124 Depth=2
	s_or_b64 exec, exec, s[20:21]
	v_lshrrev_b64 v[9:10], 20, v[10:11]
	v_cmp_gt_i32_e32 vcc, 16, v5
	v_cndmask_b32_e32 v10, 0, v10, vcc
	v_cndmask_b32_e32 v9, 7, v9, vcc
	v_cmp_eq_u32_e32 vcc, 0, v5
	v_min_i32_e32 v5, 15, v5
	v_cmp_eq_u64_e64 s[20:21], 0, v[9:10]
	v_lshlrev_b32_e32 v5, 3, v5
	v_and_b32_e32 v5, 0xf8, v5
	v_and_or_b32 v5, v9, 7, v5
	s_and_b64 s[20:21], vcc, s[20:21]
	v_cndmask_b32_e64 v5, v5, 0, s[20:21]
	v_or_b32_e32 v5, v5, v1
.LBB4_676:                              ;   in Loop: Header=BB4_124 Depth=2
	s_or_b64 exec, exec, s[90:91]
                                        ; implicit-def: $vgpr1
.LBB4_677:                              ;   in Loop: Header=BB4_124 Depth=2
	s_andn2_saveexec_b64 s[20:21], s[88:89]
; %bb.678:                              ;   in Loop: Header=BB4_124 Depth=2
	v_or_b32_e32 v5, 0x7e, v1
; %bb.679:                              ;   in Loop: Header=BB4_124 Depth=2
	s_or_b64 exec, exec, s[20:21]
                                        ; implicit-def: $vgpr6
.LBB4_680:                              ;   in Loop: Header=BB4_124 Depth=2
	s_andn2_saveexec_b64 s[20:21], s[78:79]
; %bb.681:                              ;   in Loop: Header=BB4_124 Depth=2
	v_or_b32_sdwa v5, v6, s51 dst_sel:DWORD dst_unused:UNUSED_PAD src0_sel:BYTE_3 src1_sel:DWORD
; %bb.682:                              ;   in Loop: Header=BB4_124 Depth=2
	s_or_b64 exec, exec, s[20:21]
	v_lshrrev_b16_e32 v10, 8, v12
	v_cmp_ne_u16_e32 vcc, 0, v10
	v_mov_b32_e32 v1, 0
	s_and_saveexec_b64 s[20:21], vcc
	s_cbranch_execz .LBB4_688
; %bb.683:                              ;   in Loop: Header=BB4_124 Depth=2
	v_cmp_ne_u16_e32 vcc, s53, v10
	v_bfrev_b32_e32 v1, 1
	s_and_saveexec_b64 s[78:79], vcc
	s_cbranch_execz .LBB4_687
; %bb.684:                              ;   in Loop: Header=BB4_124 Depth=2
	v_and_b32_e32 v6, 0x7f, v10
	v_cmp_ne_u32_e32 vcc, s51, v6
	v_mov_b32_e32 v1, 0x7f800001
	s_and_saveexec_b64 s[88:89], vcc
	s_cbranch_execz .LBB4_686
; %bb.685:                              ;   in Loop: Header=BB4_124 Depth=2
	v_and_b32_e32 v1, 7, v10
	v_lshrrev_b32_e32 v11, 3, v6
	v_cmp_gt_u32_e32 vcc, 8, v6
	v_ffbh_u32_e32 v6, v1
	v_min_u32_e32 v6, 32, v6
	v_subrev_u32_e32 v9, 28, v6
	v_lshlrev_b64 v[9:10], v9, v[10:11]
	v_sub_u32_e32 v6, 29, v6
	v_and_b32_e32 v9, 7, v9
	v_cndmask_b32_e32 v6, v11, v6, vcc
	v_cndmask_b32_e32 v1, v1, v9, vcc
	v_lshlrev_b32_e32 v9, 16, v12
	v_lshlrev_b32_e32 v1, 20, v1
	v_and_b32_e32 v9, 0x80000000, v9
	v_lshl_add_u32 v6, v6, 23, v58
	v_or3_b32 v1, v9, v6, v1
.LBB4_686:                              ;   in Loop: Header=BB4_124 Depth=2
	s_or_b64 exec, exec, s[88:89]
.LBB4_687:                              ;   in Loop: Header=BB4_124 Depth=2
	s_or_b64 exec, exec, s[78:79]
.LBB4_688:                              ;   in Loop: Header=BB4_124 Depth=2
	s_or_b64 exec, exec, s[20:21]
	v_mul_f32_e32 v6, v4, v1
	v_and_b32_e32 v36, 0x7f800000, v6
	v_cmp_ne_u64_e32 vcc, s[56:57], v[36:37]
                                        ; implicit-def: $vgpr9
	s_and_saveexec_b64 s[20:21], vcc
	s_xor_b64 s[78:79], exec, s[20:21]
	s_cbranch_execz .LBB4_702
; %bb.689:                              ;   in Loop: Header=BB4_124 Depth=2
	v_and_b32_e32 v36, 0x7fffffff, v6
	v_cmp_gt_u64_e32 vcc, s[58:59], v[36:37]
	v_and_b32_sdwa v1, v6, s53 dst_sel:DWORD dst_unused:UNUSED_PAD src0_sel:BYTE_3 src1_sel:DWORD
                                        ; implicit-def: $vgpr9
	s_and_saveexec_b64 s[20:21], vcc
	s_xor_b64 s[88:89], exec, s[20:21]
	s_cbranch_execz .LBB4_699
; %bb.690:                              ;   in Loop: Header=BB4_124 Depth=2
	v_mov_b32_e32 v9, 0
	v_cmp_ne_u32_e32 vcc, 0, v6
	s_and_saveexec_b64 s[90:91], vcc
	s_cbranch_execz .LBB4_698
; %bb.691:                              ;   in Loop: Header=BB4_124 Depth=2
	v_and_b32_e32 v10, 0x7fffff, v6
	v_bfe_u32 v6, v6, 23, 8
	v_cmp_gt_u32_e64 s[20:21], s54, v6
	v_sub_u32_e32 v9, 0x79, v6
	v_cmp_eq_u32_e32 vcc, 0, v6
	v_cndmask_b32_e64 v9, 0, v9, s[20:21]
	v_or_b32_e32 v11, 0x800000, v10
	v_cndmask_b32_e32 v9, v9, v31, vcc
	v_cndmask_b32_e32 v36, v11, v10, vcc
	v_add_u32_e32 v10, 20, v9
	v_lshlrev_b64 v[10:11], v10, -1
	v_add_u32_e32 v14, 19, v9
	v_lshlrev_b64 v[14:15], v14, 1
	v_bfi_b32 v11, v11, 0, 0
	v_bfi_b32 v10, v10, 0, v36
	v_cmp_eq_u64_e64 s[20:21], v[10:11], v[14:15]
	v_lshrrev_b64 v[10:11], v9, v[36:37]
	v_mov_b32_e32 v15, v11
	v_mov_b32_e32 v14, v10
	s_and_saveexec_b64 s[92:93], s[20:21]
; %bb.692:                              ;   in Loop: Header=BB4_124 Depth=2
	v_bfe_u32 v11, v10, 20, 1
	v_add_co_u32_e64 v11, s[20:21], v10, v11
	v_add_co_u32_e64 v14, s[20:21], -1, v11
; %bb.693:                              ;   in Loop: Header=BB4_124 Depth=2
	s_or_b64 exec, exec, s[92:93]
	v_add_u32_e32 v6, 0xffffff81, v6
	v_cndmask_b32_e32 v6, v6, v62, vcc
	v_lshrrev_b32_e32 v11, 23, v10
	v_add3_u32 v15, v9, v6, v11
	v_add_u32_e32 v9, 6, v15
	v_and_b32_e32 v6, 0xfffff, v14
	v_add_u32_e32 v36, v6, v10
	v_cmp_ne_u32_e32 vcc, 0, v9
                                        ; implicit-def: $vgpr10_vgpr11
                                        ; implicit-def: $vgpr6
	s_and_saveexec_b64 s[20:21], vcc
	s_xor_b64 s[20:21], exec, s[20:21]
; %bb.694:                              ;   in Loop: Header=BB4_124 Depth=2
	v_cmp_lt_u64_e32 vcc, s[60:61], v[36:37]
	v_add_u32_e32 v6, 7, v15
	v_cndmask_b32_e32 v6, v9, v6, vcc
	v_cndmask_b32_e64 v9, 0, 1, vcc
	v_lshrrev_b64 v[10:11], v9, v[36:37]
; %bb.695:                              ;   in Loop: Header=BB4_124 Depth=2
	s_andn2_saveexec_b64 s[20:21], s[20:21]
; %bb.696:                              ;   in Loop: Header=BB4_124 Depth=2
	v_mov_b32_e32 v10, v36
	v_bfe_u32 v6, v36, 23, 1
	v_mov_b32_e32 v11, v37
; %bb.697:                              ;   in Loop: Header=BB4_124 Depth=2
	s_or_b64 exec, exec, s[20:21]
	v_lshrrev_b64 v[9:10], 20, v[10:11]
	v_cmp_gt_i32_e32 vcc, 16, v6
	v_cndmask_b32_e32 v10, 0, v10, vcc
	v_cndmask_b32_e32 v9, 7, v9, vcc
	v_cmp_eq_u32_e32 vcc, 0, v6
	v_min_i32_e32 v6, 15, v6
	v_cmp_eq_u64_e64 s[20:21], 0, v[9:10]
	v_lshlrev_b32_e32 v6, 3, v6
	v_and_b32_e32 v6, 0xf8, v6
	v_and_or_b32 v6, v9, 7, v6
	s_and_b64 s[20:21], vcc, s[20:21]
	v_cndmask_b32_e64 v6, v6, 0, s[20:21]
	v_or_b32_e32 v9, v6, v1
.LBB4_698:                              ;   in Loop: Header=BB4_124 Depth=2
	s_or_b64 exec, exec, s[90:91]
                                        ; implicit-def: $vgpr1
.LBB4_699:                              ;   in Loop: Header=BB4_124 Depth=2
	s_andn2_saveexec_b64 s[20:21], s[88:89]
; %bb.700:                              ;   in Loop: Header=BB4_124 Depth=2
	v_or_b32_e32 v9, 0x7e, v1
; %bb.701:                              ;   in Loop: Header=BB4_124 Depth=2
	s_or_b64 exec, exec, s[20:21]
                                        ; implicit-def: $vgpr6
.LBB4_702:                              ;   in Loop: Header=BB4_124 Depth=2
	s_andn2_saveexec_b64 s[20:21], s[78:79]
; %bb.703:                              ;   in Loop: Header=BB4_124 Depth=2
	v_or_b32_sdwa v9, v6, s51 dst_sel:DWORD dst_unused:UNUSED_PAD src0_sel:BYTE_3 src1_sel:DWORD
; %bb.704:                              ;   in Loop: Header=BB4_124 Depth=2
	s_or_b64 exec, exec, s[20:21]
	v_lshrrev_b32_e32 v10, 16, v12
	v_cmp_ne_u16_sdwa s[78:79], v10, v37 src0_sel:BYTE_0 src1_sel:DWORD
	v_mov_b32_e32 v1, 0
	s_and_saveexec_b64 s[20:21], s[78:79]
	s_cbranch_execz .LBB4_710
; %bb.705:                              ;   in Loop: Header=BB4_124 Depth=2
	v_cmp_ne_u16_sdwa s[88:89], v10, s53 src0_sel:BYTE_0 src1_sel:DWORD
	v_bfrev_b32_e32 v1, 1
	s_and_saveexec_b64 s[78:79], s[88:89]
	s_cbranch_execz .LBB4_709
; %bb.706:                              ;   in Loop: Header=BB4_124 Depth=2
	v_bfe_u32 v6, v12, 16, 7
	v_cmp_ne_u32_e32 vcc, s51, v6
	v_mov_b32_e32 v1, 0x7f800001
	s_and_saveexec_b64 s[88:89], vcc
	s_cbranch_execz .LBB4_708
; %bb.707:                              ;   in Loop: Header=BB4_124 Depth=2
	v_and_b32_e32 v1, 7, v10
	v_lshrrev_b32_e32 v11, 3, v6
	v_cmp_gt_u32_e32 vcc, 8, v6
	v_ffbh_u32_e32 v6, v1
	v_min_u32_e32 v6, 32, v6
	v_subrev_u32_e32 v14, 28, v6
	v_lshlrev_b64 v[14:15], v14, v[10:11]
	v_sub_u32_e32 v6, 29, v6
	v_and_b32_e32 v14, 7, v14
	v_cndmask_b32_e32 v6, v11, v6, vcc
	v_cndmask_b32_e32 v1, v1, v14, vcc
	v_lshlrev_b32_e32 v10, 24, v10
	v_lshlrev_b32_e32 v1, 20, v1
	v_and_b32_e32 v10, 0x80000000, v10
	v_lshl_add_u32 v6, v6, 23, v58
	v_or3_b32 v1, v10, v6, v1
.LBB4_708:                              ;   in Loop: Header=BB4_124 Depth=2
	s_or_b64 exec, exec, s[88:89]
.LBB4_709:                              ;   in Loop: Header=BB4_124 Depth=2
	s_or_b64 exec, exec, s[78:79]
.LBB4_710:                              ;   in Loop: Header=BB4_124 Depth=2
	s_or_b64 exec, exec, s[20:21]
	v_mul_f32_e32 v6, v4, v1
	v_and_b32_e32 v36, 0x7f800000, v6
	v_cmp_ne_u64_e32 vcc, s[56:57], v[36:37]
                                        ; implicit-def: $vgpr25
	s_and_saveexec_b64 s[20:21], vcc
	s_xor_b64 s[78:79], exec, s[20:21]
	s_cbranch_execz .LBB4_724
; %bb.711:                              ;   in Loop: Header=BB4_124 Depth=2
	v_and_b32_e32 v36, 0x7fffffff, v6
	v_cmp_gt_u64_e32 vcc, s[58:59], v[36:37]
	v_and_b32_sdwa v1, v6, s53 dst_sel:DWORD dst_unused:UNUSED_PAD src0_sel:BYTE_3 src1_sel:DWORD
                                        ; implicit-def: $vgpr25
	s_and_saveexec_b64 s[20:21], vcc
	s_xor_b64 s[88:89], exec, s[20:21]
	s_cbranch_execz .LBB4_721
; %bb.712:                              ;   in Loop: Header=BB4_124 Depth=2
	v_mov_b32_e32 v25, 0
	v_cmp_ne_u32_e32 vcc, 0, v6
	s_and_saveexec_b64 s[90:91], vcc
	s_cbranch_execz .LBB4_720
; %bb.713:                              ;   in Loop: Header=BB4_124 Depth=2
	v_and_b32_e32 v10, 0x7fffff, v6
	v_bfe_u32 v6, v6, 23, 8
	v_cmp_gt_u32_e64 s[20:21], s54, v6
	v_sub_u32_e32 v11, 0x79, v6
	v_cmp_eq_u32_e32 vcc, 0, v6
	v_cndmask_b32_e64 v11, 0, v11, s[20:21]
	v_or_b32_e32 v14, 0x800000, v10
	v_cndmask_b32_e32 v16, v11, v31, vcc
	v_cndmask_b32_e32 v36, v14, v10, vcc
	v_add_u32_e32 v10, 20, v16
	v_lshlrev_b64 v[10:11], v10, -1
	v_add_u32_e32 v14, 19, v16
	v_lshlrev_b64 v[14:15], v14, 1
	v_bfi_b32 v11, v11, 0, 0
	v_bfi_b32 v10, v10, 0, v36
	v_cmp_eq_u64_e64 s[20:21], v[10:11], v[14:15]
	v_lshrrev_b64 v[10:11], v16, v[36:37]
	v_mov_b32_e32 v15, v11
	v_mov_b32_e32 v14, v10
	s_and_saveexec_b64 s[92:93], s[20:21]
; %bb.714:                              ;   in Loop: Header=BB4_124 Depth=2
	v_bfe_u32 v11, v10, 20, 1
	v_add_co_u32_e64 v11, s[20:21], v10, v11
	v_add_co_u32_e64 v14, s[20:21], -1, v11
; %bb.715:                              ;   in Loop: Header=BB4_124 Depth=2
	s_or_b64 exec, exec, s[92:93]
	v_add_u32_e32 v6, 0xffffff81, v6
	v_cndmask_b32_e32 v6, v6, v62, vcc
	v_lshrrev_b32_e32 v11, 23, v10
	v_add3_u32 v16, v16, v6, v11
	v_add_u32_e32 v15, 6, v16
	v_and_b32_e32 v6, 0xfffff, v14
	v_add_u32_e32 v36, v6, v10
	v_cmp_ne_u32_e32 vcc, 0, v15
                                        ; implicit-def: $vgpr10_vgpr11
                                        ; implicit-def: $vgpr6
	s_and_saveexec_b64 s[20:21], vcc
	s_xor_b64 s[20:21], exec, s[20:21]
; %bb.716:                              ;   in Loop: Header=BB4_124 Depth=2
	v_cmp_lt_u64_e32 vcc, s[60:61], v[36:37]
	v_add_u32_e32 v6, 7, v16
	v_cndmask_b32_e64 v10, 0, 1, vcc
	v_lshrrev_b64 v[10:11], v10, v[36:37]
	v_cndmask_b32_e32 v6, v15, v6, vcc
; %bb.717:                              ;   in Loop: Header=BB4_124 Depth=2
	s_andn2_saveexec_b64 s[20:21], s[20:21]
; %bb.718:                              ;   in Loop: Header=BB4_124 Depth=2
	v_mov_b32_e32 v10, v36
	v_bfe_u32 v6, v36, 23, 1
	v_mov_b32_e32 v11, v37
; %bb.719:                              ;   in Loop: Header=BB4_124 Depth=2
	s_or_b64 exec, exec, s[20:21]
	v_lshrrev_b64 v[10:11], 20, v[10:11]
	v_cmp_gt_i32_e32 vcc, 16, v6
	v_cndmask_b32_e32 v11, 0, v11, vcc
	v_cndmask_b32_e32 v10, 7, v10, vcc
	v_cmp_eq_u32_e32 vcc, 0, v6
	v_min_i32_e32 v6, 15, v6
	v_cmp_eq_u64_e64 s[20:21], 0, v[10:11]
	v_lshlrev_b32_e32 v6, 3, v6
	v_and_b32_e32 v6, 0xf8, v6
	v_and_or_b32 v6, v10, 7, v6
	s_and_b64 s[20:21], vcc, s[20:21]
	v_cndmask_b32_e64 v6, v6, 0, s[20:21]
	v_or_b32_e32 v25, v6, v1
.LBB4_720:                              ;   in Loop: Header=BB4_124 Depth=2
	s_or_b64 exec, exec, s[90:91]
                                        ; implicit-def: $vgpr1
.LBB4_721:                              ;   in Loop: Header=BB4_124 Depth=2
	s_andn2_saveexec_b64 s[20:21], s[88:89]
; %bb.722:                              ;   in Loop: Header=BB4_124 Depth=2
	v_or_b32_e32 v25, 0x7e, v1
; %bb.723:                              ;   in Loop: Header=BB4_124 Depth=2
	s_or_b64 exec, exec, s[20:21]
                                        ; implicit-def: $vgpr6
.LBB4_724:                              ;   in Loop: Header=BB4_124 Depth=2
	s_andn2_saveexec_b64 s[20:21], s[78:79]
; %bb.725:                              ;   in Loop: Header=BB4_124 Depth=2
	v_or_b32_sdwa v25, v6, s51 dst_sel:DWORD dst_unused:UNUSED_PAD src0_sel:BYTE_3 src1_sel:DWORD
; %bb.726:                              ;   in Loop: Header=BB4_124 Depth=2
	s_or_b64 exec, exec, s[20:21]
	v_cmp_lt_u32_e32 vcc, s63, v12
	v_mov_b32_e32 v1, 0
	s_and_saveexec_b64 s[20:21], vcc
	s_cbranch_execz .LBB4_732
; %bb.727:                              ;   in Loop: Header=BB4_124 Depth=2
	v_lshrrev_b32_e32 v10, 24, v12
	v_cmp_ne_u32_e32 vcc, s53, v10
	v_bfrev_b32_e32 v1, 1
	s_and_saveexec_b64 s[78:79], vcc
	s_cbranch_execz .LBB4_731
; %bb.728:                              ;   in Loop: Header=BB4_124 Depth=2
	v_bfe_u32 v6, v12, 24, 7
	v_cmp_ne_u32_e32 vcc, s51, v6
	v_mov_b32_e32 v1, 0x7f800001
	s_and_saveexec_b64 s[88:89], vcc
	s_cbranch_execz .LBB4_730
; %bb.729:                              ;   in Loop: Header=BB4_124 Depth=2
	v_and_b32_e32 v1, 7, v10
	v_lshrrev_b32_e32 v11, 3, v6
	v_cmp_gt_u32_e32 vcc, 8, v6
	v_ffbh_u32_e32 v6, v1
	v_min_u32_e32 v6, 32, v6
	v_subrev_u32_e32 v14, 28, v6
	v_lshlrev_b64 v[14:15], v14, v[10:11]
	v_sub_u32_e32 v6, 29, v6
	v_and_b32_e32 v14, 7, v14
	v_cndmask_b32_e32 v6, v11, v6, vcc
	v_cndmask_b32_e32 v1, v1, v14, vcc
	v_lshlrev_b32_e32 v10, 24, v10
	v_lshlrev_b32_e32 v1, 20, v1
	v_and_b32_e32 v10, 0x80000000, v10
	v_lshl_add_u32 v6, v6, 23, v58
	v_or3_b32 v1, v10, v6, v1
.LBB4_730:                              ;   in Loop: Header=BB4_124 Depth=2
	s_or_b64 exec, exec, s[88:89]
.LBB4_731:                              ;   in Loop: Header=BB4_124 Depth=2
	s_or_b64 exec, exec, s[78:79]
.LBB4_732:                              ;   in Loop: Header=BB4_124 Depth=2
	s_or_b64 exec, exec, s[20:21]
	v_mul_f32_e32 v6, v4, v1
	v_and_b32_e32 v36, 0x7f800000, v6
	v_cmp_ne_u64_e32 vcc, s[56:57], v[36:37]
                                        ; implicit-def: $vgpr56
	s_and_saveexec_b64 s[20:21], vcc
	s_xor_b64 s[78:79], exec, s[20:21]
	s_cbranch_execz .LBB4_746
; %bb.733:                              ;   in Loop: Header=BB4_124 Depth=2
	v_and_b32_e32 v36, 0x7fffffff, v6
	v_cmp_gt_u64_e32 vcc, s[58:59], v[36:37]
	v_and_b32_sdwa v1, v6, s53 dst_sel:DWORD dst_unused:UNUSED_PAD src0_sel:BYTE_3 src1_sel:DWORD
                                        ; implicit-def: $vgpr56
	s_and_saveexec_b64 s[20:21], vcc
	s_xor_b64 s[88:89], exec, s[20:21]
	s_cbranch_execz .LBB4_743
; %bb.734:                              ;   in Loop: Header=BB4_124 Depth=2
	v_mov_b32_e32 v56, 0
	v_cmp_ne_u32_e32 vcc, 0, v6
	s_and_saveexec_b64 s[90:91], vcc
	s_cbranch_execz .LBB4_742
; %bb.735:                              ;   in Loop: Header=BB4_124 Depth=2
	v_and_b32_e32 v10, 0x7fffff, v6
	v_bfe_u32 v6, v6, 23, 8
	v_cmp_gt_u32_e64 s[20:21], s54, v6
	v_sub_u32_e32 v11, 0x79, v6
	v_cmp_eq_u32_e32 vcc, 0, v6
	v_cndmask_b32_e64 v11, 0, v11, s[20:21]
	v_or_b32_e32 v14, 0x800000, v10
	v_cndmask_b32_e32 v16, v11, v31, vcc
	v_cndmask_b32_e32 v36, v14, v10, vcc
	v_add_u32_e32 v10, 20, v16
	v_lshlrev_b64 v[10:11], v10, -1
	v_add_u32_e32 v14, 19, v16
	v_lshlrev_b64 v[14:15], v14, 1
	v_bfi_b32 v11, v11, 0, 0
	v_bfi_b32 v10, v10, 0, v36
	v_cmp_eq_u64_e64 s[20:21], v[10:11], v[14:15]
	v_lshrrev_b64 v[10:11], v16, v[36:37]
	v_mov_b32_e32 v15, v11
	v_mov_b32_e32 v14, v10
	s_and_saveexec_b64 s[92:93], s[20:21]
; %bb.736:                              ;   in Loop: Header=BB4_124 Depth=2
	v_bfe_u32 v11, v10, 20, 1
	v_add_co_u32_e64 v11, s[20:21], v10, v11
	v_add_co_u32_e64 v14, s[20:21], -1, v11
; %bb.737:                              ;   in Loop: Header=BB4_124 Depth=2
	s_or_b64 exec, exec, s[92:93]
	v_add_u32_e32 v6, 0xffffff81, v6
	v_cndmask_b32_e32 v6, v6, v62, vcc
	v_lshrrev_b32_e32 v11, 23, v10
	v_add3_u32 v16, v16, v6, v11
	v_add_u32_e32 v15, 6, v16
	v_and_b32_e32 v6, 0xfffff, v14
	v_add_u32_e32 v36, v6, v10
	v_cmp_ne_u32_e32 vcc, 0, v15
                                        ; implicit-def: $vgpr10_vgpr11
                                        ; implicit-def: $vgpr6
	s_and_saveexec_b64 s[20:21], vcc
	s_xor_b64 s[20:21], exec, s[20:21]
; %bb.738:                              ;   in Loop: Header=BB4_124 Depth=2
	v_cmp_lt_u64_e32 vcc, s[60:61], v[36:37]
	v_add_u32_e32 v6, 7, v16
	v_cndmask_b32_e64 v10, 0, 1, vcc
	v_lshrrev_b64 v[10:11], v10, v[36:37]
	v_cndmask_b32_e32 v6, v15, v6, vcc
; %bb.739:                              ;   in Loop: Header=BB4_124 Depth=2
	s_andn2_saveexec_b64 s[20:21], s[20:21]
; %bb.740:                              ;   in Loop: Header=BB4_124 Depth=2
	v_mov_b32_e32 v10, v36
	v_bfe_u32 v6, v36, 23, 1
	v_mov_b32_e32 v11, v37
; %bb.741:                              ;   in Loop: Header=BB4_124 Depth=2
	s_or_b64 exec, exec, s[20:21]
	v_lshrrev_b64 v[10:11], 20, v[10:11]
	v_cmp_gt_i32_e32 vcc, 16, v6
	v_cndmask_b32_e32 v11, 0, v11, vcc
	v_cndmask_b32_e32 v10, 7, v10, vcc
	v_cmp_eq_u32_e32 vcc, 0, v6
	v_min_i32_e32 v6, 15, v6
	v_cmp_eq_u64_e64 s[20:21], 0, v[10:11]
	v_lshlrev_b32_e32 v6, 3, v6
	v_and_b32_e32 v6, 0xf8, v6
	v_and_or_b32 v6, v10, 7, v6
	s_and_b64 s[20:21], vcc, s[20:21]
	v_cndmask_b32_e64 v6, v6, 0, s[20:21]
	v_or_b32_e32 v56, v6, v1
.LBB4_742:                              ;   in Loop: Header=BB4_124 Depth=2
	s_or_b64 exec, exec, s[90:91]
                                        ; implicit-def: $vgpr1
.LBB4_743:                              ;   in Loop: Header=BB4_124 Depth=2
	s_andn2_saveexec_b64 s[20:21], s[88:89]
; %bb.744:                              ;   in Loop: Header=BB4_124 Depth=2
	v_or_b32_e32 v56, 0x7e, v1
; %bb.745:                              ;   in Loop: Header=BB4_124 Depth=2
	s_or_b64 exec, exec, s[20:21]
                                        ; implicit-def: $vgpr6
.LBB4_746:                              ;   in Loop: Header=BB4_124 Depth=2
	s_andn2_saveexec_b64 s[20:21], s[78:79]
; %bb.747:                              ;   in Loop: Header=BB4_124 Depth=2
	v_or_b32_sdwa v56, v6, s51 dst_sel:DWORD dst_unused:UNUSED_PAD src0_sel:BYTE_3 src1_sel:DWORD
; %bb.748:                              ;   in Loop: Header=BB4_124 Depth=2
	s_or_b64 exec, exec, s[20:21]
	v_mov_b32_e32 v36, v13
	v_cmp_ne_u16_sdwa s[78:79], v13, v37 src0_sel:BYTE_0 src1_sel:DWORD
	v_mov_b32_e32 v1, 0
	s_and_saveexec_b64 s[20:21], s[78:79]
	s_cbranch_execz .LBB4_754
; %bb.749:                              ;   in Loop: Header=BB4_124 Depth=2
	v_cmp_ne_u16_sdwa s[88:89], v13, s53 src0_sel:BYTE_0 src1_sel:DWORD
	v_bfrev_b32_e32 v1, 1
	s_and_saveexec_b64 s[78:79], s[88:89]
	s_cbranch_execz .LBB4_753
; %bb.750:                              ;   in Loop: Header=BB4_124 Depth=2
	v_and_b32_e32 v6, 0x7f, v13
	v_cmp_ne_u32_e32 vcc, s51, v6
	v_mov_b32_e32 v1, 0x7f800001
	s_and_saveexec_b64 s[88:89], vcc
	s_cbranch_execz .LBB4_752
; %bb.751:                              ;   in Loop: Header=BB4_124 Depth=2
	v_and_b32_e32 v1, 7, v13
	v_ffbh_u32_e32 v1, v1
	v_min_u32_e32 v1, 32, v1
	v_lshrrev_b32_e32 v10, 3, v6
	v_cmp_gt_u32_e32 vcc, 8, v6
	v_subrev_u32_e32 v6, 28, v1
	v_sub_u32_e32 v1, 29, v1
	v_cndmask_b32_e32 v6, 0, v6, vcc
	v_cndmask_b32_e32 v1, v10, v1, vcc
	v_lshlrev_b64 v[10:11], v6, v[36:37]
	v_lshl_add_u32 v1, v1, 23, v58
	v_lshlrev_b32_e32 v6, 20, v10
	v_lshlrev_b32_e32 v10, 24, v36
	v_and_b32_e32 v6, 0x700000, v6
	v_and_b32_e32 v10, 0x80000000, v10
	v_or3_b32 v1, v10, v1, v6
.LBB4_752:                              ;   in Loop: Header=BB4_124 Depth=2
	s_or_b64 exec, exec, s[88:89]
.LBB4_753:                              ;   in Loop: Header=BB4_124 Depth=2
	s_or_b64 exec, exec, s[78:79]
.LBB4_754:                              ;   in Loop: Header=BB4_124 Depth=2
	s_or_b64 exec, exec, s[20:21]
	v_mul_f32_e32 v10, v4, v1
	v_and_b32_e32 v14, 0x7f800000, v10
	v_mov_b32_e32 v15, v37
	v_cmp_ne_u64_e32 vcc, s[56:57], v[14:15]
                                        ; implicit-def: $vgpr1
	s_and_saveexec_b64 s[20:21], vcc
	s_xor_b64 s[78:79], exec, s[20:21]
	s_cbranch_execz .LBB4_768
; %bb.755:                              ;   in Loop: Header=BB4_124 Depth=2
	v_and_b32_e32 v14, 0x7fffffff, v10
	v_mov_b32_e32 v15, v37
	v_cmp_gt_u64_e32 vcc, s[58:59], v[14:15]
	v_and_b32_sdwa v6, v10, s53 dst_sel:DWORD dst_unused:UNUSED_PAD src0_sel:BYTE_3 src1_sel:DWORD
                                        ; implicit-def: $vgpr1
	s_and_saveexec_b64 s[20:21], vcc
	s_xor_b64 s[88:89], exec, s[20:21]
	s_cbranch_execz .LBB4_765
; %bb.756:                              ;   in Loop: Header=BB4_124 Depth=2
	v_mov_b32_e32 v1, 0
	v_cmp_ne_u32_e32 vcc, 0, v10
	s_and_saveexec_b64 s[90:91], vcc
	s_cbranch_execz .LBB4_764
; %bb.757:                              ;   in Loop: Header=BB4_124 Depth=2
	v_bfe_u32 v1, v10, 23, 8
	v_and_b32_e32 v11, 0x7fffff, v10
	v_cmp_gt_u32_e64 s[20:21], s54, v1
	v_sub_u32_e32 v10, 0x79, v1
	v_cmp_eq_u32_e32 vcc, 0, v1
	v_cndmask_b32_e64 v10, 0, v10, s[20:21]
	v_or_b32_e32 v14, 0x800000, v11
	v_cndmask_b32_e32 v16, v10, v31, vcc
	v_cndmask_b32_e32 v10, v14, v11, vcc
	v_add_u32_e32 v14, 20, v16
	v_lshlrev_b64 v[14:15], v14, -1
	v_mov_b32_e32 v11, v37
	v_add_u32_e32 v17, 19, v16
	v_bfi_b32 v14, v14, 0, v10
	v_lshlrev_b64 v[17:18], v17, 1
	v_lshrrev_b64 v[10:11], v16, v[10:11]
	v_bfi_b32 v15, v15, 0, 0
	v_cmp_eq_u64_e64 s[20:21], v[14:15], v[17:18]
	v_mov_b32_e32 v15, v11
	v_mov_b32_e32 v14, v10
	s_and_saveexec_b64 s[92:93], s[20:21]
; %bb.758:                              ;   in Loop: Header=BB4_124 Depth=2
	v_bfe_u32 v11, v10, 20, 1
	v_add_co_u32_e64 v11, s[20:21], v10, v11
	v_add_co_u32_e64 v14, s[20:21], -1, v11
; %bb.759:                              ;   in Loop: Header=BB4_124 Depth=2
	s_or_b64 exec, exec, s[92:93]
	v_add_u32_e32 v1, 0xffffff81, v1
	v_cndmask_b32_e32 v1, v1, v62, vcc
	v_lshrrev_b32_e32 v11, 23, v10
	v_add3_u32 v16, v16, v1, v11
	v_add_u32_e32 v15, 6, v16
	v_and_b32_e32 v1, 0xfffff, v14
	v_add_u32_e32 v10, v1, v10
	v_mov_b32_e32 v11, v37
	v_cmp_ne_u32_e32 vcc, 0, v15
                                        ; implicit-def: $vgpr1
	s_and_saveexec_b64 s[20:21], vcc
	s_xor_b64 s[20:21], exec, s[20:21]
; %bb.760:                              ;   in Loop: Header=BB4_124 Depth=2
	v_cmp_lt_u64_e32 vcc, s[60:61], v[10:11]
	v_add_u32_e32 v1, 7, v16
	v_cndmask_b32_e64 v14, 0, 1, vcc
	v_lshrrev_b64 v[10:11], v14, v[10:11]
	v_cndmask_b32_e32 v1, v15, v1, vcc
; %bb.761:                              ;   in Loop: Header=BB4_124 Depth=2
	s_andn2_saveexec_b64 s[20:21], s[20:21]
; %bb.762:                              ;   in Loop: Header=BB4_124 Depth=2
	v_bfe_u32 v1, v10, 23, 1
; %bb.763:                              ;   in Loop: Header=BB4_124 Depth=2
	s_or_b64 exec, exec, s[20:21]
	v_lshrrev_b64 v[10:11], 20, v[10:11]
	v_cmp_gt_i32_e32 vcc, 16, v1
	v_cndmask_b32_e32 v11, 0, v11, vcc
	v_cndmask_b32_e32 v10, 7, v10, vcc
	v_cmp_eq_u32_e32 vcc, 0, v1
	v_min_i32_e32 v1, 15, v1
	v_cmp_eq_u64_e64 s[20:21], 0, v[10:11]
	v_lshlrev_b32_e32 v1, 3, v1
	v_and_b32_e32 v1, 0xf8, v1
	v_and_or_b32 v1, v10, 7, v1
	s_and_b64 s[20:21], vcc, s[20:21]
	v_cndmask_b32_e64 v1, v1, 0, s[20:21]
	v_or_b32_e32 v1, v1, v6
.LBB4_764:                              ;   in Loop: Header=BB4_124 Depth=2
	s_or_b64 exec, exec, s[90:91]
                                        ; implicit-def: $vgpr6
.LBB4_765:                              ;   in Loop: Header=BB4_124 Depth=2
	s_andn2_saveexec_b64 s[20:21], s[88:89]
; %bb.766:                              ;   in Loop: Header=BB4_124 Depth=2
	v_or_b32_e32 v1, 0x7e, v6
; %bb.767:                              ;   in Loop: Header=BB4_124 Depth=2
	s_or_b64 exec, exec, s[20:21]
                                        ; implicit-def: $vgpr10
.LBB4_768:                              ;   in Loop: Header=BB4_124 Depth=2
	s_andn2_saveexec_b64 s[20:21], s[78:79]
; %bb.769:                              ;   in Loop: Header=BB4_124 Depth=2
	v_or_b32_sdwa v1, v10, s51 dst_sel:DWORD dst_unused:UNUSED_PAD src0_sel:BYTE_3 src1_sel:DWORD
; %bb.770:                              ;   in Loop: Header=BB4_124 Depth=2
	s_or_b64 exec, exec, s[20:21]
	v_lshrrev_b16_e32 v10, 8, v36
	v_cmp_ne_u16_e32 vcc, 0, v10
	v_mov_b32_e32 v6, 0
	s_and_saveexec_b64 s[20:21], vcc
	s_cbranch_execz .LBB4_776
; %bb.771:                              ;   in Loop: Header=BB4_124 Depth=2
	v_cmp_ne_u16_e32 vcc, s53, v10
	v_bfrev_b32_e32 v6, 1
	s_and_saveexec_b64 s[78:79], vcc
	s_cbranch_execz .LBB4_775
; %bb.772:                              ;   in Loop: Header=BB4_124 Depth=2
	v_and_b32_e32 v11, 0x7f, v10
	v_cmp_ne_u32_e32 vcc, s51, v11
	v_mov_b32_e32 v6, 0x7f800001
	s_and_saveexec_b64 s[88:89], vcc
	s_cbranch_execz .LBB4_774
; %bb.773:                              ;   in Loop: Header=BB4_124 Depth=2
	v_and_b32_e32 v6, 7, v10
	v_lshrrev_b32_e32 v14, 3, v11
	v_cmp_gt_u32_e32 vcc, 8, v11
	v_ffbh_u32_e32 v11, v6
	v_min_u32_e32 v15, 32, v11
	v_subrev_u32_e32 v11, 28, v15
	v_lshlrev_b64 v[10:11], v11, v[10:11]
	v_sub_u32_e32 v11, 29, v15
	v_and_b32_e32 v10, 7, v10
	v_cndmask_b32_e32 v11, v14, v11, vcc
	v_cndmask_b32_e32 v6, v6, v10, vcc
	v_lshlrev_b32_e32 v10, 16, v36
	v_lshlrev_b32_e32 v6, 20, v6
	v_and_b32_e32 v10, 0x80000000, v10
	v_lshl_add_u32 v11, v11, 23, v58
	v_or3_b32 v6, v10, v11, v6
.LBB4_774:                              ;   in Loop: Header=BB4_124 Depth=2
	s_or_b64 exec, exec, s[88:89]
.LBB4_775:                              ;   in Loop: Header=BB4_124 Depth=2
	s_or_b64 exec, exec, s[78:79]
.LBB4_776:                              ;   in Loop: Header=BB4_124 Depth=2
	s_or_b64 exec, exec, s[20:21]
	v_mul_f32_e32 v10, v4, v6
	v_and_b32_e32 v36, 0x7f800000, v10
	v_cmp_ne_u64_e32 vcc, s[56:57], v[36:37]
                                        ; implicit-def: $vgpr6
	s_and_saveexec_b64 s[20:21], vcc
	s_xor_b64 s[78:79], exec, s[20:21]
	s_cbranch_execz .LBB4_790
; %bb.777:                              ;   in Loop: Header=BB4_124 Depth=2
	v_and_b32_e32 v36, 0x7fffffff, v10
	v_cmp_gt_u64_e32 vcc, s[58:59], v[36:37]
	v_and_b32_sdwa v16, v10, s53 dst_sel:DWORD dst_unused:UNUSED_PAD src0_sel:BYTE_3 src1_sel:DWORD
                                        ; implicit-def: $vgpr6
	s_and_saveexec_b64 s[20:21], vcc
	s_xor_b64 s[88:89], exec, s[20:21]
	s_cbranch_execz .LBB4_787
; %bb.778:                              ;   in Loop: Header=BB4_124 Depth=2
	v_mov_b32_e32 v6, 0
	v_cmp_ne_u32_e32 vcc, 0, v10
	s_and_saveexec_b64 s[90:91], vcc
	s_cbranch_execz .LBB4_786
; %bb.779:                              ;   in Loop: Header=BB4_124 Depth=2
	v_bfe_u32 v6, v10, 23, 8
	v_and_b32_e32 v11, 0x7fffff, v10
	v_cmp_gt_u32_e64 s[20:21], s54, v6
	v_sub_u32_e32 v10, 0x79, v6
	v_cmp_eq_u32_e32 vcc, 0, v6
	v_cndmask_b32_e64 v10, 0, v10, s[20:21]
	v_cndmask_b32_e32 v17, v10, v31, vcc
	v_or_b32_e32 v14, 0x800000, v11
	v_add_u32_e32 v10, 20, v17
	v_cndmask_b32_e32 v36, v14, v11, vcc
	v_lshlrev_b64 v[10:11], v10, -1
	v_add_u32_e32 v14, 19, v17
	v_lshlrev_b64 v[14:15], v14, 1
	v_bfi_b32 v11, v11, 0, 0
	v_bfi_b32 v10, v10, 0, v36
	v_cmp_eq_u64_e64 s[20:21], v[10:11], v[14:15]
	v_lshrrev_b64 v[10:11], v17, v[36:37]
	v_mov_b32_e32 v15, v11
	v_mov_b32_e32 v14, v10
	s_and_saveexec_b64 s[92:93], s[20:21]
; %bb.780:                              ;   in Loop: Header=BB4_124 Depth=2
	v_bfe_u32 v11, v10, 20, 1
	v_add_co_u32_e64 v11, s[20:21], v10, v11
	v_add_co_u32_e64 v14, s[20:21], -1, v11
; %bb.781:                              ;   in Loop: Header=BB4_124 Depth=2
	s_or_b64 exec, exec, s[92:93]
	v_add_u32_e32 v6, 0xffffff81, v6
	v_cndmask_b32_e32 v6, v6, v62, vcc
	v_lshrrev_b32_e32 v11, 23, v10
	v_add3_u32 v17, v17, v6, v11
	v_add_u32_e32 v15, 6, v17
	v_and_b32_e32 v6, 0xfffff, v14
	v_add_u32_e32 v36, v6, v10
	v_cmp_ne_u32_e32 vcc, 0, v15
                                        ; implicit-def: $vgpr10_vgpr11
                                        ; implicit-def: $vgpr6
	s_and_saveexec_b64 s[20:21], vcc
	s_xor_b64 s[20:21], exec, s[20:21]
; %bb.782:                              ;   in Loop: Header=BB4_124 Depth=2
	v_cmp_lt_u64_e32 vcc, s[60:61], v[36:37]
	v_add_u32_e32 v6, 7, v17
	v_cndmask_b32_e64 v10, 0, 1, vcc
	v_lshrrev_b64 v[10:11], v10, v[36:37]
	v_cndmask_b32_e32 v6, v15, v6, vcc
; %bb.783:                              ;   in Loop: Header=BB4_124 Depth=2
	s_andn2_saveexec_b64 s[20:21], s[20:21]
; %bb.784:                              ;   in Loop: Header=BB4_124 Depth=2
	v_mov_b32_e32 v10, v36
	v_bfe_u32 v6, v36, 23, 1
	v_mov_b32_e32 v11, v37
; %bb.785:                              ;   in Loop: Header=BB4_124 Depth=2
	s_or_b64 exec, exec, s[20:21]
	v_lshrrev_b64 v[10:11], 20, v[10:11]
	v_cmp_gt_i32_e32 vcc, 16, v6
	v_cndmask_b32_e32 v11, 0, v11, vcc
	v_cndmask_b32_e32 v10, 7, v10, vcc
	v_cmp_eq_u32_e32 vcc, 0, v6
	v_min_i32_e32 v6, 15, v6
	v_cmp_eq_u64_e64 s[20:21], 0, v[10:11]
	v_lshlrev_b32_e32 v6, 3, v6
	v_and_b32_e32 v6, 0xf8, v6
	v_and_or_b32 v6, v10, 7, v6
	s_and_b64 s[20:21], vcc, s[20:21]
	v_cndmask_b32_e64 v6, v6, 0, s[20:21]
	v_or_b32_e32 v6, v6, v16
.LBB4_786:                              ;   in Loop: Header=BB4_124 Depth=2
	s_or_b64 exec, exec, s[90:91]
                                        ; implicit-def: $vgpr16
.LBB4_787:                              ;   in Loop: Header=BB4_124 Depth=2
	s_andn2_saveexec_b64 s[20:21], s[88:89]
; %bb.788:                              ;   in Loop: Header=BB4_124 Depth=2
	v_or_b32_e32 v6, 0x7e, v16
; %bb.789:                              ;   in Loop: Header=BB4_124 Depth=2
	s_or_b64 exec, exec, s[20:21]
                                        ; implicit-def: $vgpr10
.LBB4_790:                              ;   in Loop: Header=BB4_124 Depth=2
	s_andn2_saveexec_b64 s[20:21], s[78:79]
; %bb.791:                              ;   in Loop: Header=BB4_124 Depth=2
	v_or_b32_sdwa v6, v10, s51 dst_sel:DWORD dst_unused:UNUSED_PAD src0_sel:BYTE_3 src1_sel:DWORD
; %bb.792:                              ;   in Loop: Header=BB4_124 Depth=2
	s_or_b64 exec, exec, s[20:21]
	v_lshrrev_b32_e32 v10, 16, v13
	v_cmp_ne_u16_sdwa s[78:79], v10, v37 src0_sel:BYTE_0 src1_sel:DWORD
	v_mov_b32_e32 v11, 0
	s_and_saveexec_b64 s[20:21], s[78:79]
	s_cbranch_execz .LBB4_798
; %bb.793:                              ;   in Loop: Header=BB4_124 Depth=2
	v_cmp_ne_u16_sdwa s[88:89], v10, s53 src0_sel:BYTE_0 src1_sel:DWORD
	v_bfrev_b32_e32 v11, 1
	s_and_saveexec_b64 s[78:79], s[88:89]
	s_cbranch_execz .LBB4_797
; %bb.794:                              ;   in Loop: Header=BB4_124 Depth=2
	v_bfe_u32 v14, v13, 16, 7
	v_cmp_ne_u32_e32 vcc, s51, v14
	v_mov_b32_e32 v11, 0x7f800001
	s_and_saveexec_b64 s[88:89], vcc
	s_cbranch_execz .LBB4_796
; %bb.795:                              ;   in Loop: Header=BB4_124 Depth=2
	v_and_b32_e32 v11, 7, v10
	v_lshrrev_b32_e32 v16, 3, v14
	v_cmp_gt_u32_e32 vcc, 8, v14
	v_ffbh_u32_e32 v14, v11
	v_min_u32_e32 v17, 32, v14
	v_subrev_u32_e32 v14, 28, v17
	v_lshlrev_b64 v[14:15], v14, v[10:11]
	v_sub_u32_e32 v15, 29, v17
	v_and_b32_e32 v14, 7, v14
	v_cndmask_b32_e32 v15, v16, v15, vcc
	v_cndmask_b32_e32 v11, v11, v14, vcc
	v_lshlrev_b32_e32 v10, 24, v10
	v_lshlrev_b32_e32 v11, 20, v11
	v_and_b32_e32 v10, 0x80000000, v10
	v_lshl_add_u32 v14, v15, 23, v58
	v_or3_b32 v11, v10, v14, v11
.LBB4_796:                              ;   in Loop: Header=BB4_124 Depth=2
	s_or_b64 exec, exec, s[88:89]
.LBB4_797:                              ;   in Loop: Header=BB4_124 Depth=2
	s_or_b64 exec, exec, s[78:79]
.LBB4_798:                              ;   in Loop: Header=BB4_124 Depth=2
	s_or_b64 exec, exec, s[20:21]
	v_mul_f32_e32 v10, v4, v11
	v_and_b32_e32 v36, 0x7f800000, v10
	v_cmp_ne_u64_e32 vcc, s[56:57], v[36:37]
                                        ; implicit-def: $vgpr18
	s_and_saveexec_b64 s[20:21], vcc
	s_xor_b64 s[78:79], exec, s[20:21]
	s_cbranch_execz .LBB4_812
; %bb.799:                              ;   in Loop: Header=BB4_124 Depth=2
	v_and_b32_e32 v36, 0x7fffffff, v10
	v_cmp_gt_u64_e32 vcc, s[58:59], v[36:37]
	v_and_b32_sdwa v16, v10, s53 dst_sel:DWORD dst_unused:UNUSED_PAD src0_sel:BYTE_3 src1_sel:DWORD
                                        ; implicit-def: $vgpr18
	s_and_saveexec_b64 s[20:21], vcc
	s_xor_b64 s[88:89], exec, s[20:21]
	s_cbranch_execz .LBB4_809
; %bb.800:                              ;   in Loop: Header=BB4_124 Depth=2
	v_mov_b32_e32 v18, 0
	v_cmp_ne_u32_e32 vcc, 0, v10
	s_and_saveexec_b64 s[90:91], vcc
	s_cbranch_execz .LBB4_808
; %bb.801:                              ;   in Loop: Header=BB4_124 Depth=2
	v_bfe_u32 v17, v10, 23, 8
	v_and_b32_e32 v11, 0x7fffff, v10
	v_cmp_gt_u32_e64 s[20:21], s54, v17
	v_sub_u32_e32 v10, 0x79, v17
	v_cmp_eq_u32_e32 vcc, 0, v17
	v_cndmask_b32_e64 v10, 0, v10, s[20:21]
	v_cndmask_b32_e32 v18, v10, v31, vcc
	v_or_b32_e32 v14, 0x800000, v11
	v_add_u32_e32 v10, 20, v18
	v_cndmask_b32_e32 v36, v14, v11, vcc
	v_lshlrev_b64 v[10:11], v10, -1
	v_add_u32_e32 v14, 19, v18
	v_lshlrev_b64 v[14:15], v14, 1
	v_bfi_b32 v11, v11, 0, 0
	v_bfi_b32 v10, v10, 0, v36
	v_cmp_eq_u64_e64 s[20:21], v[10:11], v[14:15]
	v_lshrrev_b64 v[10:11], v18, v[36:37]
	v_mov_b32_e32 v15, v11
	v_mov_b32_e32 v14, v10
	s_and_saveexec_b64 s[92:93], s[20:21]
; %bb.802:                              ;   in Loop: Header=BB4_124 Depth=2
	v_bfe_u32 v11, v10, 20, 1
	v_add_co_u32_e64 v11, s[20:21], v10, v11
	v_add_co_u32_e64 v14, s[20:21], -1, v11
; %bb.803:                              ;   in Loop: Header=BB4_124 Depth=2
	s_or_b64 exec, exec, s[92:93]
	v_add_u32_e32 v11, 0xffffff81, v17
	v_cndmask_b32_e32 v11, v11, v62, vcc
	v_lshrrev_b32_e32 v15, 23, v10
	v_add3_u32 v17, v18, v11, v15
	v_add_u32_e32 v15, 6, v17
	v_and_b32_e32 v11, 0xfffff, v14
	v_add_u32_e32 v36, v11, v10
	v_cmp_ne_u32_e32 vcc, 0, v15
                                        ; implicit-def: $vgpr10_vgpr11
                                        ; implicit-def: $vgpr14
	s_and_saveexec_b64 s[20:21], vcc
	s_xor_b64 s[20:21], exec, s[20:21]
; %bb.804:                              ;   in Loop: Header=BB4_124 Depth=2
	v_cmp_lt_u64_e32 vcc, s[60:61], v[36:37]
	v_add_u32_e32 v10, 7, v17
	v_cndmask_b32_e32 v14, v15, v10, vcc
	v_cndmask_b32_e64 v10, 0, 1, vcc
	v_lshrrev_b64 v[10:11], v10, v[36:37]
; %bb.805:                              ;   in Loop: Header=BB4_124 Depth=2
	s_andn2_saveexec_b64 s[20:21], s[20:21]
; %bb.806:                              ;   in Loop: Header=BB4_124 Depth=2
	v_mov_b32_e32 v10, v36
	v_bfe_u32 v14, v36, 23, 1
	v_mov_b32_e32 v11, v37
; %bb.807:                              ;   in Loop: Header=BB4_124 Depth=2
	s_or_b64 exec, exec, s[20:21]
	v_lshrrev_b64 v[10:11], 20, v[10:11]
	v_cmp_gt_i32_e32 vcc, 16, v14
	v_cndmask_b32_e32 v11, 0, v11, vcc
	v_cndmask_b32_e32 v10, 7, v10, vcc
	v_cmp_eq_u64_e64 s[20:21], 0, v[10:11]
	v_min_i32_e32 v11, 15, v14
	v_lshlrev_b32_e32 v11, 3, v11
	v_cmp_eq_u32_e32 vcc, 0, v14
	v_and_b32_e32 v11, 0xf8, v11
	v_and_or_b32 v10, v10, 7, v11
	s_and_b64 s[20:21], vcc, s[20:21]
	v_cndmask_b32_e64 v10, v10, 0, s[20:21]
	v_or_b32_e32 v18, v10, v16
.LBB4_808:                              ;   in Loop: Header=BB4_124 Depth=2
	s_or_b64 exec, exec, s[90:91]
                                        ; implicit-def: $vgpr16
.LBB4_809:                              ;   in Loop: Header=BB4_124 Depth=2
	s_andn2_saveexec_b64 s[20:21], s[88:89]
; %bb.810:                              ;   in Loop: Header=BB4_124 Depth=2
	v_or_b32_e32 v18, 0x7e, v16
; %bb.811:                              ;   in Loop: Header=BB4_124 Depth=2
	s_or_b64 exec, exec, s[20:21]
                                        ; implicit-def: $vgpr10
.LBB4_812:                              ;   in Loop: Header=BB4_124 Depth=2
	s_andn2_saveexec_b64 s[20:21], s[78:79]
; %bb.813:                              ;   in Loop: Header=BB4_124 Depth=2
	v_or_b32_sdwa v18, v10, s51 dst_sel:DWORD dst_unused:UNUSED_PAD src0_sel:BYTE_3 src1_sel:DWORD
; %bb.814:                              ;   in Loop: Header=BB4_124 Depth=2
	s_or_b64 exec, exec, s[20:21]
	v_cmp_lt_u64_e32 vcc, s[62:63], v[12:13]
	v_mov_b32_e32 v11, 0
	s_and_saveexec_b64 s[20:21], vcc
	s_cbranch_execz .LBB4_820
; %bb.815:                              ;   in Loop: Header=BB4_124 Depth=2
	v_lshrrev_b32_e32 v10, 24, v13
	v_cmp_ne_u32_e32 vcc, s53, v10
	v_bfrev_b32_e32 v11, 1
	s_and_saveexec_b64 s[78:79], vcc
	s_cbranch_execz .LBB4_819
; %bb.816:                              ;   in Loop: Header=BB4_124 Depth=2
	v_bfe_u32 v12, v13, 24, 7
	v_cmp_ne_u32_e32 vcc, s51, v12
	v_mov_b32_e32 v11, 0x7f800001
	s_and_saveexec_b64 s[88:89], vcc
	s_cbranch_execz .LBB4_818
; %bb.817:                              ;   in Loop: Header=BB4_124 Depth=2
	v_and_b32_e32 v13, 7, v10
	v_ffbh_u32_e32 v11, v13
	v_min_u32_e32 v15, 32, v11
	v_subrev_u32_e32 v11, 28, v15
	v_lshrrev_b32_e32 v14, 3, v12
	v_cmp_gt_u32_e32 vcc, 8, v12
	v_lshlrev_b64 v[11:12], v11, v[10:11]
	v_sub_u32_e32 v12, 29, v15
	v_and_b32_e32 v11, 7, v11
	v_cndmask_b32_e32 v12, v14, v12, vcc
	v_cndmask_b32_e32 v11, v13, v11, vcc
	v_lshlrev_b32_e32 v10, 24, v10
	v_lshlrev_b32_e32 v11, 20, v11
	v_and_b32_e32 v10, 0x80000000, v10
	v_lshl_add_u32 v12, v12, 23, v58
	v_or3_b32 v11, v10, v12, v11
.LBB4_818:                              ;   in Loop: Header=BB4_124 Depth=2
	s_or_b64 exec, exec, s[88:89]
.LBB4_819:                              ;   in Loop: Header=BB4_124 Depth=2
	s_or_b64 exec, exec, s[78:79]
.LBB4_820:                              ;   in Loop: Header=BB4_124 Depth=2
	s_or_b64 exec, exec, s[20:21]
	v_mul_f32_e32 v10, v4, v11
	v_and_b32_e32 v36, 0x7f800000, v10
	v_cmp_ne_u64_e32 vcc, s[56:57], v[36:37]
                                        ; implicit-def: $vgpr26
	s_and_saveexec_b64 s[20:21], vcc
	s_xor_b64 s[78:79], exec, s[20:21]
	s_cbranch_execz .LBB4_834
; %bb.821:                              ;   in Loop: Header=BB4_124 Depth=2
	v_and_b32_e32 v36, 0x7fffffff, v10
	v_cmp_gt_u64_e32 vcc, s[58:59], v[36:37]
	v_and_b32_sdwa v4, v10, s53 dst_sel:DWORD dst_unused:UNUSED_PAD src0_sel:BYTE_3 src1_sel:DWORD
                                        ; implicit-def: $vgpr26
	s_and_saveexec_b64 s[20:21], vcc
	s_xor_b64 s[88:89], exec, s[20:21]
	s_cbranch_execz .LBB4_831
; %bb.822:                              ;   in Loop: Header=BB4_124 Depth=2
	v_mov_b32_e32 v26, 0
	v_cmp_ne_u32_e32 vcc, 0, v10
	s_and_saveexec_b64 s[90:91], vcc
	s_cbranch_execz .LBB4_830
; %bb.823:                              ;   in Loop: Header=BB4_124 Depth=2
	v_bfe_u32 v13, v10, 23, 8
	v_and_b32_e32 v11, 0x7fffff, v10
	v_cmp_gt_u32_e64 s[20:21], s54, v13
	v_sub_u32_e32 v10, 0x79, v13
	v_cmp_eq_u32_e32 vcc, 0, v13
	v_cndmask_b32_e64 v10, 0, v10, s[20:21]
	v_cndmask_b32_e32 v14, v10, v31, vcc
	v_or_b32_e32 v12, 0x800000, v11
	v_add_u32_e32 v10, 20, v14
	v_cndmask_b32_e32 v36, v12, v11, vcc
	v_lshlrev_b64 v[10:11], v10, -1
	v_add_u32_e32 v12, 19, v14
	v_lshlrev_b64 v[15:16], v12, 1
	v_bfi_b32 v11, v11, 0, 0
	v_bfi_b32 v10, v10, 0, v36
	v_cmp_eq_u64_e64 s[20:21], v[10:11], v[15:16]
	v_lshrrev_b64 v[10:11], v14, v[36:37]
	v_mov_b32_e32 v12, v11
	v_mov_b32_e32 v11, v10
	s_and_saveexec_b64 s[92:93], s[20:21]
; %bb.824:                              ;   in Loop: Header=BB4_124 Depth=2
	v_bfe_u32 v11, v10, 20, 1
	v_add_co_u32_e64 v11, s[20:21], v10, v11
	v_add_co_u32_e64 v11, s[20:21], -1, v11
; %bb.825:                              ;   in Loop: Header=BB4_124 Depth=2
	s_or_b64 exec, exec, s[92:93]
	v_add_u32_e32 v12, 0xffffff81, v13
	v_cndmask_b32_e32 v12, v12, v62, vcc
	v_lshrrev_b32_e32 v13, 23, v10
	v_add3_u32 v14, v14, v12, v13
	v_add_u32_e32 v13, 6, v14
	v_and_b32_e32 v11, 0xfffff, v11
	v_add_u32_e32 v36, v11, v10
	v_cmp_ne_u32_e32 vcc, 0, v13
                                        ; implicit-def: $vgpr10_vgpr11
                                        ; implicit-def: $vgpr12
	s_and_saveexec_b64 s[20:21], vcc
	s_xor_b64 s[20:21], exec, s[20:21]
; %bb.826:                              ;   in Loop: Header=BB4_124 Depth=2
	v_cmp_lt_u64_e32 vcc, s[60:61], v[36:37]
	v_add_u32_e32 v10, 7, v14
	v_cndmask_b32_e32 v12, v13, v10, vcc
	v_cndmask_b32_e64 v10, 0, 1, vcc
	v_lshrrev_b64 v[10:11], v10, v[36:37]
; %bb.827:                              ;   in Loop: Header=BB4_124 Depth=2
	s_andn2_saveexec_b64 s[20:21], s[20:21]
; %bb.828:                              ;   in Loop: Header=BB4_124 Depth=2
	v_mov_b32_e32 v10, v36
	v_bfe_u32 v12, v36, 23, 1
	v_mov_b32_e32 v11, v37
; %bb.829:                              ;   in Loop: Header=BB4_124 Depth=2
	s_or_b64 exec, exec, s[20:21]
	v_lshrrev_b64 v[10:11], 20, v[10:11]
	v_cmp_gt_i32_e32 vcc, 16, v12
	v_cndmask_b32_e32 v11, 0, v11, vcc
	v_cndmask_b32_e32 v10, 7, v10, vcc
	v_cmp_eq_u64_e64 s[20:21], 0, v[10:11]
	v_min_i32_e32 v11, 15, v12
	v_lshlrev_b32_e32 v11, 3, v11
	v_cmp_eq_u32_e32 vcc, 0, v12
	v_and_b32_e32 v11, 0xf8, v11
	v_and_or_b32 v10, v10, 7, v11
	s_and_b64 s[20:21], vcc, s[20:21]
	v_cndmask_b32_e64 v10, v10, 0, s[20:21]
	v_or_b32_e32 v26, v10, v4
.LBB4_830:                              ;   in Loop: Header=BB4_124 Depth=2
	s_or_b64 exec, exec, s[90:91]
                                        ; implicit-def: $vgpr4
.LBB4_831:                              ;   in Loop: Header=BB4_124 Depth=2
	s_andn2_saveexec_b64 s[20:21], s[88:89]
; %bb.832:                              ;   in Loop: Header=BB4_124 Depth=2
	v_or_b32_e32 v26, 0x7e, v4
; %bb.833:                              ;   in Loop: Header=BB4_124 Depth=2
	s_or_b64 exec, exec, s[20:21]
                                        ; implicit-def: $vgpr10
.LBB4_834:                              ;   in Loop: Header=BB4_124 Depth=2
	s_andn2_saveexec_b64 s[20:21], s[78:79]
; %bb.835:                              ;   in Loop: Header=BB4_124 Depth=2
	v_or_b32_sdwa v26, v10, s51 dst_sel:DWORD dst_unused:UNUSED_PAD src0_sel:BYTE_3 src1_sel:DWORD
; %bb.836:                              ;   in Loop: Header=BB4_124 Depth=2
	s_or_b64 exec, exec, s[20:21]
	global_load_dwordx4 v[14:17], v[40:41], off glc slc
	global_load_dwordx4 v[10:13], v[40:41], off offset:1024 glc slc
	v_lshl_or_b32 v4, v8, 8, v0
	v_lshlrev_b32_e32 v8, 16, v23
	v_lshlrev_b32_e32 v23, 24, v27
	v_or3_b32 v36, v8, v23, v4
	v_cmp_ne_u32_e32 vcc, 0, v0
	v_mov_b32_e32 v8, 0
	v_mov_b32_e32 v23, 0
	s_and_saveexec_b64 s[20:21], vcc
	s_cbranch_execz .LBB4_842
; %bb.837:                              ;   in Loop: Header=BB4_124 Depth=2
	v_cmp_ne_u32_e32 vcc, s53, v0
	v_bfrev_b32_e32 v23, 1
	s_and_saveexec_b64 s[78:79], vcc
	s_cbranch_execz .LBB4_841
; %bb.838:                              ;   in Loop: Header=BB4_124 Depth=2
	v_and_b32_e32 v27, 0x7f, v0
	v_cmp_ne_u32_e32 vcc, s51, v27
	v_mov_b32_e32 v23, 0x7f800001
	s_and_saveexec_b64 s[88:89], vcc
	s_cbranch_execz .LBB4_840
; %bb.839:                              ;   in Loop: Header=BB4_124 Depth=2
	v_and_b32_e32 v0, 7, v0
	v_ffbh_u32_e32 v0, v0
	v_min_u32_e32 v0, 32, v0
	v_lshrrev_b32_e32 v23, 3, v27
	v_cmp_gt_u32_e32 vcc, 8, v27
	v_subrev_u32_e32 v27, 28, v0
	v_sub_u32_e32 v0, 29, v0
	v_cndmask_b32_e32 v0, v23, v0, vcc
	v_cndmask_b32_e32 v23, 0, v27, vcc
	v_lshlrev_b64 v[27:28], v23, v[36:37]
	v_lshl_add_u32 v0, v0, 23, v58
	v_lshlrev_b32_e32 v23, 20, v27
	v_lshlrev_b32_e32 v27, 24, v36
	v_and_b32_e32 v23, 0x700000, v23
	v_and_b32_e32 v27, 0x80000000, v27
	v_or3_b32 v23, v27, v0, v23
.LBB4_840:                              ;   in Loop: Header=BB4_124 Depth=2
	s_or_b64 exec, exec, s[88:89]
.LBB4_841:                              ;   in Loop: Header=BB4_124 Depth=2
	s_or_b64 exec, exec, s[78:79]
.LBB4_842:                              ;   in Loop: Header=BB4_124 Depth=2
	s_or_b64 exec, exec, s[20:21]
	s_waitcnt vmcnt(1)
	v_cmp_ne_u16_sdwa s[78:79], v14, v37 src0_sel:BYTE_0 src1_sel:DWORD
	s_and_saveexec_b64 s[20:21], s[78:79]
	s_cbranch_execz .LBB4_848
; %bb.843:                              ;   in Loop: Header=BB4_124 Depth=2
	v_cmp_ne_u16_sdwa s[88:89], v14, s53 src0_sel:BYTE_0 src1_sel:DWORD
	v_bfrev_b32_e32 v8, 1
	s_and_saveexec_b64 s[78:79], s[88:89]
	s_cbranch_execz .LBB4_847
; %bb.844:                              ;   in Loop: Header=BB4_124 Depth=2
	v_and_b32_e32 v0, 0x7f, v14
	v_cmp_ne_u32_e32 vcc, s51, v0
	v_mov_b32_e32 v8, 0x7f800001
	s_and_saveexec_b64 s[88:89], vcc
	s_cbranch_execz .LBB4_846
; %bb.845:                              ;   in Loop: Header=BB4_124 Depth=2
	v_and_b32_e32 v8, 7, v14
	v_lshrrev_b32_e32 v27, 3, v0
	v_cmp_gt_u32_e32 vcc, 8, v0
	v_ffbh_u32_e32 v0, v8
	v_min_u32_e32 v0, 32, v0
	v_subrev_u32_e32 v8, 28, v0
	v_sub_u32_e32 v0, 29, v0
	v_cndmask_b32_e32 v8, 0, v8, vcc
	v_cndmask_b32_e32 v0, v27, v0, vcc
	v_lshlrev_b64 v[27:28], v8, v[14:15]
	v_lshl_add_u32 v0, v0, 23, v58
	v_lshlrev_b32_e32 v8, 20, v27
	v_lshlrev_b32_e32 v27, 24, v14
	v_and_b32_e32 v8, 0x700000, v8
	v_and_b32_e32 v27, 0x80000000, v27
	v_or3_b32 v8, v27, v0, v8
.LBB4_846:                              ;   in Loop: Header=BB4_124 Depth=2
	s_or_b64 exec, exec, s[88:89]
.LBB4_847:                              ;   in Loop: Header=BB4_124 Depth=2
	s_or_b64 exec, exec, s[78:79]
.LBB4_848:                              ;   in Loop: Header=BB4_124 Depth=2
	s_or_b64 exec, exec, s[20:21]
	v_add_f32_e32 v23, v23, v8
	v_and_b32_e32 v27, 0x7f800000, v23
	v_mov_b32_e32 v28, v37
	v_cmp_ne_u64_e32 vcc, s[56:57], v[27:28]
                                        ; implicit-def: $vgpr0
	s_and_saveexec_b64 s[20:21], vcc
	s_xor_b64 s[78:79], exec, s[20:21]
	s_cbranch_execz .LBB4_862
; %bb.849:                              ;   in Loop: Header=BB4_124 Depth=2
	v_and_b32_e32 v27, 0x7fffffff, v23
	v_mov_b32_e32 v28, v37
	v_cmp_gt_u64_e32 vcc, s[58:59], v[27:28]
	v_and_b32_sdwa v8, v23, s53 dst_sel:DWORD dst_unused:UNUSED_PAD src0_sel:BYTE_3 src1_sel:DWORD
                                        ; implicit-def: $vgpr0
	s_and_saveexec_b64 s[20:21], vcc
	s_xor_b64 s[88:89], exec, s[20:21]
	s_cbranch_execz .LBB4_859
; %bb.850:                              ;   in Loop: Header=BB4_124 Depth=2
	v_mov_b32_e32 v0, 0
	v_cmp_ne_u32_e32 vcc, 0, v23
	s_and_saveexec_b64 s[90:91], vcc
	s_cbranch_execz .LBB4_858
; %bb.851:                              ;   in Loop: Header=BB4_124 Depth=2
	v_bfe_u32 v0, v23, 23, 8
	v_and_b32_e32 v27, 0x7fffff, v23
	v_cmp_gt_u32_e64 s[20:21], s54, v0
	v_sub_u32_e32 v23, 0x79, v0
	v_cmp_eq_u32_e32 vcc, 0, v0
	v_cndmask_b32_e64 v23, 0, v23, s[20:21]
	v_cndmask_b32_e32 v23, v23, v31, vcc
	v_add_u32_e32 v29, 20, v23
	v_or_b32_e32 v28, 0x800000, v27
	v_lshlrev_b64 v[29:30], v29, -1
	v_add_u32_e32 v48, 19, v23
	v_cndmask_b32_e32 v27, v28, v27, vcc
	v_lshlrev_b64 v[44:45], v48, 1
	v_mov_b32_e32 v28, v37
	v_bfi_b32 v30, v30, 0, 0
	v_bfi_b32 v29, v29, 0, v27
	v_cmp_eq_u64_e64 s[20:21], v[29:30], v[44:45]
	v_lshrrev_b64 v[44:45], v23, v[27:28]
	v_mov_b32_e32 v46, v45
	v_mov_b32_e32 v45, v44
	s_and_saveexec_b64 s[92:93], s[20:21]
; %bb.852:                              ;   in Loop: Header=BB4_124 Depth=2
	v_bfe_u32 v27, v44, 20, 1
	v_add_co_u32_e64 v27, s[20:21], v44, v27
	v_add_co_u32_e64 v45, s[20:21], -1, v27
; %bb.853:                              ;   in Loop: Header=BB4_124 Depth=2
	s_or_b64 exec, exec, s[92:93]
	v_add_u32_e32 v0, 0xffffff81, v0
	v_cndmask_b32_e32 v0, v0, v62, vcc
	v_lshrrev_b32_e32 v27, 23, v44
	v_add3_u32 v27, v23, v0, v27
	v_add_u32_e32 v23, 6, v27
	v_and_b32_e32 v0, 0xfffff, v45
	v_add_u32_e32 v44, v0, v44
	v_mov_b32_e32 v45, v37
	v_cmp_ne_u32_e32 vcc, 0, v23
                                        ; implicit-def: $vgpr0
	s_and_saveexec_b64 s[20:21], vcc
	s_xor_b64 s[20:21], exec, s[20:21]
; %bb.854:                              ;   in Loop: Header=BB4_124 Depth=2
	v_cmp_lt_u64_e32 vcc, s[60:61], v[44:45]
	v_add_u32_e32 v0, 7, v27
	v_cndmask_b32_e32 v0, v23, v0, vcc
	v_cndmask_b32_e64 v23, 0, 1, vcc
	v_lshrrev_b64 v[44:45], v23, v[44:45]
; %bb.855:                              ;   in Loop: Header=BB4_124 Depth=2
	s_andn2_saveexec_b64 s[20:21], s[20:21]
; %bb.856:                              ;   in Loop: Header=BB4_124 Depth=2
	v_bfe_u32 v0, v44, 23, 1
; %bb.857:                              ;   in Loop: Header=BB4_124 Depth=2
	s_or_b64 exec, exec, s[20:21]
	v_lshrrev_b64 v[27:28], 20, v[44:45]
	v_cmp_gt_i32_e32 vcc, 16, v0
	v_cndmask_b32_e32 v28, 0, v28, vcc
	v_cndmask_b32_e32 v27, 7, v27, vcc
	v_cmp_eq_u32_e32 vcc, 0, v0
	v_min_i32_e32 v0, 15, v0
	v_cmp_eq_u64_e64 s[20:21], 0, v[27:28]
	v_lshlrev_b32_e32 v0, 3, v0
	v_and_b32_e32 v0, 0xf8, v0
	v_and_or_b32 v0, v27, 7, v0
	s_and_b64 s[20:21], vcc, s[20:21]
	v_cndmask_b32_e64 v0, v0, 0, s[20:21]
	v_or_b32_e32 v0, v0, v8
.LBB4_858:                              ;   in Loop: Header=BB4_124 Depth=2
	s_or_b64 exec, exec, s[90:91]
                                        ; implicit-def: $vgpr8
.LBB4_859:                              ;   in Loop: Header=BB4_124 Depth=2
	s_andn2_saveexec_b64 s[20:21], s[88:89]
; %bb.860:                              ;   in Loop: Header=BB4_124 Depth=2
	v_or_b32_e32 v0, 0x7e, v8
; %bb.861:                              ;   in Loop: Header=BB4_124 Depth=2
	s_or_b64 exec, exec, s[20:21]
                                        ; implicit-def: $vgpr23
.LBB4_862:                              ;   in Loop: Header=BB4_124 Depth=2
	s_andn2_saveexec_b64 s[20:21], s[78:79]
; %bb.863:                              ;   in Loop: Header=BB4_124 Depth=2
	v_or_b32_sdwa v0, v23, s51 dst_sel:DWORD dst_unused:UNUSED_PAD src0_sel:BYTE_3 src1_sel:DWORD
; %bb.864:                              ;   in Loop: Header=BB4_124 Depth=2
	s_or_b64 exec, exec, s[20:21]
	v_lshrrev_b16_e32 v30, 8, v4
	v_cmp_ne_u16_e32 vcc, 0, v30
	v_mov_b32_e32 v8, 0
	v_mov_b32_e32 v23, 0
	s_and_saveexec_b64 s[20:21], vcc
	s_cbranch_execz .LBB4_870
; %bb.865:                              ;   in Loop: Header=BB4_124 Depth=2
	v_cmp_ne_u16_e32 vcc, s53, v30
	v_bfrev_b32_e32 v23, 1
	s_and_saveexec_b64 s[78:79], vcc
	s_cbranch_execz .LBB4_869
; %bb.866:                              ;   in Loop: Header=BB4_124 Depth=2
	v_and_b32_e32 v27, 0x7f, v30
	v_cmp_ne_u32_e32 vcc, s51, v27
	v_mov_b32_e32 v23, 0x7f800001
	s_and_saveexec_b64 s[88:89], vcc
	s_cbranch_execz .LBB4_868
; %bb.867:                              ;   in Loop: Header=BB4_124 Depth=2
	v_and_b32_e32 v23, 7, v30
	v_lshrrev_b32_e32 v29, 3, v27
	v_cmp_gt_u32_e32 vcc, 8, v27
	v_ffbh_u32_e32 v27, v23
	v_min_u32_e32 v48, 32, v27
	v_subrev_u32_e32 v27, 28, v48
	v_lshlrev_b64 v[27:28], v27, v[30:31]
	v_sub_u32_e32 v28, 29, v48
	v_and_b32_e32 v27, 7, v27
	v_cndmask_b32_e32 v28, v29, v28, vcc
	v_cndmask_b32_e32 v23, v23, v27, vcc
	v_lshlrev_b32_e32 v4, 16, v4
	v_lshlrev_b32_e32 v23, 20, v23
	v_and_b32_e32 v4, 0x80000000, v4
	v_lshl_add_u32 v27, v28, 23, v58
	v_or3_b32 v23, v4, v27, v23
.LBB4_868:                              ;   in Loop: Header=BB4_124 Depth=2
	s_or_b64 exec, exec, s[88:89]
.LBB4_869:                              ;   in Loop: Header=BB4_124 Depth=2
	s_or_b64 exec, exec, s[78:79]
.LBB4_870:                              ;   in Loop: Header=BB4_124 Depth=2
	s_or_b64 exec, exec, s[20:21]
	v_lshrrev_b16_e32 v30, 8, v14
	v_cmp_ne_u16_e32 vcc, 0, v30
	s_and_saveexec_b64 s[20:21], vcc
	s_cbranch_execz .LBB4_876
; %bb.871:                              ;   in Loop: Header=BB4_124 Depth=2
	v_cmp_ne_u16_e32 vcc, s53, v30
	v_bfrev_b32_e32 v8, 1
	s_and_saveexec_b64 s[78:79], vcc
	s_cbranch_execz .LBB4_875
; %bb.872:                              ;   in Loop: Header=BB4_124 Depth=2
	v_and_b32_e32 v4, 0x7f, v30
	v_cmp_ne_u32_e32 vcc, s51, v4
	v_mov_b32_e32 v8, 0x7f800001
	s_and_saveexec_b64 s[88:89], vcc
	s_cbranch_execz .LBB4_874
; %bb.873:                              ;   in Loop: Header=BB4_124 Depth=2
	v_and_b32_e32 v8, 7, v30
	v_lshrrev_b32_e32 v29, 3, v4
	v_cmp_gt_u32_e32 vcc, 8, v4
	v_ffbh_u32_e32 v4, v8
	v_min_u32_e32 v4, 32, v4
	v_subrev_u32_e32 v27, 28, v4
	v_lshlrev_b64 v[27:28], v27, v[30:31]
	v_sub_u32_e32 v4, 29, v4
	v_and_b32_e32 v27, 7, v27
	v_cndmask_b32_e32 v4, v29, v4, vcc
	v_cndmask_b32_e32 v8, v8, v27, vcc
	v_lshlrev_b32_e32 v27, 16, v14
	v_lshlrev_b32_e32 v8, 20, v8
	v_and_b32_e32 v27, 0x80000000, v27
	v_lshl_add_u32 v4, v4, 23, v58
	v_or3_b32 v8, v27, v4, v8
.LBB4_874:                              ;   in Loop: Header=BB4_124 Depth=2
	s_or_b64 exec, exec, s[88:89]
.LBB4_875:                              ;   in Loop: Header=BB4_124 Depth=2
	s_or_b64 exec, exec, s[78:79]
.LBB4_876:                              ;   in Loop: Header=BB4_124 Depth=2
	s_or_b64 exec, exec, s[20:21]
	v_add_f32_e32 v23, v23, v8
	v_and_b32_e32 v27, 0x7f800000, v23
	v_mov_b32_e32 v28, v37
	v_cmp_ne_u64_e32 vcc, s[56:57], v[27:28]
                                        ; implicit-def: $vgpr4
	s_and_saveexec_b64 s[20:21], vcc
	s_xor_b64 s[78:79], exec, s[20:21]
	s_cbranch_execz .LBB4_890
; %bb.877:                              ;   in Loop: Header=BB4_124 Depth=2
	v_and_b32_e32 v27, 0x7fffffff, v23
	v_mov_b32_e32 v28, v37
	v_cmp_gt_u64_e32 vcc, s[58:59], v[27:28]
	v_and_b32_sdwa v8, v23, s53 dst_sel:DWORD dst_unused:UNUSED_PAD src0_sel:BYTE_3 src1_sel:DWORD
                                        ; implicit-def: $vgpr4
	s_and_saveexec_b64 s[20:21], vcc
	s_xor_b64 s[88:89], exec, s[20:21]
	s_cbranch_execz .LBB4_887
; %bb.878:                              ;   in Loop: Header=BB4_124 Depth=2
	v_mov_b32_e32 v4, 0
	v_cmp_ne_u32_e32 vcc, 0, v23
	s_and_saveexec_b64 s[90:91], vcc
	s_cbranch_execz .LBB4_886
; %bb.879:                              ;   in Loop: Header=BB4_124 Depth=2
	v_bfe_u32 v4, v23, 23, 8
	v_and_b32_e32 v27, 0x7fffff, v23
	v_cmp_gt_u32_e64 s[20:21], s54, v4
	v_sub_u32_e32 v23, 0x79, v4
	v_cmp_eq_u32_e32 vcc, 0, v4
	v_cndmask_b32_e64 v23, 0, v23, s[20:21]
	v_cndmask_b32_e32 v23, v23, v31, vcc
	v_add_u32_e32 v29, 20, v23
	v_or_b32_e32 v28, 0x800000, v27
	v_lshlrev_b64 v[29:30], v29, -1
	v_add_u32_e32 v48, 19, v23
	v_cndmask_b32_e32 v27, v28, v27, vcc
	v_lshlrev_b64 v[44:45], v48, 1
	v_mov_b32_e32 v28, v37
	v_bfi_b32 v30, v30, 0, 0
	v_bfi_b32 v29, v29, 0, v27
	v_cmp_eq_u64_e64 s[20:21], v[29:30], v[44:45]
	v_lshrrev_b64 v[44:45], v23, v[27:28]
	v_mov_b32_e32 v46, v45
	v_mov_b32_e32 v45, v44
	s_and_saveexec_b64 s[92:93], s[20:21]
; %bb.880:                              ;   in Loop: Header=BB4_124 Depth=2
	v_bfe_u32 v27, v44, 20, 1
	v_add_co_u32_e64 v27, s[20:21], v44, v27
	v_add_co_u32_e64 v45, s[20:21], -1, v27
; %bb.881:                              ;   in Loop: Header=BB4_124 Depth=2
	s_or_b64 exec, exec, s[92:93]
	v_add_u32_e32 v4, 0xffffff81, v4
	v_cndmask_b32_e32 v4, v4, v62, vcc
	v_lshrrev_b32_e32 v27, 23, v44
	v_add3_u32 v27, v23, v4, v27
	v_add_u32_e32 v23, 6, v27
	v_and_b32_e32 v4, 0xfffff, v45
	v_add_u32_e32 v44, v4, v44
	v_mov_b32_e32 v45, v37
	v_cmp_ne_u32_e32 vcc, 0, v23
                                        ; implicit-def: $vgpr4
	s_and_saveexec_b64 s[20:21], vcc
	s_xor_b64 s[20:21], exec, s[20:21]
; %bb.882:                              ;   in Loop: Header=BB4_124 Depth=2
	v_cmp_lt_u64_e32 vcc, s[60:61], v[44:45]
	v_add_u32_e32 v4, 7, v27
	v_cndmask_b32_e32 v4, v23, v4, vcc
	v_cndmask_b32_e64 v23, 0, 1, vcc
	v_lshrrev_b64 v[44:45], v23, v[44:45]
; %bb.883:                              ;   in Loop: Header=BB4_124 Depth=2
	s_andn2_saveexec_b64 s[20:21], s[20:21]
; %bb.884:                              ;   in Loop: Header=BB4_124 Depth=2
	v_bfe_u32 v4, v44, 23, 1
; %bb.885:                              ;   in Loop: Header=BB4_124 Depth=2
	s_or_b64 exec, exec, s[20:21]
	v_lshrrev_b64 v[27:28], 20, v[44:45]
	v_cmp_gt_i32_e32 vcc, 16, v4
	v_cndmask_b32_e32 v28, 0, v28, vcc
	v_cndmask_b32_e32 v27, 7, v27, vcc
	v_cmp_eq_u32_e32 vcc, 0, v4
	v_min_i32_e32 v4, 15, v4
	v_cmp_eq_u64_e64 s[20:21], 0, v[27:28]
	v_lshlrev_b32_e32 v4, 3, v4
	v_and_b32_e32 v4, 0xf8, v4
	v_and_or_b32 v4, v27, 7, v4
	s_and_b64 s[20:21], vcc, s[20:21]
	v_cndmask_b32_e64 v4, v4, 0, s[20:21]
	v_or_b32_e32 v4, v4, v8
.LBB4_886:                              ;   in Loop: Header=BB4_124 Depth=2
	s_or_b64 exec, exec, s[90:91]
                                        ; implicit-def: $vgpr8
.LBB4_887:                              ;   in Loop: Header=BB4_124 Depth=2
	s_andn2_saveexec_b64 s[20:21], s[88:89]
; %bb.888:                              ;   in Loop: Header=BB4_124 Depth=2
	v_or_b32_e32 v4, 0x7e, v8
; %bb.889:                              ;   in Loop: Header=BB4_124 Depth=2
	s_or_b64 exec, exec, s[20:21]
                                        ; implicit-def: $vgpr23
.LBB4_890:                              ;   in Loop: Header=BB4_124 Depth=2
	s_andn2_saveexec_b64 s[20:21], s[78:79]
; %bb.891:                              ;   in Loop: Header=BB4_124 Depth=2
	v_or_b32_sdwa v4, v23, s51 dst_sel:DWORD dst_unused:UNUSED_PAD src0_sel:BYTE_3 src1_sel:DWORD
; %bb.892:                              ;   in Loop: Header=BB4_124 Depth=2
	s_or_b64 exec, exec, s[20:21]
	v_lshrrev_b32_e32 v30, 16, v36
	v_cmp_ne_u16_sdwa s[78:79], v30, v37 src0_sel:BYTE_0 src1_sel:DWORD
	v_mov_b32_e32 v8, 0
	v_mov_b32_e32 v23, 0
	s_and_saveexec_b64 s[20:21], s[78:79]
	s_cbranch_execz .LBB4_898
; %bb.893:                              ;   in Loop: Header=BB4_124 Depth=2
	v_cmp_ne_u16_sdwa s[88:89], v30, s53 src0_sel:BYTE_0 src1_sel:DWORD
	v_bfrev_b32_e32 v23, 1
	s_and_saveexec_b64 s[78:79], s[88:89]
	s_cbranch_execz .LBB4_897
; %bb.894:                              ;   in Loop: Header=BB4_124 Depth=2
	v_bfe_u32 v27, v36, 16, 7
	v_cmp_ne_u32_e32 vcc, s51, v27
	v_mov_b32_e32 v23, 0x7f800001
	s_and_saveexec_b64 s[88:89], vcc
	s_cbranch_execz .LBB4_896
; %bb.895:                              ;   in Loop: Header=BB4_124 Depth=2
	v_and_b32_e32 v23, 7, v30
	v_lshrrev_b32_e32 v29, 3, v27
	v_cmp_gt_u32_e32 vcc, 8, v27
	v_ffbh_u32_e32 v27, v23
	v_min_u32_e32 v48, 32, v27
	v_subrev_u32_e32 v27, 28, v48
	v_lshlrev_b64 v[27:28], v27, v[30:31]
	v_sub_u32_e32 v28, 29, v48
	v_and_b32_e32 v27, 7, v27
	v_cndmask_b32_e32 v28, v29, v28, vcc
	v_cndmask_b32_e32 v23, v23, v27, vcc
	v_lshlrev_b32_e32 v27, 24, v30
	v_lshlrev_b32_e32 v23, 20, v23
	v_and_b32_e32 v27, 0x80000000, v27
	v_lshl_add_u32 v28, v28, 23, v58
	v_or3_b32 v23, v27, v28, v23
.LBB4_896:                              ;   in Loop: Header=BB4_124 Depth=2
	s_or_b64 exec, exec, s[88:89]
.LBB4_897:                              ;   in Loop: Header=BB4_124 Depth=2
	s_or_b64 exec, exec, s[78:79]
.LBB4_898:                              ;   in Loop: Header=BB4_124 Depth=2
	s_or_b64 exec, exec, s[20:21]
	v_lshrrev_b32_e32 v30, 16, v14
	v_cmp_ne_u16_sdwa s[78:79], v30, v37 src0_sel:BYTE_0 src1_sel:DWORD
	s_and_saveexec_b64 s[20:21], s[78:79]
	s_cbranch_execz .LBB4_904
; %bb.899:                              ;   in Loop: Header=BB4_124 Depth=2
	v_cmp_ne_u16_sdwa s[88:89], v30, s53 src0_sel:BYTE_0 src1_sel:DWORD
	v_bfrev_b32_e32 v8, 1
	s_and_saveexec_b64 s[78:79], s[88:89]
	s_cbranch_execz .LBB4_903
; %bb.900:                              ;   in Loop: Header=BB4_124 Depth=2
	v_bfe_u32 v27, v14, 16, 7
	v_cmp_ne_u32_e32 vcc, s51, v27
	v_mov_b32_e32 v8, 0x7f800001
	s_and_saveexec_b64 s[88:89], vcc
	s_cbranch_execz .LBB4_902
; %bb.901:                              ;   in Loop: Header=BB4_124 Depth=2
	v_and_b32_e32 v8, 7, v30
	v_lshrrev_b32_e32 v29, 3, v27
	v_cmp_gt_u32_e32 vcc, 8, v27
	v_ffbh_u32_e32 v27, v8
	v_min_u32_e32 v48, 32, v27
	v_subrev_u32_e32 v27, 28, v48
	v_lshlrev_b64 v[27:28], v27, v[30:31]
	v_sub_u32_e32 v28, 29, v48
	v_and_b32_e32 v27, 7, v27
	v_cndmask_b32_e32 v28, v29, v28, vcc
	v_cndmask_b32_e32 v8, v8, v27, vcc
	v_lshlrev_b32_e32 v27, 8, v14
	v_lshlrev_b32_e32 v8, 20, v8
	v_and_b32_e32 v27, 0x80000000, v27
	v_lshl_add_u32 v28, v28, 23, v58
	v_or3_b32 v8, v27, v28, v8
.LBB4_902:                              ;   in Loop: Header=BB4_124 Depth=2
	s_or_b64 exec, exec, s[88:89]
.LBB4_903:                              ;   in Loop: Header=BB4_124 Depth=2
	s_or_b64 exec, exec, s[78:79]
.LBB4_904:                              ;   in Loop: Header=BB4_124 Depth=2
	s_or_b64 exec, exec, s[20:21]
	v_add_f32_e32 v27, v23, v8
	v_and_b32_e32 v28, 0x7f800000, v27
	v_mov_b32_e32 v29, v37
	v_cmp_ne_u64_e32 vcc, s[56:57], v[28:29]
                                        ; implicit-def: $vgpr8
	s_and_saveexec_b64 s[20:21], vcc
	s_xor_b64 s[78:79], exec, s[20:21]
	s_cbranch_execz .LBB4_918
; %bb.905:                              ;   in Loop: Header=BB4_124 Depth=2
	v_and_b32_e32 v28, 0x7fffffff, v27
	v_mov_b32_e32 v29, v37
	v_cmp_gt_u64_e32 vcc, s[58:59], v[28:29]
	v_and_b32_sdwa v23, v27, s53 dst_sel:DWORD dst_unused:UNUSED_PAD src0_sel:BYTE_3 src1_sel:DWORD
                                        ; implicit-def: $vgpr8
	s_and_saveexec_b64 s[20:21], vcc
	s_xor_b64 s[88:89], exec, s[20:21]
	s_cbranch_execz .LBB4_915
; %bb.906:                              ;   in Loop: Header=BB4_124 Depth=2
	v_mov_b32_e32 v8, 0
	v_cmp_ne_u32_e32 vcc, 0, v27
	s_and_saveexec_b64 s[90:91], vcc
	s_cbranch_execz .LBB4_914
; %bb.907:                              ;   in Loop: Header=BB4_124 Depth=2
	v_bfe_u32 v8, v27, 23, 8
	v_and_b32_e32 v28, 0x7fffff, v27
	v_cmp_gt_u32_e64 s[20:21], s54, v8
	v_sub_u32_e32 v27, 0x79, v8
	v_cmp_eq_u32_e32 vcc, 0, v8
	v_cndmask_b32_e64 v27, 0, v27, s[20:21]
	v_cndmask_b32_e32 v27, v27, v31, vcc
	v_add_u32_e32 v30, 20, v27
	v_or_b32_e32 v29, 0x800000, v28
	v_lshlrev_b64 v[44:45], v30, -1
	v_add_u32_e32 v30, 19, v27
	v_cndmask_b32_e32 v28, v29, v28, vcc
	v_lshlrev_b64 v[48:49], v30, 1
	v_mov_b32_e32 v29, v37
	v_bfi_b32 v45, v45, 0, 0
	v_bfi_b32 v44, v44, 0, v28
	v_cmp_eq_u64_e64 s[20:21], v[44:45], v[48:49]
	v_lshrrev_b64 v[44:45], v27, v[28:29]
	v_mov_b32_e32 v46, v45
	v_mov_b32_e32 v45, v44
	s_and_saveexec_b64 s[92:93], s[20:21]
; %bb.908:                              ;   in Loop: Header=BB4_124 Depth=2
	v_bfe_u32 v28, v44, 20, 1
	v_add_co_u32_e64 v28, s[20:21], v44, v28
	v_add_co_u32_e64 v45, s[20:21], -1, v28
; %bb.909:                              ;   in Loop: Header=BB4_124 Depth=2
	s_or_b64 exec, exec, s[92:93]
	v_add_u32_e32 v8, 0xffffff81, v8
	v_cndmask_b32_e32 v8, v8, v62, vcc
	v_lshrrev_b32_e32 v28, 23, v44
	v_add3_u32 v28, v27, v8, v28
	v_add_u32_e32 v27, 6, v28
	v_and_b32_e32 v8, 0xfffff, v45
	v_add_u32_e32 v44, v8, v44
	v_mov_b32_e32 v45, v37
	v_cmp_ne_u32_e32 vcc, 0, v27
                                        ; implicit-def: $vgpr8
	s_and_saveexec_b64 s[20:21], vcc
	s_xor_b64 s[20:21], exec, s[20:21]
; %bb.910:                              ;   in Loop: Header=BB4_124 Depth=2
	v_cmp_lt_u64_e32 vcc, s[60:61], v[44:45]
	v_add_u32_e32 v8, 7, v28
	v_cndmask_b32_e32 v8, v27, v8, vcc
	v_cndmask_b32_e64 v27, 0, 1, vcc
	v_lshrrev_b64 v[44:45], v27, v[44:45]
; %bb.911:                              ;   in Loop: Header=BB4_124 Depth=2
	s_andn2_saveexec_b64 s[20:21], s[20:21]
; %bb.912:                              ;   in Loop: Header=BB4_124 Depth=2
	v_bfe_u32 v8, v44, 23, 1
; %bb.913:                              ;   in Loop: Header=BB4_124 Depth=2
	s_or_b64 exec, exec, s[20:21]
	v_lshrrev_b64 v[27:28], 20, v[44:45]
	v_cmp_gt_i32_e32 vcc, 16, v8
	v_cndmask_b32_e32 v28, 0, v28, vcc
	v_cndmask_b32_e32 v27, 7, v27, vcc
	v_cmp_eq_u32_e32 vcc, 0, v8
	v_min_i32_e32 v8, 15, v8
	v_cmp_eq_u64_e64 s[20:21], 0, v[27:28]
	v_lshlrev_b32_e32 v8, 3, v8
	v_and_b32_e32 v8, 0xf8, v8
	v_and_or_b32 v8, v27, 7, v8
	s_and_b64 s[20:21], vcc, s[20:21]
	v_cndmask_b32_e64 v8, v8, 0, s[20:21]
	v_or_b32_e32 v8, v8, v23
.LBB4_914:                              ;   in Loop: Header=BB4_124 Depth=2
	s_or_b64 exec, exec, s[90:91]
                                        ; implicit-def: $vgpr23
.LBB4_915:                              ;   in Loop: Header=BB4_124 Depth=2
	s_andn2_saveexec_b64 s[20:21], s[88:89]
; %bb.916:                              ;   in Loop: Header=BB4_124 Depth=2
	v_or_b32_e32 v8, 0x7e, v23
; %bb.917:                              ;   in Loop: Header=BB4_124 Depth=2
	s_or_b64 exec, exec, s[20:21]
                                        ; implicit-def: $vgpr27
.LBB4_918:                              ;   in Loop: Header=BB4_124 Depth=2
	s_andn2_saveexec_b64 s[20:21], s[78:79]
; %bb.919:                              ;   in Loop: Header=BB4_124 Depth=2
	v_or_b32_sdwa v8, v27, s51 dst_sel:DWORD dst_unused:UNUSED_PAD src0_sel:BYTE_3 src1_sel:DWORD
; %bb.920:                              ;   in Loop: Header=BB4_124 Depth=2
	s_or_b64 exec, exec, s[20:21]
	v_cmp_lt_u32_e32 vcc, s63, v36
	v_mov_b32_e32 v23, 0
	v_mov_b32_e32 v27, 0
	s_and_saveexec_b64 s[20:21], vcc
	s_cbranch_execz .LBB4_926
; %bb.921:                              ;   in Loop: Header=BB4_124 Depth=2
	v_lshrrev_b32_e32 v30, 24, v36
	v_cmp_ne_u32_sdwa s[88:89], v36, s53 src0_sel:BYTE_3 src1_sel:DWORD
	v_bfrev_b32_e32 v27, 1
	s_and_saveexec_b64 s[78:79], s[88:89]
	s_cbranch_execz .LBB4_925
; %bb.922:                              ;   in Loop: Header=BB4_124 Depth=2
	v_bfe_u32 v28, v36, 24, 7
	v_cmp_ne_u32_e32 vcc, s51, v28
	v_mov_b32_e32 v27, 0x7f800001
	s_and_saveexec_b64 s[88:89], vcc
	s_cbranch_execz .LBB4_924
; %bb.923:                              ;   in Loop: Header=BB4_124 Depth=2
	v_and_b32_e32 v29, 7, v30
	v_ffbh_u32_e32 v27, v29
	v_min_u32_e32 v49, 32, v27
	v_subrev_u32_e32 v27, 28, v49
	v_lshrrev_b32_e32 v48, 3, v28
	v_cmp_gt_u32_e32 vcc, 8, v28
	v_lshlrev_b64 v[27:28], v27, v[30:31]
	v_sub_u32_e32 v28, 29, v49
	v_and_b32_e32 v27, 7, v27
	v_cndmask_b32_e32 v27, v29, v27, vcc
	v_mov_b32_e32 v29, 24
	v_cndmask_b32_e32 v28, v48, v28, vcc
	v_lshlrev_b32_sdwa v29, v29, v36 dst_sel:DWORD dst_unused:UNUSED_PAD src0_sel:DWORD src1_sel:BYTE_3
	v_lshlrev_b32_e32 v27, 20, v27
	v_and_b32_e32 v29, 0x80000000, v29
	v_lshl_add_u32 v28, v28, 23, v58
	v_or3_b32 v27, v29, v28, v27
.LBB4_924:                              ;   in Loop: Header=BB4_124 Depth=2
	s_or_b64 exec, exec, s[88:89]
.LBB4_925:                              ;   in Loop: Header=BB4_124 Depth=2
	s_or_b64 exec, exec, s[78:79]
.LBB4_926:                              ;   in Loop: Header=BB4_124 Depth=2
	s_or_b64 exec, exec, s[20:21]
	v_cmp_lt_u32_e32 vcc, s63, v14
	s_and_saveexec_b64 s[20:21], vcc
	s_cbranch_execz .LBB4_932
; %bb.927:                              ;   in Loop: Header=BB4_124 Depth=2
	v_lshrrev_b32_e32 v30, 24, v14
	v_cmp_ne_u32_e32 vcc, s53, v30
	v_bfrev_b32_e32 v23, 1
	s_and_saveexec_b64 s[78:79], vcc
	s_cbranch_execz .LBB4_931
; %bb.928:                              ;   in Loop: Header=BB4_124 Depth=2
	v_bfe_u32 v28, v14, 24, 7
	v_cmp_ne_u32_e32 vcc, s51, v28
	v_mov_b32_e32 v23, 0x7f800001
	s_and_saveexec_b64 s[88:89], vcc
	s_cbranch_execz .LBB4_930
; %bb.929:                              ;   in Loop: Header=BB4_124 Depth=2
	v_and_b32_e32 v23, 7, v30
	v_lshrrev_b32_e32 v36, 3, v28
	v_cmp_gt_u32_e32 vcc, 8, v28
	v_ffbh_u32_e32 v28, v23
	v_min_u32_e32 v48, 32, v28
	v_subrev_u32_e32 v28, 28, v48
	v_lshlrev_b64 v[28:29], v28, v[30:31]
	v_sub_u32_e32 v29, 29, v48
	v_and_b32_e32 v28, 7, v28
	v_cndmask_b32_e32 v29, v36, v29, vcc
	v_cndmask_b32_e32 v23, v23, v28, vcc
	v_lshlrev_b32_e32 v28, 24, v30
	v_lshlrev_b32_e32 v23, 20, v23
	v_and_b32_e32 v28, 0x80000000, v28
	v_lshl_add_u32 v29, v29, 23, v58
	v_or3_b32 v23, v28, v29, v23
.LBB4_930:                              ;   in Loop: Header=BB4_124 Depth=2
	s_or_b64 exec, exec, s[88:89]
.LBB4_931:                              ;   in Loop: Header=BB4_124 Depth=2
	s_or_b64 exec, exec, s[78:79]
.LBB4_932:                              ;   in Loop: Header=BB4_124 Depth=2
	s_or_b64 exec, exec, s[20:21]
	v_add_f32_e32 v28, v27, v23
	v_and_b32_e32 v36, 0x7f800000, v28
	v_cmp_ne_u64_e32 vcc, s[56:57], v[36:37]
                                        ; implicit-def: $vgpr27
	s_and_saveexec_b64 s[20:21], vcc
	s_xor_b64 s[78:79], exec, s[20:21]
	s_cbranch_execz .LBB4_946
; %bb.933:                              ;   in Loop: Header=BB4_124 Depth=2
	v_and_b32_e32 v36, 0x7fffffff, v28
	v_cmp_gt_u64_e32 vcc, s[58:59], v[36:37]
	v_and_b32_sdwa v23, v28, s53 dst_sel:DWORD dst_unused:UNUSED_PAD src0_sel:BYTE_3 src1_sel:DWORD
                                        ; implicit-def: $vgpr27
	s_and_saveexec_b64 s[20:21], vcc
	s_xor_b64 s[88:89], exec, s[20:21]
	s_cbranch_execz .LBB4_943
; %bb.934:                              ;   in Loop: Header=BB4_124 Depth=2
	v_mov_b32_e32 v27, 0
	v_cmp_ne_u32_e32 vcc, 0, v28
	s_and_saveexec_b64 s[90:91], vcc
	s_cbranch_execz .LBB4_942
; %bb.935:                              ;   in Loop: Header=BB4_124 Depth=2
	v_bfe_u32 v27, v28, 23, 8
	v_and_b32_e32 v29, 0x7fffff, v28
	v_cmp_gt_u32_e64 s[20:21], s54, v27
	v_sub_u32_e32 v28, 0x79, v27
	v_cmp_eq_u32_e32 vcc, 0, v27
	v_cndmask_b32_e64 v28, 0, v28, s[20:21]
	v_or_b32_e32 v30, 0x800000, v29
	v_cndmask_b32_e32 v28, v28, v31, vcc
	v_cndmask_b32_e32 v36, v30, v29, vcc
	v_add_u32_e32 v29, 20, v28
	v_lshlrev_b64 v[29:30], v29, -1
	v_add_u32_e32 v48, 19, v28
	v_lshlrev_b64 v[48:49], v48, 1
	v_lshrrev_b64 v[44:45], v28, v[36:37]
	v_bfi_b32 v30, v30, 0, 0
	v_bfi_b32 v29, v29, 0, v36
	v_cmp_eq_u64_e64 s[20:21], v[29:30], v[48:49]
	v_mov_b32_e32 v46, v45
	v_mov_b32_e32 v45, v44
	s_and_saveexec_b64 s[92:93], s[20:21]
; %bb.936:                              ;   in Loop: Header=BB4_124 Depth=2
	v_bfe_u32 v29, v44, 20, 1
	v_add_co_u32_e64 v29, s[20:21], v44, v29
	v_add_co_u32_e64 v45, s[20:21], -1, v29
; %bb.937:                              ;   in Loop: Header=BB4_124 Depth=2
	s_or_b64 exec, exec, s[92:93]
	v_add_u32_e32 v27, 0xffffff81, v27
	v_cndmask_b32_e32 v27, v27, v62, vcc
	v_lshrrev_b32_e32 v29, 23, v44
	v_add3_u32 v29, v28, v27, v29
	v_add_u32_e32 v28, 6, v29
	v_and_b32_e32 v27, 0xfffff, v45
	v_add_u32_e32 v36, v27, v44
	v_cmp_ne_u32_e32 vcc, 0, v28
                                        ; implicit-def: $vgpr44_vgpr45
                                        ; implicit-def: $vgpr27
	s_and_saveexec_b64 s[20:21], vcc
	s_xor_b64 s[20:21], exec, s[20:21]
; %bb.938:                              ;   in Loop: Header=BB4_124 Depth=2
	v_cmp_lt_u64_e32 vcc, s[60:61], v[36:37]
	v_add_u32_e32 v27, 7, v29
	v_cndmask_b32_e32 v27, v28, v27, vcc
	v_cndmask_b32_e64 v28, 0, 1, vcc
	v_lshrrev_b64 v[44:45], v28, v[36:37]
; %bb.939:                              ;   in Loop: Header=BB4_124 Depth=2
	s_andn2_saveexec_b64 s[20:21], s[20:21]
; %bb.940:                              ;   in Loop: Header=BB4_124 Depth=2
	v_mov_b32_e32 v45, v37
	v_bfe_u32 v27, v36, 23, 1
	v_mov_b32_e32 v44, v36
; %bb.941:                              ;   in Loop: Header=BB4_124 Depth=2
	s_or_b64 exec, exec, s[20:21]
	v_lshrrev_b64 v[28:29], 20, v[44:45]
	v_cmp_gt_i32_e32 vcc, 16, v27
	v_cndmask_b32_e32 v29, 0, v29, vcc
	v_cndmask_b32_e32 v28, 7, v28, vcc
	v_cmp_eq_u32_e32 vcc, 0, v27
	v_min_i32_e32 v27, 15, v27
	v_cmp_eq_u64_e64 s[20:21], 0, v[28:29]
	v_lshlrev_b32_e32 v27, 3, v27
	v_and_b32_e32 v27, 0xf8, v27
	v_and_or_b32 v27, v28, 7, v27
	s_and_b64 s[20:21], vcc, s[20:21]
	v_cndmask_b32_e64 v27, v27, 0, s[20:21]
	v_or_b32_e32 v27, v27, v23
.LBB4_942:                              ;   in Loop: Header=BB4_124 Depth=2
	s_or_b64 exec, exec, s[90:91]
                                        ; implicit-def: $vgpr23
.LBB4_943:                              ;   in Loop: Header=BB4_124 Depth=2
	s_andn2_saveexec_b64 s[20:21], s[88:89]
; %bb.944:                              ;   in Loop: Header=BB4_124 Depth=2
	v_or_b32_e32 v27, 0x7e, v23
; %bb.945:                              ;   in Loop: Header=BB4_124 Depth=2
	s_or_b64 exec, exec, s[20:21]
                                        ; implicit-def: $vgpr28
.LBB4_946:                              ;   in Loop: Header=BB4_124 Depth=2
	s_andn2_saveexec_b64 s[20:21], s[78:79]
; %bb.947:                              ;   in Loop: Header=BB4_124 Depth=2
	v_or_b32_sdwa v27, v28, s51 dst_sel:DWORD dst_unused:UNUSED_PAD src0_sel:BYTE_3 src1_sel:DWORD
; %bb.948:                              ;   in Loop: Header=BB4_124 Depth=2
	s_or_b64 exec, exec, s[20:21]
	v_lshl_or_b32 v23, v34, 8, v3
	v_lshlrev_b32_e32 v28, 16, v47
	v_lshlrev_b32_e32 v29, 24, v60
	v_or3_b32 v36, v28, v29, v23
	v_cmp_ne_u32_e32 vcc, 0, v3
	v_mov_b32_e32 v29, 0
	v_mov_b32_e32 v28, 0
	s_and_saveexec_b64 s[20:21], vcc
	s_cbranch_execz .LBB4_954
; %bb.949:                              ;   in Loop: Header=BB4_124 Depth=2
	v_cmp_ne_u32_e32 vcc, s53, v3
	v_bfrev_b32_e32 v28, 1
	s_and_saveexec_b64 s[78:79], vcc
	s_cbranch_execz .LBB4_953
; %bb.950:                              ;   in Loop: Header=BB4_124 Depth=2
	v_and_b32_e32 v30, 0x7f, v3
	v_cmp_ne_u32_e32 vcc, s51, v30
	v_mov_b32_e32 v28, 0x7f800001
	s_and_saveexec_b64 s[88:89], vcc
	s_cbranch_execz .LBB4_952
; %bb.951:                              ;   in Loop: Header=BB4_124 Depth=2
	v_and_b32_e32 v3, 7, v3
	v_ffbh_u32_e32 v3, v3
	v_min_u32_e32 v3, 32, v3
	v_lshrrev_b32_e32 v28, 3, v30
	v_cmp_gt_u32_e32 vcc, 8, v30
	v_subrev_u32_e32 v30, 28, v3
	v_sub_u32_e32 v3, 29, v3
	v_cndmask_b32_e32 v3, v28, v3, vcc
	v_cndmask_b32_e32 v28, 0, v30, vcc
	v_lshlrev_b64 v[48:49], v28, v[36:37]
	v_lshlrev_b32_e32 v30, 24, v36
	v_lshlrev_b32_e32 v28, 20, v48
	v_and_b32_e32 v28, 0x700000, v28
	v_and_b32_e32 v30, 0x80000000, v30
	v_lshl_add_u32 v3, v3, 23, v58
	v_or3_b32 v28, v30, v3, v28
.LBB4_952:                              ;   in Loop: Header=BB4_124 Depth=2
	s_or_b64 exec, exec, s[88:89]
.LBB4_953:                              ;   in Loop: Header=BB4_124 Depth=2
	s_or_b64 exec, exec, s[78:79]
.LBB4_954:                              ;   in Loop: Header=BB4_124 Depth=2
	s_or_b64 exec, exec, s[20:21]
	v_cmp_ne_u16_sdwa s[78:79], v15, v37 src0_sel:BYTE_0 src1_sel:DWORD
	s_and_saveexec_b64 s[20:21], s[78:79]
	s_cbranch_execz .LBB4_960
; %bb.955:                              ;   in Loop: Header=BB4_124 Depth=2
	v_cmp_ne_u16_sdwa s[88:89], v15, s53 src0_sel:BYTE_0 src1_sel:DWORD
	v_bfrev_b32_e32 v29, 1
	s_and_saveexec_b64 s[78:79], s[88:89]
	s_cbranch_execz .LBB4_959
; %bb.956:                              ;   in Loop: Header=BB4_124 Depth=2
	v_and_b32_e32 v3, 0x7f, v15
	v_cmp_ne_u32_e32 vcc, s51, v3
	v_mov_b32_e32 v29, 0x7f800001
	s_and_saveexec_b64 s[88:89], vcc
	s_cbranch_execz .LBB4_958
; %bb.957:                              ;   in Loop: Header=BB4_124 Depth=2
	v_and_b32_e32 v34, 7, v15
	v_lshrrev_b32_e32 v48, 3, v3
	v_cmp_gt_u32_e32 vcc, 8, v3
	v_ffbh_u32_e32 v3, v34
	v_min_u32_e32 v3, 32, v3
	v_subrev_u32_e32 v34, 28, v3
	v_mov_b32_e32 v29, v15
	v_mov_b32_e32 v30, v37
	v_sub_u32_e32 v3, 29, v3
	v_cndmask_b32_e32 v34, 0, v34, vcc
	v_cndmask_b32_e32 v3, v48, v3, vcc
	v_lshlrev_b64 v[48:49], v34, v[29:30]
	v_lshlrev_b32_e32 v29, 24, v29
	v_lshlrev_b32_e32 v30, 20, v48
	v_and_b32_e32 v30, 0x700000, v30
	v_and_b32_e32 v29, 0x80000000, v29
	v_lshl_add_u32 v3, v3, 23, v58
	v_or3_b32 v29, v29, v3, v30
.LBB4_958:                              ;   in Loop: Header=BB4_124 Depth=2
	s_or_b64 exec, exec, s[88:89]
.LBB4_959:                              ;   in Loop: Header=BB4_124 Depth=2
	s_or_b64 exec, exec, s[78:79]
.LBB4_960:                              ;   in Loop: Header=BB4_124 Depth=2
	s_or_b64 exec, exec, s[20:21]
	v_add_f32_e32 v29, v28, v29
	v_and_b32_e32 v48, 0x7f800000, v29
	v_mov_b32_e32 v49, v37
	v_cmp_ne_u64_e32 vcc, s[56:57], v[48:49]
                                        ; implicit-def: $vgpr3
	s_and_saveexec_b64 s[20:21], vcc
	s_xor_b64 s[78:79], exec, s[20:21]
	s_cbranch_execz .LBB4_974
; %bb.961:                              ;   in Loop: Header=BB4_124 Depth=2
	v_and_b32_e32 v48, 0x7fffffff, v29
	v_mov_b32_e32 v49, v37
	v_cmp_gt_u64_e32 vcc, s[58:59], v[48:49]
	v_and_b32_sdwa v28, v29, s53 dst_sel:DWORD dst_unused:UNUSED_PAD src0_sel:BYTE_3 src1_sel:DWORD
                                        ; implicit-def: $vgpr3
	s_and_saveexec_b64 s[20:21], vcc
	s_xor_b64 s[88:89], exec, s[20:21]
	s_cbranch_execz .LBB4_971
; %bb.962:                              ;   in Loop: Header=BB4_124 Depth=2
	v_mov_b32_e32 v3, 0
	v_cmp_ne_u32_e32 vcc, 0, v29
	s_and_saveexec_b64 s[90:91], vcc
	s_cbranch_execz .LBB4_970
; %bb.963:                              ;   in Loop: Header=BB4_124 Depth=2
	v_bfe_u32 v3, v29, 23, 8
	v_and_b32_e32 v30, 0x7fffff, v29
	v_cmp_gt_u32_e64 s[20:21], s54, v3
	v_sub_u32_e32 v29, 0x79, v3
	v_cmp_eq_u32_e32 vcc, 0, v3
	v_cndmask_b32_e64 v29, 0, v29, s[20:21]
	v_or_b32_e32 v34, 0x800000, v30
	v_cndmask_b32_e32 v29, v29, v31, vcc
	v_cndmask_b32_e32 v48, v34, v30, vcc
	v_add_u32_e32 v30, 20, v29
	v_lshlrev_b64 v[44:45], v30, -1
	v_add_u32_e32 v30, 19, v29
	v_lshlrev_b64 v[46:47], v30, 1
	v_mov_b32_e32 v49, v37
	v_bfi_b32 v45, v45, 0, 0
	v_bfi_b32 v44, v44, 0, v48
	v_cmp_eq_u64_e64 s[20:21], v[44:45], v[46:47]
	v_lshrrev_b64 v[44:45], v29, v[48:49]
	v_mov_b32_e32 v46, v45
	v_mov_b32_e32 v45, v44
	s_and_saveexec_b64 s[92:93], s[20:21]
; %bb.964:                              ;   in Loop: Header=BB4_124 Depth=2
	v_bfe_u32 v30, v44, 20, 1
	v_add_co_u32_e64 v30, s[20:21], v44, v30
	v_add_co_u32_e64 v45, s[20:21], -1, v30
; %bb.965:                              ;   in Loop: Header=BB4_124 Depth=2
	s_or_b64 exec, exec, s[92:93]
	v_add_u32_e32 v3, 0xffffff81, v3
	v_cndmask_b32_e32 v3, v3, v62, vcc
	v_lshrrev_b32_e32 v30, 23, v44
	v_add3_u32 v30, v29, v3, v30
	v_add_u32_e32 v29, 6, v30
	v_and_b32_e32 v3, 0xfffff, v45
	v_add_u32_e32 v44, v3, v44
	v_mov_b32_e32 v45, v37
	v_cmp_ne_u32_e32 vcc, 0, v29
                                        ; implicit-def: $vgpr3
	s_and_saveexec_b64 s[20:21], vcc
	s_xor_b64 s[20:21], exec, s[20:21]
; %bb.966:                              ;   in Loop: Header=BB4_124 Depth=2
	v_cmp_lt_u64_e32 vcc, s[60:61], v[44:45]
	v_add_u32_e32 v3, 7, v30
	v_cndmask_b32_e32 v3, v29, v3, vcc
	v_cndmask_b32_e64 v29, 0, 1, vcc
	v_lshrrev_b64 v[44:45], v29, v[44:45]
; %bb.967:                              ;   in Loop: Header=BB4_124 Depth=2
	s_andn2_saveexec_b64 s[20:21], s[20:21]
; %bb.968:                              ;   in Loop: Header=BB4_124 Depth=2
	v_bfe_u32 v3, v44, 23, 1
; %bb.969:                              ;   in Loop: Header=BB4_124 Depth=2
	s_or_b64 exec, exec, s[20:21]
	v_lshrrev_b64 v[29:30], 20, v[44:45]
	v_cmp_gt_i32_e32 vcc, 16, v3
	v_cndmask_b32_e32 v30, 0, v30, vcc
	v_cndmask_b32_e32 v29, 7, v29, vcc
	v_cmp_eq_u32_e32 vcc, 0, v3
	v_min_i32_e32 v3, 15, v3
	v_cmp_eq_u64_e64 s[20:21], 0, v[29:30]
	v_lshlrev_b32_e32 v3, 3, v3
	v_and_b32_e32 v3, 0xf8, v3
	v_and_or_b32 v3, v29, 7, v3
	s_and_b64 s[20:21], vcc, s[20:21]
	v_cndmask_b32_e64 v3, v3, 0, s[20:21]
	v_or_b32_e32 v3, v3, v28
.LBB4_970:                              ;   in Loop: Header=BB4_124 Depth=2
	s_or_b64 exec, exec, s[90:91]
                                        ; implicit-def: $vgpr28
.LBB4_971:                              ;   in Loop: Header=BB4_124 Depth=2
	s_andn2_saveexec_b64 s[20:21], s[88:89]
; %bb.972:                              ;   in Loop: Header=BB4_124 Depth=2
	v_or_b32_e32 v3, 0x7e, v28
; %bb.973:                              ;   in Loop: Header=BB4_124 Depth=2
	s_or_b64 exec, exec, s[20:21]
                                        ; implicit-def: $vgpr29
.LBB4_974:                              ;   in Loop: Header=BB4_124 Depth=2
	s_andn2_saveexec_b64 s[20:21], s[78:79]
; %bb.975:                              ;   in Loop: Header=BB4_124 Depth=2
	v_or_b32_sdwa v3, v29, s51 dst_sel:DWORD dst_unused:UNUSED_PAD src0_sel:BYTE_3 src1_sel:DWORD
; %bb.976:                              ;   in Loop: Header=BB4_124 Depth=2
	s_or_b64 exec, exec, s[20:21]
	v_lshrrev_b16_e32 v30, 8, v23
	v_cmp_ne_u16_e32 vcc, 0, v30
	v_mov_b32_e32 v28, 0
	v_mov_b32_e32 v29, 0
	s_and_saveexec_b64 s[20:21], vcc
	s_cbranch_execz .LBB4_982
; %bb.977:                              ;   in Loop: Header=BB4_124 Depth=2
	v_cmp_ne_u16_e32 vcc, s53, v30
	v_bfrev_b32_e32 v29, 1
	s_and_saveexec_b64 s[78:79], vcc
	s_cbranch_execz .LBB4_981
; %bb.978:                              ;   in Loop: Header=BB4_124 Depth=2
	v_and_b32_e32 v34, 0x7f, v30
	v_cmp_ne_u32_e32 vcc, s51, v34
	v_mov_b32_e32 v29, 0x7f800001
	s_and_saveexec_b64 s[88:89], vcc
	s_cbranch_execz .LBB4_980
; %bb.979:                              ;   in Loop: Header=BB4_124 Depth=2
	v_and_b32_e32 v48, 7, v30
	v_ffbh_u32_e32 v29, v48
	v_lshrrev_b32_e32 v49, 3, v34
	v_cmp_gt_u32_e32 vcc, 8, v34
	v_min_u32_e32 v34, 32, v29
	v_subrev_u32_e32 v29, 28, v34
	v_lshlrev_b64 v[29:30], v29, v[30:31]
	v_sub_u32_e32 v30, 29, v34
	v_and_b32_e32 v29, 7, v29
	v_cndmask_b32_e32 v30, v49, v30, vcc
	v_cndmask_b32_e32 v29, v48, v29, vcc
	v_lshlrev_b32_e32 v23, 16, v23
	v_lshlrev_b32_e32 v29, 20, v29
	v_and_b32_e32 v23, 0x80000000, v23
	v_lshl_add_u32 v30, v30, 23, v58
	v_or3_b32 v29, v23, v30, v29
.LBB4_980:                              ;   in Loop: Header=BB4_124 Depth=2
	s_or_b64 exec, exec, s[88:89]
.LBB4_981:                              ;   in Loop: Header=BB4_124 Depth=2
	s_or_b64 exec, exec, s[78:79]
.LBB4_982:                              ;   in Loop: Header=BB4_124 Depth=2
	s_or_b64 exec, exec, s[20:21]
	v_lshrrev_b16_e32 v30, 8, v15
	v_cmp_ne_u16_e32 vcc, 0, v30
	s_and_saveexec_b64 s[20:21], vcc
	s_cbranch_execz .LBB4_988
; %bb.983:                              ;   in Loop: Header=BB4_124 Depth=2
	v_cmp_ne_u16_e32 vcc, s53, v30
	v_bfrev_b32_e32 v28, 1
	s_and_saveexec_b64 s[78:79], vcc
	s_cbranch_execz .LBB4_987
; %bb.984:                              ;   in Loop: Header=BB4_124 Depth=2
	v_and_b32_e32 v23, 0x7f, v30
	v_cmp_ne_u32_e32 vcc, s51, v23
	v_mov_b32_e32 v28, 0x7f800001
	s_and_saveexec_b64 s[88:89], vcc
	s_cbranch_execz .LBB4_986
; %bb.985:                              ;   in Loop: Header=BB4_124 Depth=2
	v_and_b32_e32 v28, 7, v30
	v_lshrrev_b32_e32 v34, 3, v23
	v_cmp_gt_u32_e32 vcc, 8, v23
	v_ffbh_u32_e32 v23, v28
	v_min_u32_e32 v23, 32, v23
	v_subrev_u32_e32 v48, 28, v23
	v_lshlrev_b64 v[48:49], v48, v[30:31]
	v_sub_u32_e32 v23, 29, v23
	v_and_b32_e32 v30, 7, v48
	v_cndmask_b32_e32 v23, v34, v23, vcc
	v_cndmask_b32_e32 v28, v28, v30, vcc
	v_lshlrev_b32_e32 v30, 16, v15
	v_lshlrev_b32_e32 v28, 20, v28
	v_and_b32_e32 v30, 0x80000000, v30
	v_lshl_add_u32 v23, v23, 23, v58
	v_or3_b32 v28, v30, v23, v28
.LBB4_986:                              ;   in Loop: Header=BB4_124 Depth=2
	s_or_b64 exec, exec, s[88:89]
.LBB4_987:                              ;   in Loop: Header=BB4_124 Depth=2
	s_or_b64 exec, exec, s[78:79]
.LBB4_988:                              ;   in Loop: Header=BB4_124 Depth=2
	s_or_b64 exec, exec, s[20:21]
	v_add_f32_e32 v28, v29, v28
	v_and_b32_e32 v29, 0x7f800000, v28
	v_mov_b32_e32 v30, v37
	v_cmp_ne_u64_e32 vcc, s[56:57], v[29:30]
                                        ; implicit-def: $vgpr34
	s_and_saveexec_b64 s[20:21], vcc
	s_xor_b64 s[78:79], exec, s[20:21]
	s_cbranch_execz .LBB4_1002
; %bb.989:                              ;   in Loop: Header=BB4_124 Depth=2
	v_and_b32_e32 v29, 0x7fffffff, v28
	v_mov_b32_e32 v30, v37
	v_cmp_gt_u64_e32 vcc, s[58:59], v[29:30]
	v_and_b32_sdwa v23, v28, s53 dst_sel:DWORD dst_unused:UNUSED_PAD src0_sel:BYTE_3 src1_sel:DWORD
                                        ; implicit-def: $vgpr34
	s_and_saveexec_b64 s[20:21], vcc
	s_xor_b64 s[88:89], exec, s[20:21]
	s_cbranch_execz .LBB4_999
; %bb.990:                              ;   in Loop: Header=BB4_124 Depth=2
	v_mov_b32_e32 v34, 0
	v_cmp_ne_u32_e32 vcc, 0, v28
	s_and_saveexec_b64 s[90:91], vcc
	s_cbranch_execz .LBB4_998
; %bb.991:                              ;   in Loop: Header=BB4_124 Depth=2
	v_and_b32_e32 v30, 0x7fffff, v28
	v_bfe_u32 v28, v28, 23, 8
	v_cmp_gt_u32_e64 s[20:21], s54, v28
	v_sub_u32_e32 v29, 0x79, v28
	v_cmp_eq_u32_e32 vcc, 0, v28
	v_cndmask_b32_e64 v29, 0, v29, s[20:21]
	v_or_b32_e32 v34, 0x800000, v30
	v_cndmask_b32_e32 v29, v29, v31, vcc
	v_cndmask_b32_e32 v48, v34, v30, vcc
	v_add_u32_e32 v30, 20, v29
	v_lshlrev_b64 v[44:45], v30, -1
	v_add_u32_e32 v30, 19, v29
	v_lshlrev_b64 v[46:47], v30, 1
	v_mov_b32_e32 v49, v37
	v_bfi_b32 v45, v45, 0, 0
	v_bfi_b32 v44, v44, 0, v48
	v_cmp_eq_u64_e64 s[20:21], v[44:45], v[46:47]
	v_lshrrev_b64 v[44:45], v29, v[48:49]
	v_mov_b32_e32 v46, v45
	v_mov_b32_e32 v45, v44
	s_and_saveexec_b64 s[92:93], s[20:21]
; %bb.992:                              ;   in Loop: Header=BB4_124 Depth=2
	v_bfe_u32 v30, v44, 20, 1
	v_add_co_u32_e64 v30, s[20:21], v44, v30
	v_add_co_u32_e64 v45, s[20:21], -1, v30
; %bb.993:                              ;   in Loop: Header=BB4_124 Depth=2
	s_or_b64 exec, exec, s[92:93]
	v_add_u32_e32 v28, 0xffffff81, v28
	v_cndmask_b32_e32 v28, v28, v62, vcc
	v_lshrrev_b32_e32 v30, 23, v44
	v_add3_u32 v30, v29, v28, v30
	v_add_u32_e32 v29, 6, v30
	v_and_b32_e32 v28, 0xfffff, v45
	v_add_u32_e32 v44, v28, v44
	v_mov_b32_e32 v45, v37
	v_cmp_ne_u32_e32 vcc, 0, v29
                                        ; implicit-def: $vgpr28
	s_and_saveexec_b64 s[20:21], vcc
	s_xor_b64 s[20:21], exec, s[20:21]
; %bb.994:                              ;   in Loop: Header=BB4_124 Depth=2
	v_cmp_lt_u64_e32 vcc, s[60:61], v[44:45]
	v_add_u32_e32 v28, 7, v30
	v_cndmask_b32_e32 v28, v29, v28, vcc
	v_cndmask_b32_e64 v29, 0, 1, vcc
	v_lshrrev_b64 v[44:45], v29, v[44:45]
; %bb.995:                              ;   in Loop: Header=BB4_124 Depth=2
	s_andn2_saveexec_b64 s[20:21], s[20:21]
; %bb.996:                              ;   in Loop: Header=BB4_124 Depth=2
	v_bfe_u32 v28, v44, 23, 1
; %bb.997:                              ;   in Loop: Header=BB4_124 Depth=2
	s_or_b64 exec, exec, s[20:21]
	v_lshrrev_b64 v[29:30], 20, v[44:45]
	v_cmp_gt_i32_e32 vcc, 16, v28
	v_cndmask_b32_e32 v30, 0, v30, vcc
	v_cndmask_b32_e32 v29, 7, v29, vcc
	v_cmp_eq_u32_e32 vcc, 0, v28
	v_min_i32_e32 v28, 15, v28
	v_cmp_eq_u64_e64 s[20:21], 0, v[29:30]
	v_lshlrev_b32_e32 v28, 3, v28
	v_and_b32_e32 v28, 0xf8, v28
	v_and_or_b32 v28, v29, 7, v28
	s_and_b64 s[20:21], vcc, s[20:21]
	v_cndmask_b32_e64 v28, v28, 0, s[20:21]
	v_or_b32_e32 v34, v28, v23
.LBB4_998:                              ;   in Loop: Header=BB4_124 Depth=2
	s_or_b64 exec, exec, s[90:91]
                                        ; implicit-def: $vgpr23
.LBB4_999:                              ;   in Loop: Header=BB4_124 Depth=2
	s_andn2_saveexec_b64 s[20:21], s[88:89]
; %bb.1000:                             ;   in Loop: Header=BB4_124 Depth=2
	v_or_b32_e32 v34, 0x7e, v23
; %bb.1001:                             ;   in Loop: Header=BB4_124 Depth=2
	s_or_b64 exec, exec, s[20:21]
                                        ; implicit-def: $vgpr28
.LBB4_1002:                             ;   in Loop: Header=BB4_124 Depth=2
	s_andn2_saveexec_b64 s[20:21], s[78:79]
; %bb.1003:                             ;   in Loop: Header=BB4_124 Depth=2
	v_or_b32_sdwa v34, v28, s51 dst_sel:DWORD dst_unused:UNUSED_PAD src0_sel:BYTE_3 src1_sel:DWORD
; %bb.1004:                             ;   in Loop: Header=BB4_124 Depth=2
	s_or_b64 exec, exec, s[20:21]
	v_lshrrev_b32_e32 v30, 16, v36
	v_cmp_ne_u16_sdwa s[78:79], v30, v37 src0_sel:BYTE_0 src1_sel:DWORD
	v_mov_b32_e32 v23, 0
	v_mov_b32_e32 v28, 0
	s_and_saveexec_b64 s[20:21], s[78:79]
	s_cbranch_execz .LBB4_1010
; %bb.1005:                             ;   in Loop: Header=BB4_124 Depth=2
	v_cmp_ne_u16_sdwa s[88:89], v30, s53 src0_sel:BYTE_0 src1_sel:DWORD
	v_bfrev_b32_e32 v28, 1
	s_and_saveexec_b64 s[78:79], s[88:89]
	s_cbranch_execz .LBB4_1009
; %bb.1006:                             ;   in Loop: Header=BB4_124 Depth=2
	v_bfe_u32 v29, v36, 16, 7
	v_cmp_ne_u32_e32 vcc, s51, v29
	v_mov_b32_e32 v28, 0x7f800001
	s_and_saveexec_b64 s[88:89], vcc
	s_cbranch_execz .LBB4_1008
; %bb.1007:                             ;   in Loop: Header=BB4_124 Depth=2
	v_and_b32_e32 v48, 7, v30
	v_ffbh_u32_e32 v28, v48
	v_min_u32_e32 v44, 32, v28
	v_subrev_u32_e32 v28, 28, v44
	v_lshrrev_b32_e32 v49, 3, v29
	v_cmp_gt_u32_e32 vcc, 8, v29
	v_lshlrev_b64 v[28:29], v28, v[30:31]
	v_sub_u32_e32 v29, 29, v44
	v_and_b32_e32 v28, 7, v28
	v_cndmask_b32_e32 v29, v49, v29, vcc
	v_cndmask_b32_e32 v28, v48, v28, vcc
	v_lshlrev_b32_e32 v30, 24, v30
	v_lshlrev_b32_e32 v28, 20, v28
	v_and_b32_e32 v30, 0x80000000, v30
	v_lshl_add_u32 v29, v29, 23, v58
	v_or3_b32 v28, v30, v29, v28
.LBB4_1008:                             ;   in Loop: Header=BB4_124 Depth=2
	s_or_b64 exec, exec, s[88:89]
.LBB4_1009:                             ;   in Loop: Header=BB4_124 Depth=2
	s_or_b64 exec, exec, s[78:79]
.LBB4_1010:                             ;   in Loop: Header=BB4_124 Depth=2
	s_or_b64 exec, exec, s[20:21]
	v_lshrrev_b32_e32 v30, 16, v15
	v_cmp_ne_u16_sdwa s[78:79], v30, v37 src0_sel:BYTE_0 src1_sel:DWORD
	s_and_saveexec_b64 s[20:21], s[78:79]
	s_cbranch_execz .LBB4_1016
; %bb.1011:                             ;   in Loop: Header=BB4_124 Depth=2
	v_cmp_ne_u16_sdwa s[88:89], v30, s53 src0_sel:BYTE_0 src1_sel:DWORD
	v_bfrev_b32_e32 v23, 1
	s_and_saveexec_b64 s[78:79], s[88:89]
	s_cbranch_execz .LBB4_1015
; %bb.1012:                             ;   in Loop: Header=BB4_124 Depth=2
	v_bfe_u32 v29, v15, 16, 7
	v_cmp_ne_u32_e32 vcc, s51, v29
	v_mov_b32_e32 v23, 0x7f800001
	s_and_saveexec_b64 s[88:89], vcc
	s_cbranch_execz .LBB4_1014
; %bb.1013:                             ;   in Loop: Header=BB4_124 Depth=2
	v_and_b32_e32 v23, 7, v30
	v_lshrrev_b32_e32 v48, 3, v29
	v_cmp_gt_u32_e32 vcc, 8, v29
	v_ffbh_u32_e32 v29, v23
	v_min_u32_e32 v49, 32, v29
	v_subrev_u32_e32 v29, 28, v49
	v_lshlrev_b64 v[29:30], v29, v[30:31]
	v_sub_u32_e32 v30, 29, v49
	v_and_b32_e32 v29, 7, v29
	v_cndmask_b32_e32 v30, v48, v30, vcc
	v_cndmask_b32_e32 v23, v23, v29, vcc
	v_lshlrev_b32_e32 v29, 8, v15
	v_lshlrev_b32_e32 v23, 20, v23
	v_and_b32_e32 v29, 0x80000000, v29
	v_lshl_add_u32 v30, v30, 23, v58
	v_or3_b32 v23, v29, v30, v23
.LBB4_1014:                             ;   in Loop: Header=BB4_124 Depth=2
	s_or_b64 exec, exec, s[88:89]
.LBB4_1015:                             ;   in Loop: Header=BB4_124 Depth=2
	s_or_b64 exec, exec, s[78:79]
.LBB4_1016:                             ;   in Loop: Header=BB4_124 Depth=2
	s_or_b64 exec, exec, s[20:21]
	v_add_f32_e32 v28, v28, v23
	v_and_b32_e32 v29, 0x7f800000, v28
	v_mov_b32_e32 v30, v37
	v_cmp_ne_u64_e32 vcc, s[56:57], v[29:30]
                                        ; implicit-def: $vgpr46
	s_and_saveexec_b64 s[20:21], vcc
	s_xor_b64 s[78:79], exec, s[20:21]
	s_cbranch_execz .LBB4_1030
; %bb.1017:                             ;   in Loop: Header=BB4_124 Depth=2
	v_and_b32_e32 v29, 0x7fffffff, v28
	v_mov_b32_e32 v30, v37
	v_cmp_gt_u64_e32 vcc, s[58:59], v[29:30]
	v_and_b32_sdwa v23, v28, s53 dst_sel:DWORD dst_unused:UNUSED_PAD src0_sel:BYTE_3 src1_sel:DWORD
                                        ; implicit-def: $vgpr46
	s_and_saveexec_b64 s[20:21], vcc
	s_xor_b64 s[88:89], exec, s[20:21]
	s_cbranch_execz .LBB4_1027
; %bb.1018:                             ;   in Loop: Header=BB4_124 Depth=2
	v_mov_b32_e32 v46, 0
	v_cmp_ne_u32_e32 vcc, 0, v28
	s_and_saveexec_b64 s[90:91], vcc
	s_cbranch_execz .LBB4_1026
; %bb.1019:                             ;   in Loop: Header=BB4_124 Depth=2
	v_and_b32_e32 v30, 0x7fffff, v28
	v_bfe_u32 v28, v28, 23, 8
	v_cmp_gt_u32_e64 s[20:21], s54, v28
	v_sub_u32_e32 v29, 0x79, v28
	v_cmp_eq_u32_e32 vcc, 0, v28
	v_cndmask_b32_e64 v29, 0, v29, s[20:21]
	v_or_b32_e32 v48, 0x800000, v30
	v_cndmask_b32_e32 v29, v29, v31, vcc
	v_cndmask_b32_e32 v48, v48, v30, vcc
	v_add_u32_e32 v30, 20, v29
	v_lshlrev_b64 v[44:45], v30, -1
	v_add_u32_e32 v30, 19, v29
	v_lshlrev_b64 v[46:47], v30, 1
	v_mov_b32_e32 v49, v37
	v_bfi_b32 v45, v45, 0, 0
	v_bfi_b32 v44, v44, 0, v48
	v_cmp_eq_u64_e64 s[20:21], v[44:45], v[46:47]
	v_lshrrev_b64 v[44:45], v29, v[48:49]
	v_mov_b32_e32 v46, v45
	v_mov_b32_e32 v45, v44
	s_and_saveexec_b64 s[92:93], s[20:21]
; %bb.1020:                             ;   in Loop: Header=BB4_124 Depth=2
	v_bfe_u32 v30, v44, 20, 1
	v_add_co_u32_e64 v30, s[20:21], v44, v30
	v_add_co_u32_e64 v45, s[20:21], -1, v30
; %bb.1021:                             ;   in Loop: Header=BB4_124 Depth=2
	s_or_b64 exec, exec, s[92:93]
	v_add_u32_e32 v28, 0xffffff81, v28
	v_cndmask_b32_e32 v28, v28, v62, vcc
	v_lshrrev_b32_e32 v30, 23, v44
	v_add3_u32 v30, v29, v28, v30
	v_add_u32_e32 v29, 6, v30
	v_and_b32_e32 v28, 0xfffff, v45
	v_add_u32_e32 v44, v28, v44
	v_mov_b32_e32 v45, v37
	v_cmp_ne_u32_e32 vcc, 0, v29
                                        ; implicit-def: $vgpr28
	s_and_saveexec_b64 s[20:21], vcc
	s_xor_b64 s[20:21], exec, s[20:21]
; %bb.1022:                             ;   in Loop: Header=BB4_124 Depth=2
	v_cmp_lt_u64_e32 vcc, s[60:61], v[44:45]
	v_add_u32_e32 v28, 7, v30
	v_cndmask_b32_e32 v28, v29, v28, vcc
	v_cndmask_b32_e64 v29, 0, 1, vcc
	v_lshrrev_b64 v[44:45], v29, v[44:45]
; %bb.1023:                             ;   in Loop: Header=BB4_124 Depth=2
	s_andn2_saveexec_b64 s[20:21], s[20:21]
; %bb.1024:                             ;   in Loop: Header=BB4_124 Depth=2
	v_bfe_u32 v28, v44, 23, 1
; %bb.1025:                             ;   in Loop: Header=BB4_124 Depth=2
	s_or_b64 exec, exec, s[20:21]
	v_lshrrev_b64 v[29:30], 20, v[44:45]
	v_cmp_gt_i32_e32 vcc, 16, v28
	v_cndmask_b32_e32 v30, 0, v30, vcc
	v_cndmask_b32_e32 v29, 7, v29, vcc
	v_cmp_eq_u32_e32 vcc, 0, v28
	v_min_i32_e32 v28, 15, v28
	v_cmp_eq_u64_e64 s[20:21], 0, v[29:30]
	v_lshlrev_b32_e32 v28, 3, v28
	v_and_b32_e32 v28, 0xf8, v28
	v_and_or_b32 v28, v29, 7, v28
	s_and_b64 s[20:21], vcc, s[20:21]
	v_cndmask_b32_e64 v28, v28, 0, s[20:21]
	v_or_b32_e32 v46, v28, v23
.LBB4_1026:                             ;   in Loop: Header=BB4_124 Depth=2
	s_or_b64 exec, exec, s[90:91]
                                        ; implicit-def: $vgpr23
.LBB4_1027:                             ;   in Loop: Header=BB4_124 Depth=2
	s_andn2_saveexec_b64 s[20:21], s[88:89]
; %bb.1028:                             ;   in Loop: Header=BB4_124 Depth=2
	v_or_b32_e32 v46, 0x7e, v23
; %bb.1029:                             ;   in Loop: Header=BB4_124 Depth=2
	s_or_b64 exec, exec, s[20:21]
                                        ; implicit-def: $vgpr28
.LBB4_1030:                             ;   in Loop: Header=BB4_124 Depth=2
	s_andn2_saveexec_b64 s[20:21], s[78:79]
; %bb.1031:                             ;   in Loop: Header=BB4_124 Depth=2
	v_or_b32_sdwa v46, v28, s51 dst_sel:DWORD dst_unused:UNUSED_PAD src0_sel:BYTE_3 src1_sel:DWORD
; %bb.1032:                             ;   in Loop: Header=BB4_124 Depth=2
	s_or_b64 exec, exec, s[20:21]
	v_cmp_lt_u32_e32 vcc, s63, v36
	v_mov_b32_e32 v23, 0
	v_mov_b32_e32 v28, 0
	s_and_saveexec_b64 s[20:21], vcc
	s_cbranch_execz .LBB4_1038
; %bb.1033:                             ;   in Loop: Header=BB4_124 Depth=2
	v_lshrrev_b32_e32 v30, 24, v36
	v_cmp_ne_u32_sdwa s[88:89], v36, s53 src0_sel:BYTE_3 src1_sel:DWORD
	v_bfrev_b32_e32 v28, 1
	s_and_saveexec_b64 s[78:79], s[88:89]
	s_cbranch_execz .LBB4_1037
; %bb.1034:                             ;   in Loop: Header=BB4_124 Depth=2
	v_bfe_u32 v29, v36, 24, 7
	v_cmp_ne_u32_e32 vcc, s51, v29
	v_mov_b32_e32 v28, 0x7f800001
	s_and_saveexec_b64 s[88:89], vcc
	s_cbranch_execz .LBB4_1036
; %bb.1035:                             ;   in Loop: Header=BB4_124 Depth=2
	v_and_b32_e32 v48, 7, v30
	v_ffbh_u32_e32 v28, v48
	v_min_u32_e32 v44, 32, v28
	v_subrev_u32_e32 v28, 28, v44
	v_lshrrev_b32_e32 v49, 3, v29
	v_cmp_gt_u32_e32 vcc, 8, v29
	v_lshlrev_b64 v[28:29], v28, v[30:31]
	v_sub_u32_e32 v29, 29, v44
	v_and_b32_e32 v28, 7, v28
	v_mov_b32_e32 v30, 24
	v_cndmask_b32_e32 v29, v49, v29, vcc
	v_cndmask_b32_e32 v28, v48, v28, vcc
	v_lshlrev_b32_sdwa v30, v30, v36 dst_sel:DWORD dst_unused:UNUSED_PAD src0_sel:DWORD src1_sel:BYTE_3
	v_lshlrev_b32_e32 v28, 20, v28
	v_and_b32_e32 v30, 0x80000000, v30
	v_lshl_add_u32 v29, v29, 23, v58
	v_or3_b32 v28, v30, v29, v28
.LBB4_1036:                             ;   in Loop: Header=BB4_124 Depth=2
	s_or_b64 exec, exec, s[88:89]
.LBB4_1037:                             ;   in Loop: Header=BB4_124 Depth=2
	s_or_b64 exec, exec, s[78:79]
.LBB4_1038:                             ;   in Loop: Header=BB4_124 Depth=2
	s_or_b64 exec, exec, s[20:21]
	v_cmp_lt_u64_e32 vcc, s[62:63], v[14:15]
	s_and_saveexec_b64 s[20:21], vcc
	s_cbranch_execz .LBB4_1044
; %bb.1039:                             ;   in Loop: Header=BB4_124 Depth=2
	v_lshrrev_b32_e32 v14, 24, v15
	v_cmp_ne_u32_e32 vcc, s53, v14
	v_bfrev_b32_e32 v23, 1
	s_and_saveexec_b64 s[78:79], vcc
	s_cbranch_execz .LBB4_1043
; %bb.1040:                             ;   in Loop: Header=BB4_124 Depth=2
	v_bfe_u32 v15, v15, 24, 7
	v_cmp_ne_u32_e32 vcc, s51, v15
	v_mov_b32_e32 v23, 0x7f800001
	s_and_saveexec_b64 s[88:89], vcc
	s_cbranch_execz .LBB4_1042
; %bb.1041:                             ;   in Loop: Header=BB4_124 Depth=2
	v_and_b32_e32 v23, 7, v14
	v_lshrrev_b32_e32 v36, 3, v15
	v_cmp_gt_u32_e32 vcc, 8, v15
	v_ffbh_u32_e32 v15, v23
	v_min_u32_e32 v15, 32, v15
	v_subrev_u32_e32 v29, 28, v15
	v_lshlrev_b64 v[29:30], v29, v[14:15]
	v_sub_u32_e32 v15, 29, v15
	v_and_b32_e32 v29, 7, v29
	v_cndmask_b32_e32 v15, v36, v15, vcc
	v_cndmask_b32_e32 v23, v23, v29, vcc
	v_lshlrev_b32_e32 v14, 24, v14
	v_lshlrev_b32_e32 v23, 20, v23
	v_and_b32_e32 v14, 0x80000000, v14
	v_lshl_add_u32 v15, v15, 23, v58
	v_or3_b32 v23, v14, v15, v23
.LBB4_1042:                             ;   in Loop: Header=BB4_124 Depth=2
	s_or_b64 exec, exec, s[88:89]
.LBB4_1043:                             ;   in Loop: Header=BB4_124 Depth=2
	s_or_b64 exec, exec, s[78:79]
.LBB4_1044:                             ;   in Loop: Header=BB4_124 Depth=2
	s_or_b64 exec, exec, s[20:21]
	v_add_f32_e32 v14, v28, v23
	v_and_b32_e32 v36, 0x7f800000, v14
	v_cmp_ne_u64_e32 vcc, s[56:57], v[36:37]
                                        ; implicit-def: $vgpr23
	s_and_saveexec_b64 s[20:21], vcc
	s_xor_b64 s[78:79], exec, s[20:21]
	s_cbranch_execz .LBB4_1058
; %bb.1045:                             ;   in Loop: Header=BB4_124 Depth=2
	v_and_b32_e32 v36, 0x7fffffff, v14
	v_cmp_gt_u64_e32 vcc, s[58:59], v[36:37]
	v_and_b32_sdwa v28, v14, s53 dst_sel:DWORD dst_unused:UNUSED_PAD src0_sel:BYTE_3 src1_sel:DWORD
                                        ; implicit-def: $vgpr23
	s_and_saveexec_b64 s[20:21], vcc
	s_xor_b64 s[88:89], exec, s[20:21]
	s_cbranch_execz .LBB4_1055
; %bb.1046:                             ;   in Loop: Header=BB4_124 Depth=2
	v_mov_b32_e32 v23, 0
	v_cmp_ne_u32_e32 vcc, 0, v14
	s_and_saveexec_b64 s[90:91], vcc
	s_cbranch_execz .LBB4_1054
; %bb.1047:                             ;   in Loop: Header=BB4_124 Depth=2
	v_bfe_u32 v23, v14, 23, 8
	v_and_b32_e32 v15, 0x7fffff, v14
	v_cmp_gt_u32_e64 s[20:21], s54, v23
	v_sub_u32_e32 v14, 0x79, v23
	v_cmp_eq_u32_e32 vcc, 0, v23
	v_cndmask_b32_e64 v14, 0, v14, s[20:21]
	v_cndmask_b32_e32 v29, v14, v31, vcc
	v_or_b32_e32 v30, 0x800000, v15
	v_add_u32_e32 v14, 20, v29
	v_cndmask_b32_e32 v36, v30, v15, vcc
	v_lshlrev_b64 v[14:15], v14, -1
	v_add_u32_e32 v30, 19, v29
	v_lshlrev_b64 v[48:49], v30, 1
	v_bfi_b32 v15, v15, 0, 0
	v_bfi_b32 v14, v14, 0, v36
	v_cmp_eq_u64_e64 s[20:21], v[14:15], v[48:49]
	v_lshrrev_b64 v[14:15], v29, v[36:37]
	v_mov_b32_e32 v45, v15
	v_mov_b32_e32 v44, v14
	s_and_saveexec_b64 s[92:93], s[20:21]
; %bb.1048:                             ;   in Loop: Header=BB4_124 Depth=2
	v_bfe_u32 v15, v14, 20, 1
	v_add_co_u32_e64 v15, s[20:21], v14, v15
	v_add_co_u32_e64 v44, s[20:21], -1, v15
; %bb.1049:                             ;   in Loop: Header=BB4_124 Depth=2
	s_or_b64 exec, exec, s[92:93]
	v_add_u32_e32 v15, 0xffffff81, v23
	v_cndmask_b32_e32 v15, v15, v62, vcc
	v_lshrrev_b32_e32 v23, 23, v14
	v_add3_u32 v30, v29, v15, v23
	v_add_u32_e32 v29, 6, v30
	v_and_b32_e32 v15, 0xfffff, v44
	v_add_u32_e32 v36, v15, v14
	v_cmp_ne_u32_e32 vcc, 0, v29
                                        ; implicit-def: $vgpr14_vgpr15
                                        ; implicit-def: $vgpr23
	s_and_saveexec_b64 s[20:21], vcc
	s_xor_b64 s[20:21], exec, s[20:21]
; %bb.1050:                             ;   in Loop: Header=BB4_124 Depth=2
	v_cmp_lt_u64_e32 vcc, s[60:61], v[36:37]
	v_add_u32_e32 v14, 7, v30
	v_cndmask_b32_e32 v23, v29, v14, vcc
	v_cndmask_b32_e64 v14, 0, 1, vcc
	v_lshrrev_b64 v[14:15], v14, v[36:37]
; %bb.1051:                             ;   in Loop: Header=BB4_124 Depth=2
	s_andn2_saveexec_b64 s[20:21], s[20:21]
; %bb.1052:                             ;   in Loop: Header=BB4_124 Depth=2
	v_mov_b32_e32 v14, v36
	v_bfe_u32 v23, v36, 23, 1
	v_mov_b32_e32 v15, v37
; %bb.1053:                             ;   in Loop: Header=BB4_124 Depth=2
	s_or_b64 exec, exec, s[20:21]
	v_lshrrev_b64 v[14:15], 20, v[14:15]
	v_cmp_gt_i32_e32 vcc, 16, v23
	v_cndmask_b32_e32 v15, 0, v15, vcc
	v_cndmask_b32_e32 v14, 7, v14, vcc
	v_cmp_eq_u64_e64 s[20:21], 0, v[14:15]
	v_min_i32_e32 v15, 15, v23
	v_lshlrev_b32_e32 v15, 3, v15
	v_cmp_eq_u32_e32 vcc, 0, v23
	v_and_b32_e32 v15, 0xf8, v15
	v_and_or_b32 v14, v14, 7, v15
	s_and_b64 s[20:21], vcc, s[20:21]
	v_cndmask_b32_e64 v14, v14, 0, s[20:21]
	v_or_b32_e32 v23, v14, v28
.LBB4_1054:                             ;   in Loop: Header=BB4_124 Depth=2
	s_or_b64 exec, exec, s[90:91]
                                        ; implicit-def: $vgpr28
.LBB4_1055:                             ;   in Loop: Header=BB4_124 Depth=2
	s_andn2_saveexec_b64 s[20:21], s[88:89]
; %bb.1056:                             ;   in Loop: Header=BB4_124 Depth=2
	v_or_b32_e32 v23, 0x7e, v28
; %bb.1057:                             ;   in Loop: Header=BB4_124 Depth=2
	s_or_b64 exec, exec, s[20:21]
                                        ; implicit-def: $vgpr14
.LBB4_1058:                             ;   in Loop: Header=BB4_124 Depth=2
	s_andn2_saveexec_b64 s[20:21], s[78:79]
; %bb.1059:                             ;   in Loop: Header=BB4_124 Depth=2
	v_or_b32_sdwa v23, v14, s51 dst_sel:DWORD dst_unused:UNUSED_PAD src0_sel:BYTE_3 src1_sel:DWORD
; %bb.1060:                             ;   in Loop: Header=BB4_124 Depth=2
	s_or_b64 exec, exec, s[20:21]
	v_lshl_or_b32 v28, v2, 8, v21
	v_lshlrev_b32_e32 v2, 16, v61
	v_lshlrev_b32_e32 v14, 24, v22
	v_or3_b32 v36, v2, v14, v28
	v_cmp_ne_u32_e32 vcc, 0, v21
	v_mov_b32_e32 v2, 0
	v_mov_b32_e32 v14, 0
	s_and_saveexec_b64 s[20:21], vcc
	s_cbranch_execz .LBB4_1066
; %bb.1061:                             ;   in Loop: Header=BB4_124 Depth=2
	v_cmp_ne_u32_e32 vcc, s53, v21
	v_bfrev_b32_e32 v14, 1
	s_and_saveexec_b64 s[78:79], vcc
	s_cbranch_execz .LBB4_1065
; %bb.1062:                             ;   in Loop: Header=BB4_124 Depth=2
	v_and_b32_e32 v15, 0x7f, v21
	v_cmp_ne_u32_e32 vcc, s51, v15
	v_mov_b32_e32 v14, 0x7f800001
	s_and_saveexec_b64 s[88:89], vcc
	s_cbranch_execz .LBB4_1064
; %bb.1063:                             ;   in Loop: Header=BB4_124 Depth=2
	v_and_b32_e32 v14, 7, v21
	v_ffbh_u32_e32 v14, v14
	v_min_u32_e32 v14, 32, v14
	v_lshrrev_b32_e32 v21, 3, v15
	v_cmp_gt_u32_e32 vcc, 8, v15
	v_subrev_u32_e32 v15, 28, v14
	v_sub_u32_e32 v14, 29, v14
	v_cndmask_b32_e32 v21, v21, v14, vcc
	v_cndmask_b32_e32 v14, 0, v15, vcc
	v_lshlrev_b64 v[14:15], v14, v[36:37]
	v_lshlrev_b32_e32 v15, 24, v36
	v_lshlrev_b32_e32 v14, 20, v14
	v_and_b32_e32 v14, 0x700000, v14
	v_and_b32_e32 v15, 0x80000000, v15
	v_lshl_add_u32 v21, v21, 23, v58
	v_or3_b32 v14, v15, v21, v14
.LBB4_1064:                             ;   in Loop: Header=BB4_124 Depth=2
	s_or_b64 exec, exec, s[88:89]
.LBB4_1065:                             ;   in Loop: Header=BB4_124 Depth=2
	s_or_b64 exec, exec, s[78:79]
.LBB4_1066:                             ;   in Loop: Header=BB4_124 Depth=2
	s_or_b64 exec, exec, s[20:21]
	v_cmp_ne_u16_sdwa s[78:79], v16, v37 src0_sel:BYTE_0 src1_sel:DWORD
	s_and_saveexec_b64 s[20:21], s[78:79]
	s_cbranch_execz .LBB4_1072
; %bb.1067:                             ;   in Loop: Header=BB4_124 Depth=2
	v_cmp_ne_u16_sdwa s[88:89], v16, s53 src0_sel:BYTE_0 src1_sel:DWORD
	v_bfrev_b32_e32 v2, 1
	s_and_saveexec_b64 s[78:79], s[88:89]
	s_cbranch_execz .LBB4_1071
; %bb.1068:                             ;   in Loop: Header=BB4_124 Depth=2
	v_and_b32_e32 v15, 0x7f, v16
	v_cmp_ne_u32_e32 vcc, s51, v15
	v_mov_b32_e32 v2, 0x7f800001
	s_and_saveexec_b64 s[88:89], vcc
	s_cbranch_execz .LBB4_1070
; %bb.1069:                             ;   in Loop: Header=BB4_124 Depth=2
	v_and_b32_e32 v2, 7, v16
	v_ffbh_u32_e32 v2, v2
	v_min_u32_e32 v2, 32, v2
	v_lshrrev_b32_e32 v21, 3, v15
	v_cmp_gt_u32_e32 vcc, 8, v15
	v_subrev_u32_e32 v15, 28, v2
	v_sub_u32_e32 v2, 29, v2
	v_cndmask_b32_e32 v15, 0, v15, vcc
	v_cndmask_b32_e32 v2, v21, v2, vcc
	v_lshlrev_b64 v[21:22], v15, v[16:17]
	v_lshl_add_u32 v2, v2, 23, v58
	v_lshlrev_b32_e32 v15, 20, v21
	v_lshlrev_b32_e32 v21, 24, v16
	v_and_b32_e32 v15, 0x700000, v15
	v_and_b32_e32 v21, 0x80000000, v21
	v_or3_b32 v2, v21, v2, v15
.LBB4_1070:                             ;   in Loop: Header=BB4_124 Depth=2
	s_or_b64 exec, exec, s[88:89]
.LBB4_1071:                             ;   in Loop: Header=BB4_124 Depth=2
	s_or_b64 exec, exec, s[78:79]
.LBB4_1072:                             ;   in Loop: Header=BB4_124 Depth=2
	s_or_b64 exec, exec, s[20:21]
	v_add_f32_e32 v14, v14, v2
	v_and_b32_e32 v21, 0x7f800000, v14
	v_mov_b32_e32 v22, v37
	v_cmp_ne_u64_e32 vcc, s[56:57], v[21:22]
                                        ; implicit-def: $vgpr2
	s_and_saveexec_b64 s[20:21], vcc
	s_xor_b64 s[78:79], exec, s[20:21]
	s_cbranch_execz .LBB4_1086
; %bb.1073:                             ;   in Loop: Header=BB4_124 Depth=2
	v_and_b32_e32 v21, 0x7fffffff, v14
	v_mov_b32_e32 v22, v37
	v_cmp_gt_u64_e32 vcc, s[58:59], v[21:22]
	v_and_b32_sdwa v21, v14, s53 dst_sel:DWORD dst_unused:UNUSED_PAD src0_sel:BYTE_3 src1_sel:DWORD
                                        ; implicit-def: $vgpr2
	s_and_saveexec_b64 s[20:21], vcc
	s_xor_b64 s[88:89], exec, s[20:21]
	s_cbranch_execz .LBB4_1083
; %bb.1074:                             ;   in Loop: Header=BB4_124 Depth=2
	v_mov_b32_e32 v2, 0
	v_cmp_ne_u32_e32 vcc, 0, v14
	s_and_saveexec_b64 s[90:91], vcc
	s_cbranch_execz .LBB4_1082
; %bb.1075:                             ;   in Loop: Header=BB4_124 Depth=2
	v_bfe_u32 v2, v14, 23, 8
	v_and_b32_e32 v15, 0x7fffff, v14
	v_cmp_gt_u32_e64 s[20:21], s54, v2
	v_sub_u32_e32 v14, 0x79, v2
	v_cmp_eq_u32_e32 vcc, 0, v2
	v_cndmask_b32_e64 v14, 0, v14, s[20:21]
	v_or_b32_e32 v29, 0x800000, v15
	v_cndmask_b32_e32 v22, v14, v31, vcc
	v_cndmask_b32_e32 v14, v29, v15, vcc
	v_add_u32_e32 v29, 20, v22
	v_lshlrev_b64 v[29:30], v29, -1
	v_mov_b32_e32 v15, v37
	v_add_u32_e32 v48, 19, v22
	v_bfi_b32 v29, v29, 0, v14
	v_lshlrev_b64 v[48:49], v48, 1
	v_lshrrev_b64 v[14:15], v22, v[14:15]
	v_bfi_b32 v30, v30, 0, 0
	v_cmp_eq_u64_e64 s[20:21], v[29:30], v[48:49]
	v_mov_b32_e32 v45, v15
	v_mov_b32_e32 v44, v14
	s_and_saveexec_b64 s[92:93], s[20:21]
; %bb.1076:                             ;   in Loop: Header=BB4_124 Depth=2
	v_bfe_u32 v15, v14, 20, 1
	v_add_co_u32_e64 v15, s[20:21], v14, v15
	v_add_co_u32_e64 v44, s[20:21], -1, v15
; %bb.1077:                             ;   in Loop: Header=BB4_124 Depth=2
	s_or_b64 exec, exec, s[92:93]
	v_add_u32_e32 v2, 0xffffff81, v2
	v_cndmask_b32_e32 v2, v2, v62, vcc
	v_lshrrev_b32_e32 v15, 23, v14
	v_add3_u32 v29, v22, v2, v15
	v_add_u32_e32 v22, 6, v29
	v_and_b32_e32 v2, 0xfffff, v44
	v_add_u32_e32 v14, v2, v14
	v_mov_b32_e32 v15, v37
	v_cmp_ne_u32_e32 vcc, 0, v22
                                        ; implicit-def: $vgpr2
	s_and_saveexec_b64 s[20:21], vcc
	s_xor_b64 s[20:21], exec, s[20:21]
; %bb.1078:                             ;   in Loop: Header=BB4_124 Depth=2
	v_cmp_lt_u64_e32 vcc, s[60:61], v[14:15]
	v_add_u32_e32 v2, 7, v29
	v_cndmask_b32_e32 v2, v22, v2, vcc
	v_cndmask_b32_e64 v22, 0, 1, vcc
	v_lshrrev_b64 v[14:15], v22, v[14:15]
; %bb.1079:                             ;   in Loop: Header=BB4_124 Depth=2
	s_andn2_saveexec_b64 s[20:21], s[20:21]
; %bb.1080:                             ;   in Loop: Header=BB4_124 Depth=2
	v_bfe_u32 v2, v14, 23, 1
; %bb.1081:                             ;   in Loop: Header=BB4_124 Depth=2
	s_or_b64 exec, exec, s[20:21]
	v_lshrrev_b64 v[14:15], 20, v[14:15]
	v_cmp_gt_i32_e32 vcc, 16, v2
	v_cndmask_b32_e32 v15, 0, v15, vcc
	v_cndmask_b32_e32 v14, 7, v14, vcc
	v_cmp_eq_u32_e32 vcc, 0, v2
	v_min_i32_e32 v2, 15, v2
	v_cmp_eq_u64_e64 s[20:21], 0, v[14:15]
	v_lshlrev_b32_e32 v2, 3, v2
	v_and_b32_e32 v2, 0xf8, v2
	v_and_or_b32 v2, v14, 7, v2
	s_and_b64 s[20:21], vcc, s[20:21]
	v_cndmask_b32_e64 v2, v2, 0, s[20:21]
	v_or_b32_e32 v2, v2, v21
.LBB4_1082:                             ;   in Loop: Header=BB4_124 Depth=2
	s_or_b64 exec, exec, s[90:91]
                                        ; implicit-def: $vgpr21
.LBB4_1083:                             ;   in Loop: Header=BB4_124 Depth=2
	s_andn2_saveexec_b64 s[20:21], s[88:89]
; %bb.1084:                             ;   in Loop: Header=BB4_124 Depth=2
	v_or_b32_e32 v2, 0x7e, v21
; %bb.1085:                             ;   in Loop: Header=BB4_124 Depth=2
	s_or_b64 exec, exec, s[20:21]
                                        ; implicit-def: $vgpr14
.LBB4_1086:                             ;   in Loop: Header=BB4_124 Depth=2
	s_andn2_saveexec_b64 s[20:21], s[78:79]
; %bb.1087:                             ;   in Loop: Header=BB4_124 Depth=2
	v_or_b32_sdwa v2, v14, s51 dst_sel:DWORD dst_unused:UNUSED_PAD src0_sel:BYTE_3 src1_sel:DWORD
; %bb.1088:                             ;   in Loop: Header=BB4_124 Depth=2
	s_or_b64 exec, exec, s[20:21]
	v_lshrrev_b16_e32 v14, 8, v28
	v_cmp_ne_u16_e32 vcc, 0, v14
	v_mov_b32_e32 v15, 0
	v_mov_b32_e32 v21, 0
	s_and_saveexec_b64 s[20:21], vcc
	s_cbranch_execz .LBB4_1094
; %bb.1089:                             ;   in Loop: Header=BB4_124 Depth=2
	v_cmp_ne_u16_e32 vcc, s53, v14
	v_bfrev_b32_e32 v21, 1
	s_and_saveexec_b64 s[78:79], vcc
	s_cbranch_execz .LBB4_1093
; %bb.1090:                             ;   in Loop: Header=BB4_124 Depth=2
	v_and_b32_e32 v22, 0x7f, v14
	v_cmp_ne_u32_e32 vcc, s51, v22
	v_mov_b32_e32 v21, 0x7f800001
	s_and_saveexec_b64 s[88:89], vcc
	s_cbranch_execz .LBB4_1092
; %bb.1091:                             ;   in Loop: Header=BB4_124 Depth=2
	v_and_b32_e32 v29, 7, v14
	v_ffbh_u32_e32 v21, v29
	v_min_u32_e32 v48, 32, v21
	v_subrev_u32_e32 v21, 28, v48
	v_lshrrev_b32_e32 v30, 3, v22
	v_cmp_gt_u32_e32 vcc, 8, v22
	v_lshlrev_b64 v[21:22], v21, v[14:15]
	v_sub_u32_e32 v14, 29, v48
	v_and_b32_e32 v21, 7, v21
	v_cndmask_b32_e32 v14, v30, v14, vcc
	v_cndmask_b32_e32 v21, v29, v21, vcc
	v_lshlrev_b32_e32 v22, 16, v28
	v_lshlrev_b32_e32 v21, 20, v21
	v_and_b32_e32 v22, 0x80000000, v22
	v_lshl_add_u32 v14, v14, 23, v58
	v_or3_b32 v21, v22, v14, v21
.LBB4_1092:                             ;   in Loop: Header=BB4_124 Depth=2
	s_or_b64 exec, exec, s[88:89]
.LBB4_1093:                             ;   in Loop: Header=BB4_124 Depth=2
	s_or_b64 exec, exec, s[78:79]
.LBB4_1094:                             ;   in Loop: Header=BB4_124 Depth=2
	s_or_b64 exec, exec, s[20:21]
	v_lshrrev_b16_e32 v14, 8, v16
	v_cmp_ne_u16_e32 vcc, 0, v14
	s_and_saveexec_b64 s[20:21], vcc
	s_cbranch_execz .LBB4_1100
; %bb.1095:                             ;   in Loop: Header=BB4_124 Depth=2
	v_cmp_ne_u16_e32 vcc, s53, v14
	v_bfrev_b32_e32 v15, 1
	s_and_saveexec_b64 s[78:79], vcc
	s_cbranch_execz .LBB4_1099
; %bb.1096:                             ;   in Loop: Header=BB4_124 Depth=2
	v_and_b32_e32 v22, 0x7f, v14
	v_cmp_ne_u32_e32 vcc, s51, v22
	v_mov_b32_e32 v15, 0x7f800001
	s_and_saveexec_b64 s[88:89], vcc
	s_cbranch_execz .LBB4_1098
; %bb.1097:                             ;   in Loop: Header=BB4_124 Depth=2
	v_and_b32_e32 v28, 7, v14
	v_ffbh_u32_e32 v15, v28
	v_lshrrev_b32_e32 v29, 3, v22
	v_cmp_gt_u32_e32 vcc, 8, v22
	v_min_u32_e32 v22, 32, v15
	v_subrev_u32_e32 v15, 28, v22
	v_lshlrev_b64 v[14:15], v15, v[14:15]
	v_sub_u32_e32 v15, 29, v22
	v_and_b32_e32 v14, 7, v14
	v_cndmask_b32_e32 v15, v29, v15, vcc
	v_cndmask_b32_e32 v14, v28, v14, vcc
	v_lshlrev_b32_e32 v22, 16, v16
	v_lshlrev_b32_e32 v14, 20, v14
	v_and_b32_e32 v22, 0x80000000, v22
	v_lshl_add_u32 v15, v15, 23, v58
	v_or3_b32 v15, v22, v15, v14
.LBB4_1098:                             ;   in Loop: Header=BB4_124 Depth=2
	s_or_b64 exec, exec, s[88:89]
.LBB4_1099:                             ;   in Loop: Header=BB4_124 Depth=2
	s_or_b64 exec, exec, s[78:79]
.LBB4_1100:                             ;   in Loop: Header=BB4_124 Depth=2
	s_or_b64 exec, exec, s[20:21]
	v_add_f32_e32 v14, v21, v15
	v_and_b32_e32 v21, 0x7f800000, v14
	v_mov_b32_e32 v22, v37
	v_cmp_ne_u64_e32 vcc, s[56:57], v[21:22]
                                        ; implicit-def: $vgpr21
	s_and_saveexec_b64 s[20:21], vcc
	s_xor_b64 s[78:79], exec, s[20:21]
	s_cbranch_execz .LBB4_1114
; %bb.1101:                             ;   in Loop: Header=BB4_124 Depth=2
	v_and_b32_e32 v21, 0x7fffffff, v14
	v_mov_b32_e32 v22, v37
	v_cmp_gt_u64_e32 vcc, s[58:59], v[21:22]
	v_and_b32_sdwa v22, v14, s53 dst_sel:DWORD dst_unused:UNUSED_PAD src0_sel:BYTE_3 src1_sel:DWORD
                                        ; implicit-def: $vgpr21
	s_and_saveexec_b64 s[20:21], vcc
	s_xor_b64 s[88:89], exec, s[20:21]
	s_cbranch_execz .LBB4_1111
; %bb.1102:                             ;   in Loop: Header=BB4_124 Depth=2
	v_mov_b32_e32 v21, 0
	v_cmp_ne_u32_e32 vcc, 0, v14
	s_and_saveexec_b64 s[90:91], vcc
	s_cbranch_execz .LBB4_1110
; %bb.1103:                             ;   in Loop: Header=BB4_124 Depth=2
	v_bfe_u32 v21, v14, 23, 8
	v_and_b32_e32 v15, 0x7fffff, v14
	v_cmp_gt_u32_e64 s[20:21], s54, v21
	v_sub_u32_e32 v14, 0x79, v21
	v_cmp_eq_u32_e32 vcc, 0, v21
	v_cndmask_b32_e64 v14, 0, v14, s[20:21]
	v_or_b32_e32 v29, 0x800000, v15
	v_cndmask_b32_e32 v28, v14, v31, vcc
	v_cndmask_b32_e32 v14, v29, v15, vcc
	v_add_u32_e32 v29, 20, v28
	v_lshlrev_b64 v[29:30], v29, -1
	v_mov_b32_e32 v15, v37
	v_add_u32_e32 v48, 19, v28
	v_bfi_b32 v29, v29, 0, v14
	v_lshlrev_b64 v[48:49], v48, 1
	v_lshrrev_b64 v[14:15], v28, v[14:15]
	v_bfi_b32 v30, v30, 0, 0
	v_cmp_eq_u64_e64 s[20:21], v[29:30], v[48:49]
	v_mov_b32_e32 v45, v15
	v_mov_b32_e32 v44, v14
	s_and_saveexec_b64 s[92:93], s[20:21]
; %bb.1104:                             ;   in Loop: Header=BB4_124 Depth=2
	v_bfe_u32 v15, v14, 20, 1
	v_add_co_u32_e64 v15, s[20:21], v14, v15
	v_add_co_u32_e64 v44, s[20:21], -1, v15
; %bb.1105:                             ;   in Loop: Header=BB4_124 Depth=2
	s_or_b64 exec, exec, s[92:93]
	v_add_u32_e32 v15, 0xffffff81, v21
	v_cndmask_b32_e32 v15, v15, v62, vcc
	v_lshrrev_b32_e32 v21, 23, v14
	v_add3_u32 v29, v28, v15, v21
	v_add_u32_e32 v28, 6, v29
	v_and_b32_e32 v15, 0xfffff, v44
	v_add_u32_e32 v14, v15, v14
	v_mov_b32_e32 v15, v37
	v_cmp_ne_u32_e32 vcc, 0, v28
                                        ; implicit-def: $vgpr21
	s_and_saveexec_b64 s[20:21], vcc
	s_xor_b64 s[20:21], exec, s[20:21]
; %bb.1106:                             ;   in Loop: Header=BB4_124 Depth=2
	v_cmp_lt_u64_e32 vcc, s[60:61], v[14:15]
	v_add_u32_e32 v21, 7, v29
	v_cndmask_b32_e32 v21, v28, v21, vcc
	v_cndmask_b32_e64 v28, 0, 1, vcc
	v_lshrrev_b64 v[14:15], v28, v[14:15]
; %bb.1107:                             ;   in Loop: Header=BB4_124 Depth=2
	s_andn2_saveexec_b64 s[20:21], s[20:21]
; %bb.1108:                             ;   in Loop: Header=BB4_124 Depth=2
	v_bfe_u32 v21, v14, 23, 1
; %bb.1109:                             ;   in Loop: Header=BB4_124 Depth=2
	s_or_b64 exec, exec, s[20:21]
	v_lshrrev_b64 v[14:15], 20, v[14:15]
	v_cmp_gt_i32_e32 vcc, 16, v21
	v_cndmask_b32_e32 v15, 0, v15, vcc
	v_cndmask_b32_e32 v14, 7, v14, vcc
	v_cmp_eq_u64_e64 s[20:21], 0, v[14:15]
	v_min_i32_e32 v15, 15, v21
	v_lshlrev_b32_e32 v15, 3, v15
	v_cmp_eq_u32_e32 vcc, 0, v21
	v_and_b32_e32 v15, 0xf8, v15
	v_and_or_b32 v14, v14, 7, v15
	s_and_b64 s[20:21], vcc, s[20:21]
	v_cndmask_b32_e64 v14, v14, 0, s[20:21]
	v_or_b32_e32 v21, v14, v22
.LBB4_1110:                             ;   in Loop: Header=BB4_124 Depth=2
	s_or_b64 exec, exec, s[90:91]
                                        ; implicit-def: $vgpr22
.LBB4_1111:                             ;   in Loop: Header=BB4_124 Depth=2
	s_andn2_saveexec_b64 s[20:21], s[88:89]
; %bb.1112:                             ;   in Loop: Header=BB4_124 Depth=2
	v_or_b32_e32 v21, 0x7e, v22
; %bb.1113:                             ;   in Loop: Header=BB4_124 Depth=2
	s_or_b64 exec, exec, s[20:21]
                                        ; implicit-def: $vgpr14
.LBB4_1114:                             ;   in Loop: Header=BB4_124 Depth=2
	s_andn2_saveexec_b64 s[20:21], s[78:79]
; %bb.1115:                             ;   in Loop: Header=BB4_124 Depth=2
	v_or_b32_sdwa v21, v14, s51 dst_sel:DWORD dst_unused:UNUSED_PAD src0_sel:BYTE_3 src1_sel:DWORD
; %bb.1116:                             ;   in Loop: Header=BB4_124 Depth=2
	s_or_b64 exec, exec, s[20:21]
	v_lshrrev_b32_e32 v14, 16, v36
	v_cmp_ne_u16_sdwa s[78:79], v14, v37 src0_sel:BYTE_0 src1_sel:DWORD
	v_mov_b32_e32 v15, 0
	v_mov_b32_e32 v22, 0
	s_and_saveexec_b64 s[20:21], s[78:79]
	s_cbranch_execz .LBB4_1122
; %bb.1117:                             ;   in Loop: Header=BB4_124 Depth=2
	v_cmp_ne_u16_sdwa s[88:89], v14, s53 src0_sel:BYTE_0 src1_sel:DWORD
	v_bfrev_b32_e32 v22, 1
	s_and_saveexec_b64 s[78:79], s[88:89]
	s_cbranch_execz .LBB4_1121
; %bb.1118:                             ;   in Loop: Header=BB4_124 Depth=2
	v_bfe_u32 v28, v36, 16, 7
	v_cmp_ne_u32_e32 vcc, s51, v28
	v_mov_b32_e32 v22, 0x7f800001
	s_and_saveexec_b64 s[88:89], vcc
	s_cbranch_execz .LBB4_1120
; %bb.1119:                             ;   in Loop: Header=BB4_124 Depth=2
	v_and_b32_e32 v22, 7, v14
	v_lshrrev_b32_e32 v30, 3, v28
	v_cmp_gt_u32_e32 vcc, 8, v28
	v_ffbh_u32_e32 v28, v22
	v_min_u32_e32 v48, 32, v28
	v_subrev_u32_e32 v28, 28, v48
	v_lshlrev_b64 v[28:29], v28, v[14:15]
	v_sub_u32_e32 v29, 29, v48
	v_and_b32_e32 v28, 7, v28
	v_cndmask_b32_e32 v29, v30, v29, vcc
	v_cndmask_b32_e32 v22, v22, v28, vcc
	v_lshlrev_b32_e32 v14, 24, v14
	v_lshlrev_b32_e32 v22, 20, v22
	v_and_b32_e32 v14, 0x80000000, v14
	v_lshl_add_u32 v28, v29, 23, v58
	v_or3_b32 v22, v14, v28, v22
.LBB4_1120:                             ;   in Loop: Header=BB4_124 Depth=2
	s_or_b64 exec, exec, s[88:89]
.LBB4_1121:                             ;   in Loop: Header=BB4_124 Depth=2
	s_or_b64 exec, exec, s[78:79]
.LBB4_1122:                             ;   in Loop: Header=BB4_124 Depth=2
	s_or_b64 exec, exec, s[20:21]
	v_lshrrev_b32_e32 v14, 16, v16
	v_cmp_ne_u16_sdwa s[78:79], v14, v37 src0_sel:BYTE_0 src1_sel:DWORD
	s_and_saveexec_b64 s[20:21], s[78:79]
	s_cbranch_execz .LBB4_1128
; %bb.1123:                             ;   in Loop: Header=BB4_124 Depth=2
	v_cmp_ne_u16_sdwa s[88:89], v14, s53 src0_sel:BYTE_0 src1_sel:DWORD
	v_bfrev_b32_e32 v15, 1
	s_and_saveexec_b64 s[78:79], s[88:89]
	s_cbranch_execz .LBB4_1127
; %bb.1124:                             ;   in Loop: Header=BB4_124 Depth=2
	v_bfe_u32 v28, v16, 16, 7
	v_cmp_ne_u32_e32 vcc, s51, v28
	v_mov_b32_e32 v15, 0x7f800001
	s_and_saveexec_b64 s[88:89], vcc
	s_cbranch_execz .LBB4_1126
; %bb.1125:                             ;   in Loop: Header=BB4_124 Depth=2
	v_and_b32_e32 v29, 7, v14
	v_ffbh_u32_e32 v15, v29
	v_lshrrev_b32_e32 v30, 3, v28
	v_cmp_gt_u32_e32 vcc, 8, v28
	v_min_u32_e32 v28, 32, v15
	v_subrev_u32_e32 v15, 28, v28
	v_lshlrev_b64 v[14:15], v15, v[14:15]
	v_sub_u32_e32 v15, 29, v28
	v_and_b32_e32 v14, 7, v14
	v_cndmask_b32_e32 v15, v30, v15, vcc
	v_cndmask_b32_e32 v14, v29, v14, vcc
	v_lshlrev_b32_e32 v28, 8, v16
	v_lshlrev_b32_e32 v14, 20, v14
	v_and_b32_e32 v28, 0x80000000, v28
	v_lshl_add_u32 v15, v15, 23, v58
	v_or3_b32 v15, v28, v15, v14
.LBB4_1126:                             ;   in Loop: Header=BB4_124 Depth=2
	s_or_b64 exec, exec, s[88:89]
.LBB4_1127:                             ;   in Loop: Header=BB4_124 Depth=2
	s_or_b64 exec, exec, s[78:79]
.LBB4_1128:                             ;   in Loop: Header=BB4_124 Depth=2
	s_or_b64 exec, exec, s[20:21]
	v_add_f32_e32 v14, v22, v15
	v_and_b32_e32 v28, 0x7f800000, v14
	v_mov_b32_e32 v29, v37
	v_cmp_ne_u64_e32 vcc, s[56:57], v[28:29]
                                        ; implicit-def: $vgpr22
	s_and_saveexec_b64 s[20:21], vcc
	s_xor_b64 s[78:79], exec, s[20:21]
	s_cbranch_execz .LBB4_1142
; %bb.1129:                             ;   in Loop: Header=BB4_124 Depth=2
	v_and_b32_e32 v28, 0x7fffffff, v14
	v_mov_b32_e32 v29, v37
	v_cmp_gt_u64_e32 vcc, s[58:59], v[28:29]
	v_and_b32_sdwa v28, v14, s53 dst_sel:DWORD dst_unused:UNUSED_PAD src0_sel:BYTE_3 src1_sel:DWORD
                                        ; implicit-def: $vgpr22
	s_and_saveexec_b64 s[20:21], vcc
	s_xor_b64 s[88:89], exec, s[20:21]
	s_cbranch_execz .LBB4_1139
; %bb.1130:                             ;   in Loop: Header=BB4_124 Depth=2
	v_mov_b32_e32 v22, 0
	v_cmp_ne_u32_e32 vcc, 0, v14
	s_and_saveexec_b64 s[90:91], vcc
	s_cbranch_execz .LBB4_1138
; %bb.1131:                             ;   in Loop: Header=BB4_124 Depth=2
	v_bfe_u32 v22, v14, 23, 8
	v_and_b32_e32 v15, 0x7fffff, v14
	v_cmp_gt_u32_e64 s[20:21], s54, v22
	v_sub_u32_e32 v14, 0x79, v22
	v_cmp_eq_u32_e32 vcc, 0, v22
	v_cndmask_b32_e64 v14, 0, v14, s[20:21]
	v_or_b32_e32 v30, 0x800000, v15
	v_cndmask_b32_e32 v29, v14, v31, vcc
	v_cndmask_b32_e32 v14, v30, v15, vcc
	v_add_u32_e32 v30, 20, v29
	v_lshlrev_b64 v[48:49], v30, -1
	v_mov_b32_e32 v15, v37
	v_add_u32_e32 v30, 19, v29
	v_bfi_b32 v48, v48, 0, v14
	v_lshlrev_b64 v[44:45], v30, 1
	v_lshrrev_b64 v[14:15], v29, v[14:15]
	v_bfi_b32 v49, v49, 0, 0
	v_cmp_eq_u64_e64 s[20:21], v[48:49], v[44:45]
	v_mov_b32_e32 v45, v15
	v_mov_b32_e32 v44, v14
	s_and_saveexec_b64 s[92:93], s[20:21]
; %bb.1132:                             ;   in Loop: Header=BB4_124 Depth=2
	v_bfe_u32 v15, v14, 20, 1
	v_add_co_u32_e64 v15, s[20:21], v14, v15
	v_add_co_u32_e64 v44, s[20:21], -1, v15
; %bb.1133:                             ;   in Loop: Header=BB4_124 Depth=2
	s_or_b64 exec, exec, s[92:93]
	v_add_u32_e32 v15, 0xffffff81, v22
	v_cndmask_b32_e32 v15, v15, v62, vcc
	v_lshrrev_b32_e32 v22, 23, v14
	v_add3_u32 v30, v29, v15, v22
	v_add_u32_e32 v29, 6, v30
	v_and_b32_e32 v15, 0xfffff, v44
	v_add_u32_e32 v14, v15, v14
	v_mov_b32_e32 v15, v37
	v_cmp_ne_u32_e32 vcc, 0, v29
                                        ; implicit-def: $vgpr22
	s_and_saveexec_b64 s[20:21], vcc
	s_xor_b64 s[20:21], exec, s[20:21]
; %bb.1134:                             ;   in Loop: Header=BB4_124 Depth=2
	v_cmp_lt_u64_e32 vcc, s[60:61], v[14:15]
	v_add_u32_e32 v22, 7, v30
	v_cndmask_b32_e32 v22, v29, v22, vcc
	v_cndmask_b32_e64 v29, 0, 1, vcc
	v_lshrrev_b64 v[14:15], v29, v[14:15]
; %bb.1135:                             ;   in Loop: Header=BB4_124 Depth=2
	s_andn2_saveexec_b64 s[20:21], s[20:21]
; %bb.1136:                             ;   in Loop: Header=BB4_124 Depth=2
	v_bfe_u32 v22, v14, 23, 1
; %bb.1137:                             ;   in Loop: Header=BB4_124 Depth=2
	s_or_b64 exec, exec, s[20:21]
	v_lshrrev_b64 v[14:15], 20, v[14:15]
	v_cmp_gt_i32_e32 vcc, 16, v22
	v_cndmask_b32_e32 v15, 0, v15, vcc
	v_cndmask_b32_e32 v14, 7, v14, vcc
	v_cmp_eq_u64_e64 s[20:21], 0, v[14:15]
	v_min_i32_e32 v15, 15, v22
	v_lshlrev_b32_e32 v15, 3, v15
	v_cmp_eq_u32_e32 vcc, 0, v22
	v_and_b32_e32 v15, 0xf8, v15
	v_and_or_b32 v14, v14, 7, v15
	s_and_b64 s[20:21], vcc, s[20:21]
	v_cndmask_b32_e64 v14, v14, 0, s[20:21]
	v_or_b32_e32 v22, v14, v28
.LBB4_1138:                             ;   in Loop: Header=BB4_124 Depth=2
	s_or_b64 exec, exec, s[90:91]
                                        ; implicit-def: $vgpr28
.LBB4_1139:                             ;   in Loop: Header=BB4_124 Depth=2
	s_andn2_saveexec_b64 s[20:21], s[88:89]
; %bb.1140:                             ;   in Loop: Header=BB4_124 Depth=2
	v_or_b32_e32 v22, 0x7e, v28
; %bb.1141:                             ;   in Loop: Header=BB4_124 Depth=2
	s_or_b64 exec, exec, s[20:21]
                                        ; implicit-def: $vgpr14
.LBB4_1142:                             ;   in Loop: Header=BB4_124 Depth=2
	s_andn2_saveexec_b64 s[20:21], s[78:79]
; %bb.1143:                             ;   in Loop: Header=BB4_124 Depth=2
	v_or_b32_sdwa v22, v14, s51 dst_sel:DWORD dst_unused:UNUSED_PAD src0_sel:BYTE_3 src1_sel:DWORD
; %bb.1144:                             ;   in Loop: Header=BB4_124 Depth=2
	s_or_b64 exec, exec, s[20:21]
	v_cmp_lt_u32_e32 vcc, s63, v36
	v_mov_b32_e32 v15, 0
	v_mov_b32_e32 v28, 0
	s_and_saveexec_b64 s[20:21], vcc
	s_cbranch_execz .LBB4_1150
; %bb.1145:                             ;   in Loop: Header=BB4_124 Depth=2
	v_lshrrev_b32_e32 v14, 24, v36
	v_cmp_ne_u32_sdwa s[88:89], v36, s53 src0_sel:BYTE_3 src1_sel:DWORD
	v_bfrev_b32_e32 v28, 1
	s_and_saveexec_b64 s[78:79], s[88:89]
	s_cbranch_execz .LBB4_1149
; %bb.1146:                             ;   in Loop: Header=BB4_124 Depth=2
	v_bfe_u32 v29, v36, 24, 7
	v_cmp_ne_u32_e32 vcc, s51, v29
	v_mov_b32_e32 v28, 0x7f800001
	s_and_saveexec_b64 s[88:89], vcc
	s_cbranch_execz .LBB4_1148
; %bb.1147:                             ;   in Loop: Header=BB4_124 Depth=2
	v_and_b32_e32 v30, 7, v14
	v_ffbh_u32_e32 v28, v30
	v_min_u32_e32 v49, 32, v28
	v_subrev_u32_e32 v28, 28, v49
	v_lshrrev_b32_e32 v48, 3, v29
	v_cmp_gt_u32_e32 vcc, 8, v29
	v_lshlrev_b64 v[28:29], v28, v[14:15]
	v_sub_u32_e32 v14, 29, v49
	v_and_b32_e32 v28, 7, v28
	v_mov_b32_e32 v29, 24
	v_cndmask_b32_e32 v14, v48, v14, vcc
	v_cndmask_b32_e32 v28, v30, v28, vcc
	v_lshlrev_b32_sdwa v29, v29, v36 dst_sel:DWORD dst_unused:UNUSED_PAD src0_sel:DWORD src1_sel:BYTE_3
	v_lshlrev_b32_e32 v28, 20, v28
	v_and_b32_e32 v29, 0x80000000, v29
	v_lshl_add_u32 v14, v14, 23, v58
	v_or3_b32 v28, v29, v14, v28
.LBB4_1148:                             ;   in Loop: Header=BB4_124 Depth=2
	s_or_b64 exec, exec, s[88:89]
.LBB4_1149:                             ;   in Loop: Header=BB4_124 Depth=2
	s_or_b64 exec, exec, s[78:79]
.LBB4_1150:                             ;   in Loop: Header=BB4_124 Depth=2
	s_or_b64 exec, exec, s[20:21]
	v_cmp_lt_u32_e32 vcc, s63, v16
	s_and_saveexec_b64 s[20:21], vcc
	s_cbranch_execz .LBB4_1156
; %bb.1151:                             ;   in Loop: Header=BB4_124 Depth=2
	v_lshrrev_b32_e32 v14, 24, v16
	v_cmp_ne_u32_e32 vcc, s53, v14
	v_bfrev_b32_e32 v15, 1
	s_and_saveexec_b64 s[78:79], vcc
	s_cbranch_execz .LBB4_1155
; %bb.1152:                             ;   in Loop: Header=BB4_124 Depth=2
	v_bfe_u32 v29, v16, 24, 7
	v_cmp_ne_u32_e32 vcc, s51, v29
	v_mov_b32_e32 v15, 0x7f800001
	s_and_saveexec_b64 s[88:89], vcc
	s_cbranch_execz .LBB4_1154
; %bb.1153:                             ;   in Loop: Header=BB4_124 Depth=2
	v_and_b32_e32 v15, 7, v14
	v_lshrrev_b32_e32 v36, 3, v29
	v_cmp_gt_u32_e32 vcc, 8, v29
	v_ffbh_u32_e32 v29, v15
	v_min_u32_e32 v48, 32, v29
	v_subrev_u32_e32 v29, 28, v48
	v_lshlrev_b64 v[29:30], v29, v[14:15]
	v_sub_u32_e32 v30, 29, v48
	v_and_b32_e32 v29, 7, v29
	v_cndmask_b32_e32 v30, v36, v30, vcc
	v_cndmask_b32_e32 v15, v15, v29, vcc
	v_lshlrev_b32_e32 v14, 24, v14
	v_lshlrev_b32_e32 v15, 20, v15
	v_and_b32_e32 v14, 0x80000000, v14
	v_lshl_add_u32 v29, v30, 23, v58
	v_or3_b32 v15, v14, v29, v15
.LBB4_1154:                             ;   in Loop: Header=BB4_124 Depth=2
	s_or_b64 exec, exec, s[88:89]
.LBB4_1155:                             ;   in Loop: Header=BB4_124 Depth=2
	s_or_b64 exec, exec, s[78:79]
.LBB4_1156:                             ;   in Loop: Header=BB4_124 Depth=2
	s_or_b64 exec, exec, s[20:21]
	v_add_f32_e32 v14, v28, v15
	v_and_b32_e32 v36, 0x7f800000, v14
	v_cmp_ne_u64_e32 vcc, s[56:57], v[36:37]
                                        ; implicit-def: $vgpr30
	s_and_saveexec_b64 s[20:21], vcc
	s_xor_b64 s[78:79], exec, s[20:21]
	s_cbranch_execz .LBB4_1170
; %bb.1157:                             ;   in Loop: Header=BB4_124 Depth=2
	v_and_b32_e32 v36, 0x7fffffff, v14
	v_cmp_gt_u64_e32 vcc, s[58:59], v[36:37]
	v_and_b32_sdwa v28, v14, s53 dst_sel:DWORD dst_unused:UNUSED_PAD src0_sel:BYTE_3 src1_sel:DWORD
                                        ; implicit-def: $vgpr30
	s_and_saveexec_b64 s[20:21], vcc
	s_xor_b64 s[88:89], exec, s[20:21]
	s_cbranch_execz .LBB4_1167
; %bb.1158:                             ;   in Loop: Header=BB4_124 Depth=2
	v_mov_b32_e32 v30, 0
	v_cmp_ne_u32_e32 vcc, 0, v14
	s_and_saveexec_b64 s[90:91], vcc
	s_cbranch_execz .LBB4_1166
; %bb.1159:                             ;   in Loop: Header=BB4_124 Depth=2
	v_bfe_u32 v29, v14, 23, 8
	v_and_b32_e32 v15, 0x7fffff, v14
	v_cmp_gt_u32_e64 s[20:21], s54, v29
	v_sub_u32_e32 v14, 0x79, v29
	v_cmp_eq_u32_e32 vcc, 0, v29
	v_cndmask_b32_e64 v14, 0, v14, s[20:21]
	v_cndmask_b32_e32 v30, v14, v31, vcc
	v_or_b32_e32 v36, 0x800000, v15
	v_add_u32_e32 v14, 20, v30
	v_cndmask_b32_e32 v36, v36, v15, vcc
	v_lshlrev_b64 v[14:15], v14, -1
	v_add_u32_e32 v48, 19, v30
	v_lshlrev_b64 v[48:49], v48, 1
	v_bfi_b32 v15, v15, 0, 0
	v_bfi_b32 v14, v14, 0, v36
	v_cmp_eq_u64_e64 s[20:21], v[14:15], v[48:49]
	v_lshrrev_b64 v[14:15], v30, v[36:37]
	v_mov_b32_e32 v45, v15
	v_mov_b32_e32 v44, v14
	s_and_saveexec_b64 s[92:93], s[20:21]
; %bb.1160:                             ;   in Loop: Header=BB4_124 Depth=2
	v_bfe_u32 v15, v14, 20, 1
	v_add_co_u32_e64 v15, s[20:21], v14, v15
	v_add_co_u32_e64 v44, s[20:21], -1, v15
; %bb.1161:                             ;   in Loop: Header=BB4_124 Depth=2
	s_or_b64 exec, exec, s[92:93]
	v_add_u32_e32 v15, 0xffffff81, v29
	v_cndmask_b32_e32 v15, v15, v62, vcc
	v_lshrrev_b32_e32 v29, 23, v14
	v_add3_u32 v45, v30, v15, v29
	v_add_u32_e32 v30, 6, v45
	v_and_b32_e32 v15, 0xfffff, v44
	v_add_u32_e32 v36, v15, v14
	v_cmp_ne_u32_e32 vcc, 0, v30
                                        ; implicit-def: $vgpr14_vgpr15
                                        ; implicit-def: $vgpr29
	s_and_saveexec_b64 s[20:21], vcc
	s_xor_b64 s[20:21], exec, s[20:21]
; %bb.1162:                             ;   in Loop: Header=BB4_124 Depth=2
	v_cmp_lt_u64_e32 vcc, s[60:61], v[36:37]
	v_add_u32_e32 v14, 7, v45
	v_cndmask_b32_e32 v29, v30, v14, vcc
	v_cndmask_b32_e64 v14, 0, 1, vcc
	v_lshrrev_b64 v[14:15], v14, v[36:37]
; %bb.1163:                             ;   in Loop: Header=BB4_124 Depth=2
	s_andn2_saveexec_b64 s[20:21], s[20:21]
; %bb.1164:                             ;   in Loop: Header=BB4_124 Depth=2
	v_mov_b32_e32 v14, v36
	v_bfe_u32 v29, v36, 23, 1
	v_mov_b32_e32 v15, v37
; %bb.1165:                             ;   in Loop: Header=BB4_124 Depth=2
	s_or_b64 exec, exec, s[20:21]
	v_lshrrev_b64 v[14:15], 20, v[14:15]
	v_cmp_gt_i32_e32 vcc, 16, v29
	v_cndmask_b32_e32 v15, 0, v15, vcc
	v_cndmask_b32_e32 v14, 7, v14, vcc
	v_cmp_eq_u64_e64 s[20:21], 0, v[14:15]
	v_min_i32_e32 v15, 15, v29
	v_lshlrev_b32_e32 v15, 3, v15
	v_cmp_eq_u32_e32 vcc, 0, v29
	v_and_b32_e32 v15, 0xf8, v15
	v_and_or_b32 v14, v14, 7, v15
	s_and_b64 s[20:21], vcc, s[20:21]
	v_cndmask_b32_e64 v14, v14, 0, s[20:21]
	v_or_b32_e32 v30, v14, v28
.LBB4_1166:                             ;   in Loop: Header=BB4_124 Depth=2
	s_or_b64 exec, exec, s[90:91]
                                        ; implicit-def: $vgpr28
.LBB4_1167:                             ;   in Loop: Header=BB4_124 Depth=2
	s_andn2_saveexec_b64 s[20:21], s[88:89]
; %bb.1168:                             ;   in Loop: Header=BB4_124 Depth=2
	v_or_b32_e32 v30, 0x7e, v28
; %bb.1169:                             ;   in Loop: Header=BB4_124 Depth=2
	s_or_b64 exec, exec, s[20:21]
                                        ; implicit-def: $vgpr14
.LBB4_1170:                             ;   in Loop: Header=BB4_124 Depth=2
	s_andn2_saveexec_b64 s[20:21], s[78:79]
; %bb.1171:                             ;   in Loop: Header=BB4_124 Depth=2
	v_or_b32_sdwa v30, v14, s51 dst_sel:DWORD dst_unused:UNUSED_PAD src0_sel:BYTE_3 src1_sel:DWORD
; %bb.1172:                             ;   in Loop: Header=BB4_124 Depth=2
	s_or_b64 exec, exec, s[20:21]
	v_lshlrev_b32_e32 v14, 24, v59
	v_lshlrev_b32_e32 v15, 16, v52
	v_lshl_or_b32 v28, v20, 8, v32
	v_or3_b32 v36, v15, v14, v28
	v_cmp_ne_u32_e32 vcc, 0, v32
	v_mov_b32_e32 v15, 0
	v_mov_b32_e32 v14, 0
	s_and_saveexec_b64 s[20:21], vcc
	s_cbranch_execz .LBB4_1178
; %bb.1173:                             ;   in Loop: Header=BB4_124 Depth=2
	v_cmp_ne_u32_e32 vcc, s53, v32
	v_bfrev_b32_e32 v14, 1
	s_and_saveexec_b64 s[78:79], vcc
	s_cbranch_execz .LBB4_1177
; %bb.1174:                             ;   in Loop: Header=BB4_124 Depth=2
	v_and_b32_e32 v20, 0x7f, v32
	v_cmp_ne_u32_e32 vcc, s51, v20
	v_mov_b32_e32 v14, 0x7f800001
	s_and_saveexec_b64 s[88:89], vcc
	s_cbranch_execz .LBB4_1176
; %bb.1175:                             ;   in Loop: Header=BB4_124 Depth=2
	v_and_b32_e32 v14, 7, v32
	v_ffbh_u32_e32 v14, v14
	v_min_u32_e32 v14, 32, v14
	v_lshrrev_b32_e32 v29, 3, v20
	v_cmp_gt_u32_e32 vcc, 8, v20
	v_subrev_u32_e32 v20, 28, v14
	v_cndmask_b32_e32 v20, 0, v20, vcc
	v_lshlrev_b64 v[48:49], v20, v[36:37]
	v_sub_u32_e32 v14, 29, v14
	v_cndmask_b32_e32 v14, v29, v14, vcc
	v_lshlrev_b32_e32 v20, 20, v48
	v_lshlrev_b32_e32 v29, 24, v36
	v_and_b32_e32 v20, 0x700000, v20
	v_and_b32_e32 v29, 0x80000000, v29
	v_lshl_add_u32 v14, v14, 23, v58
	v_or3_b32 v14, v29, v14, v20
.LBB4_1176:                             ;   in Loop: Header=BB4_124 Depth=2
	s_or_b64 exec, exec, s[88:89]
.LBB4_1177:                             ;   in Loop: Header=BB4_124 Depth=2
	s_or_b64 exec, exec, s[78:79]
.LBB4_1178:                             ;   in Loop: Header=BB4_124 Depth=2
	s_or_b64 exec, exec, s[20:21]
	v_cmp_ne_u16_sdwa s[78:79], v17, v37 src0_sel:BYTE_0 src1_sel:DWORD
	s_and_saveexec_b64 s[20:21], s[78:79]
	s_cbranch_execz .LBB4_1184
; %bb.1179:                             ;   in Loop: Header=BB4_124 Depth=2
	v_cmp_ne_u16_sdwa s[88:89], v17, s53 src0_sel:BYTE_0 src1_sel:DWORD
	v_bfrev_b32_e32 v15, 1
	s_and_saveexec_b64 s[78:79], s[88:89]
	s_cbranch_execz .LBB4_1183
; %bb.1180:                             ;   in Loop: Header=BB4_124 Depth=2
	v_and_b32_e32 v20, 0x7f, v17
	v_cmp_ne_u32_e32 vcc, s51, v20
	v_mov_b32_e32 v15, 0x7f800001
	s_and_saveexec_b64 s[88:89], vcc
	s_cbranch_execz .LBB4_1182
; %bb.1181:                             ;   in Loop: Header=BB4_124 Depth=2
	v_and_b32_e32 v15, 7, v17
	v_ffbh_u32_e32 v15, v15
	v_min_u32_e32 v15, 32, v15
	v_lshrrev_b32_e32 v29, 3, v20
	v_cmp_gt_u32_e32 vcc, 8, v20
	v_subrev_u32_e32 v20, 28, v15
	v_mov_b32_e32 v48, v17
	v_mov_b32_e32 v49, v37
	v_cndmask_b32_e32 v20, 0, v20, vcc
	v_lshlrev_b64 v[44:45], v20, v[48:49]
	v_sub_u32_e32 v15, 29, v15
	v_cndmask_b32_e32 v15, v29, v15, vcc
	v_lshlrev_b32_e32 v20, 20, v44
	v_lshlrev_b32_e32 v29, 24, v48
	v_and_b32_e32 v20, 0x700000, v20
	v_and_b32_e32 v29, 0x80000000, v29
	v_lshl_add_u32 v15, v15, 23, v58
	v_or3_b32 v15, v29, v15, v20
.LBB4_1182:                             ;   in Loop: Header=BB4_124 Depth=2
	s_or_b64 exec, exec, s[88:89]
.LBB4_1183:                             ;   in Loop: Header=BB4_124 Depth=2
	s_or_b64 exec, exec, s[78:79]
.LBB4_1184:                             ;   in Loop: Header=BB4_124 Depth=2
	s_or_b64 exec, exec, s[20:21]
	v_add_f32_e32 v14, v14, v15
	v_and_b32_e32 v48, 0x7f800000, v14
	v_mov_b32_e32 v49, v37
	v_cmp_ne_u64_e32 vcc, s[56:57], v[48:49]
                                        ; implicit-def: $vgpr20
	s_and_saveexec_b64 s[20:21], vcc
	s_xor_b64 s[78:79], exec, s[20:21]
	s_cbranch_execz .LBB4_1198
; %bb.1185:                             ;   in Loop: Header=BB4_124 Depth=2
	v_and_b32_e32 v48, 0x7fffffff, v14
	v_mov_b32_e32 v49, v37
	v_cmp_gt_u64_e32 vcc, s[58:59], v[48:49]
	v_and_b32_sdwa v29, v14, s53 dst_sel:DWORD dst_unused:UNUSED_PAD src0_sel:BYTE_3 src1_sel:DWORD
                                        ; implicit-def: $vgpr20
	s_and_saveexec_b64 s[20:21], vcc
	s_xor_b64 s[88:89], exec, s[20:21]
	s_cbranch_execz .LBB4_1195
; %bb.1186:                             ;   in Loop: Header=BB4_124 Depth=2
	v_mov_b32_e32 v20, 0
	v_cmp_ne_u32_e32 vcc, 0, v14
	s_and_saveexec_b64 s[90:91], vcc
	s_cbranch_execz .LBB4_1194
; %bb.1187:                             ;   in Loop: Header=BB4_124 Depth=2
	v_bfe_u32 v20, v14, 23, 8
	v_and_b32_e32 v15, 0x7fffff, v14
	v_cmp_gt_u32_e64 s[20:21], s54, v20
	v_sub_u32_e32 v14, 0x79, v20
	v_cmp_eq_u32_e32 vcc, 0, v20
	v_cndmask_b32_e64 v14, 0, v14, s[20:21]
	v_or_b32_e32 v48, 0x800000, v15
	v_cndmask_b32_e32 v32, v14, v31, vcc
	v_cndmask_b32_e32 v14, v48, v15, vcc
	v_add_u32_e32 v48, 20, v32
	v_lshlrev_b64 v[48:49], v48, -1
	v_mov_b32_e32 v15, v37
	v_add_u32_e32 v52, 19, v32
	v_bfi_b32 v48, v48, 0, v14
	v_lshlrev_b64 v[44:45], v52, 1
	v_lshrrev_b64 v[14:15], v32, v[14:15]
	v_bfi_b32 v49, v49, 0, 0
	v_cmp_eq_u64_e64 s[20:21], v[48:49], v[44:45]
	v_mov_b32_e32 v45, v15
	v_mov_b32_e32 v44, v14
	s_and_saveexec_b64 s[92:93], s[20:21]
; %bb.1188:                             ;   in Loop: Header=BB4_124 Depth=2
	v_bfe_u32 v15, v14, 20, 1
	v_add_co_u32_e64 v15, s[20:21], v14, v15
	v_add_co_u32_e64 v44, s[20:21], -1, v15
; %bb.1189:                             ;   in Loop: Header=BB4_124 Depth=2
	s_or_b64 exec, exec, s[92:93]
	v_add_u32_e32 v15, 0xffffff81, v20
	v_cndmask_b32_e32 v15, v15, v62, vcc
	v_lshrrev_b32_e32 v20, 23, v14
	v_add3_u32 v52, v32, v15, v20
	v_add_u32_e32 v32, 6, v52
	v_and_b32_e32 v15, 0xfffff, v44
	v_add_u32_e32 v14, v15, v14
	v_mov_b32_e32 v15, v37
	v_cmp_ne_u32_e32 vcc, 0, v32
                                        ; implicit-def: $vgpr20
	s_and_saveexec_b64 s[20:21], vcc
	s_xor_b64 s[20:21], exec, s[20:21]
; %bb.1190:                             ;   in Loop: Header=BB4_124 Depth=2
	v_cmp_lt_u64_e32 vcc, s[60:61], v[14:15]
	v_add_u32_e32 v20, 7, v52
	v_cndmask_b32_e32 v20, v32, v20, vcc
	v_cndmask_b32_e64 v32, 0, 1, vcc
	v_lshrrev_b64 v[14:15], v32, v[14:15]
; %bb.1191:                             ;   in Loop: Header=BB4_124 Depth=2
	s_andn2_saveexec_b64 s[20:21], s[20:21]
; %bb.1192:                             ;   in Loop: Header=BB4_124 Depth=2
	v_bfe_u32 v20, v14, 23, 1
; %bb.1193:                             ;   in Loop: Header=BB4_124 Depth=2
	s_or_b64 exec, exec, s[20:21]
	v_lshrrev_b64 v[14:15], 20, v[14:15]
	v_cmp_gt_i32_e32 vcc, 16, v20
	v_cndmask_b32_e32 v15, 0, v15, vcc
	v_cndmask_b32_e32 v14, 7, v14, vcc
	v_cmp_eq_u64_e64 s[20:21], 0, v[14:15]
	v_min_i32_e32 v15, 15, v20
	v_lshlrev_b32_e32 v15, 3, v15
	v_cmp_eq_u32_e32 vcc, 0, v20
	v_and_b32_e32 v15, 0xf8, v15
	v_and_or_b32 v14, v14, 7, v15
	s_and_b64 s[20:21], vcc, s[20:21]
	v_cndmask_b32_e64 v14, v14, 0, s[20:21]
	v_or_b32_e32 v20, v14, v29
.LBB4_1194:                             ;   in Loop: Header=BB4_124 Depth=2
	s_or_b64 exec, exec, s[90:91]
                                        ; implicit-def: $vgpr29
.LBB4_1195:                             ;   in Loop: Header=BB4_124 Depth=2
	s_andn2_saveexec_b64 s[20:21], s[88:89]
; %bb.1196:                             ;   in Loop: Header=BB4_124 Depth=2
	v_or_b32_e32 v20, 0x7e, v29
; %bb.1197:                             ;   in Loop: Header=BB4_124 Depth=2
	s_or_b64 exec, exec, s[20:21]
                                        ; implicit-def: $vgpr14
.LBB4_1198:                             ;   in Loop: Header=BB4_124 Depth=2
	s_andn2_saveexec_b64 s[20:21], s[78:79]
; %bb.1199:                             ;   in Loop: Header=BB4_124 Depth=2
	v_or_b32_sdwa v20, v14, s51 dst_sel:DWORD dst_unused:UNUSED_PAD src0_sel:BYTE_3 src1_sel:DWORD
; %bb.1200:                             ;   in Loop: Header=BB4_124 Depth=2
	s_or_b64 exec, exec, s[20:21]
	v_lshrrev_b16_e32 v14, 8, v28
	v_cmp_ne_u16_e32 vcc, 0, v14
	v_mov_b32_e32 v15, 0
	v_mov_b32_e32 v29, 0
	s_and_saveexec_b64 s[20:21], vcc
	s_cbranch_execz .LBB4_1206
; %bb.1201:                             ;   in Loop: Header=BB4_124 Depth=2
	v_cmp_ne_u16_e32 vcc, s53, v14
	v_bfrev_b32_e32 v29, 1
	s_and_saveexec_b64 s[78:79], vcc
	s_cbranch_execz .LBB4_1205
; %bb.1202:                             ;   in Loop: Header=BB4_124 Depth=2
	v_and_b32_e32 v32, 0x7f, v14
	v_cmp_ne_u32_e32 vcc, s51, v32
	v_mov_b32_e32 v29, 0x7f800001
	s_and_saveexec_b64 s[88:89], vcc
	s_cbranch_execz .LBB4_1204
; %bb.1203:                             ;   in Loop: Header=BB4_124 Depth=2
	v_and_b32_e32 v29, 7, v14
	v_lshrrev_b32_e32 v52, 3, v32
	v_cmp_gt_u32_e32 vcc, 8, v32
	v_ffbh_u32_e32 v32, v29
	v_min_u32_e32 v32, 32, v32
	v_subrev_u32_e32 v48, 28, v32
	v_lshlrev_b64 v[48:49], v48, v[14:15]
	v_sub_u32_e32 v14, 29, v32
	v_and_b32_e32 v32, 7, v48
	v_cndmask_b32_e32 v14, v52, v14, vcc
	v_cndmask_b32_e32 v29, v29, v32, vcc
	v_lshlrev_b32_e32 v28, 16, v28
	v_lshlrev_b32_e32 v29, 20, v29
	v_and_b32_e32 v28, 0x80000000, v28
	v_lshl_add_u32 v14, v14, 23, v58
	v_or3_b32 v29, v28, v14, v29
.LBB4_1204:                             ;   in Loop: Header=BB4_124 Depth=2
	s_or_b64 exec, exec, s[88:89]
.LBB4_1205:                             ;   in Loop: Header=BB4_124 Depth=2
	s_or_b64 exec, exec, s[78:79]
.LBB4_1206:                             ;   in Loop: Header=BB4_124 Depth=2
	s_or_b64 exec, exec, s[20:21]
	v_lshrrev_b16_e32 v14, 8, v17
	v_cmp_ne_u16_e32 vcc, 0, v14
	s_and_saveexec_b64 s[20:21], vcc
	s_cbranch_execz .LBB4_1212
; %bb.1207:                             ;   in Loop: Header=BB4_124 Depth=2
	v_cmp_ne_u16_e32 vcc, s53, v14
	v_bfrev_b32_e32 v15, 1
	s_and_saveexec_b64 s[78:79], vcc
	s_cbranch_execz .LBB4_1211
; %bb.1208:                             ;   in Loop: Header=BB4_124 Depth=2
	v_and_b32_e32 v28, 0x7f, v14
	v_cmp_ne_u32_e32 vcc, s51, v28
	v_mov_b32_e32 v15, 0x7f800001
	s_and_saveexec_b64 s[88:89], vcc
	s_cbranch_execz .LBB4_1210
; %bb.1209:                             ;   in Loop: Header=BB4_124 Depth=2
	v_and_b32_e32 v32, 7, v14
	v_ffbh_u32_e32 v15, v32
	v_lshrrev_b32_e32 v48, 3, v28
	v_cmp_gt_u32_e32 vcc, 8, v28
	v_min_u32_e32 v28, 32, v15
	v_subrev_u32_e32 v15, 28, v28
	v_lshlrev_b64 v[14:15], v15, v[14:15]
	v_sub_u32_e32 v15, 29, v28
	v_and_b32_e32 v14, 7, v14
	v_cndmask_b32_e32 v15, v48, v15, vcc
	v_cndmask_b32_e32 v14, v32, v14, vcc
	v_lshlrev_b32_e32 v28, 16, v17
	v_lshlrev_b32_e32 v14, 20, v14
	v_and_b32_e32 v28, 0x80000000, v28
	v_lshl_add_u32 v15, v15, 23, v58
	v_or3_b32 v15, v28, v15, v14
.LBB4_1210:                             ;   in Loop: Header=BB4_124 Depth=2
	s_or_b64 exec, exec, s[88:89]
.LBB4_1211:                             ;   in Loop: Header=BB4_124 Depth=2
	s_or_b64 exec, exec, s[78:79]
.LBB4_1212:                             ;   in Loop: Header=BB4_124 Depth=2
	s_or_b64 exec, exec, s[20:21]
	v_add_f32_e32 v14, v29, v15
	v_and_b32_e32 v28, 0x7f800000, v14
	v_mov_b32_e32 v29, v37
	v_cmp_ne_u64_e32 vcc, s[56:57], v[28:29]
                                        ; implicit-def: $vgpr32
	s_and_saveexec_b64 s[20:21], vcc
	s_xor_b64 s[78:79], exec, s[20:21]
	s_cbranch_execz .LBB4_1226
; %bb.1213:                             ;   in Loop: Header=BB4_124 Depth=2
	v_and_b32_e32 v28, 0x7fffffff, v14
	v_mov_b32_e32 v29, v37
	v_cmp_gt_u64_e32 vcc, s[58:59], v[28:29]
	v_and_b32_sdwa v28, v14, s53 dst_sel:DWORD dst_unused:UNUSED_PAD src0_sel:BYTE_3 src1_sel:DWORD
                                        ; implicit-def: $vgpr32
	s_and_saveexec_b64 s[20:21], vcc
	s_xor_b64 s[88:89], exec, s[20:21]
	s_cbranch_execz .LBB4_1223
; %bb.1214:                             ;   in Loop: Header=BB4_124 Depth=2
	v_mov_b32_e32 v32, 0
	v_cmp_ne_u32_e32 vcc, 0, v14
	s_and_saveexec_b64 s[90:91], vcc
	s_cbranch_execz .LBB4_1222
; %bb.1215:                             ;   in Loop: Header=BB4_124 Depth=2
	v_bfe_u32 v29, v14, 23, 8
	v_and_b32_e32 v15, 0x7fffff, v14
	v_cmp_gt_u32_e64 s[20:21], s54, v29
	v_sub_u32_e32 v14, 0x79, v29
	v_cmp_eq_u32_e32 vcc, 0, v29
	v_cndmask_b32_e64 v14, 0, v14, s[20:21]
	v_or_b32_e32 v48, 0x800000, v15
	v_cndmask_b32_e32 v32, v14, v31, vcc
	v_cndmask_b32_e32 v14, v48, v15, vcc
	v_add_u32_e32 v48, 20, v32
	v_lshlrev_b64 v[48:49], v48, -1
	v_mov_b32_e32 v15, v37
	v_add_u32_e32 v52, 19, v32
	v_bfi_b32 v48, v48, 0, v14
	v_lshlrev_b64 v[44:45], v52, 1
	v_lshrrev_b64 v[14:15], v32, v[14:15]
	v_bfi_b32 v49, v49, 0, 0
	v_cmp_eq_u64_e64 s[20:21], v[48:49], v[44:45]
	v_mov_b32_e32 v45, v15
	v_mov_b32_e32 v44, v14
	s_and_saveexec_b64 s[92:93], s[20:21]
; %bb.1216:                             ;   in Loop: Header=BB4_124 Depth=2
	v_bfe_u32 v15, v14, 20, 1
	v_add_co_u32_e64 v15, s[20:21], v14, v15
	v_add_co_u32_e64 v44, s[20:21], -1, v15
; %bb.1217:                             ;   in Loop: Header=BB4_124 Depth=2
	s_or_b64 exec, exec, s[92:93]
	v_add_u32_e32 v15, 0xffffff81, v29
	v_cndmask_b32_e32 v15, v15, v62, vcc
	v_lshrrev_b32_e32 v29, 23, v14
	v_add3_u32 v52, v32, v15, v29
	v_add_u32_e32 v32, 6, v52
	v_and_b32_e32 v15, 0xfffff, v44
	v_add_u32_e32 v14, v15, v14
	v_mov_b32_e32 v15, v37
	v_cmp_ne_u32_e32 vcc, 0, v32
                                        ; implicit-def: $vgpr29
	s_and_saveexec_b64 s[20:21], vcc
	s_xor_b64 s[20:21], exec, s[20:21]
; %bb.1218:                             ;   in Loop: Header=BB4_124 Depth=2
	v_cmp_lt_u64_e32 vcc, s[60:61], v[14:15]
	v_add_u32_e32 v29, 7, v52
	v_cndmask_b32_e32 v29, v32, v29, vcc
	v_cndmask_b32_e64 v32, 0, 1, vcc
	v_lshrrev_b64 v[14:15], v32, v[14:15]
; %bb.1219:                             ;   in Loop: Header=BB4_124 Depth=2
	s_andn2_saveexec_b64 s[20:21], s[20:21]
; %bb.1220:                             ;   in Loop: Header=BB4_124 Depth=2
	v_bfe_u32 v29, v14, 23, 1
; %bb.1221:                             ;   in Loop: Header=BB4_124 Depth=2
	s_or_b64 exec, exec, s[20:21]
	v_lshrrev_b64 v[14:15], 20, v[14:15]
	v_cmp_gt_i32_e32 vcc, 16, v29
	v_cndmask_b32_e32 v15, 0, v15, vcc
	v_cndmask_b32_e32 v14, 7, v14, vcc
	v_cmp_eq_u64_e64 s[20:21], 0, v[14:15]
	v_min_i32_e32 v15, 15, v29
	v_lshlrev_b32_e32 v15, 3, v15
	v_cmp_eq_u32_e32 vcc, 0, v29
	v_and_b32_e32 v15, 0xf8, v15
	v_and_or_b32 v14, v14, 7, v15
	s_and_b64 s[20:21], vcc, s[20:21]
	v_cndmask_b32_e64 v14, v14, 0, s[20:21]
	v_or_b32_e32 v32, v14, v28
.LBB4_1222:                             ;   in Loop: Header=BB4_124 Depth=2
	s_or_b64 exec, exec, s[90:91]
                                        ; implicit-def: $vgpr28
.LBB4_1223:                             ;   in Loop: Header=BB4_124 Depth=2
	s_andn2_saveexec_b64 s[20:21], s[88:89]
; %bb.1224:                             ;   in Loop: Header=BB4_124 Depth=2
	v_or_b32_e32 v32, 0x7e, v28
; %bb.1225:                             ;   in Loop: Header=BB4_124 Depth=2
	s_or_b64 exec, exec, s[20:21]
                                        ; implicit-def: $vgpr14
.LBB4_1226:                             ;   in Loop: Header=BB4_124 Depth=2
	s_andn2_saveexec_b64 s[20:21], s[78:79]
; %bb.1227:                             ;   in Loop: Header=BB4_124 Depth=2
	v_or_b32_sdwa v32, v14, s51 dst_sel:DWORD dst_unused:UNUSED_PAD src0_sel:BYTE_3 src1_sel:DWORD
; %bb.1228:                             ;   in Loop: Header=BB4_124 Depth=2
	s_or_b64 exec, exec, s[20:21]
	v_lshrrev_b32_e32 v14, 16, v36
	v_cmp_ne_u16_sdwa s[78:79], v14, v37 src0_sel:BYTE_0 src1_sel:DWORD
	v_mov_b32_e32 v15, 0
	v_mov_b32_e32 v28, 0
	s_and_saveexec_b64 s[20:21], s[78:79]
	s_cbranch_execz .LBB4_1234
; %bb.1229:                             ;   in Loop: Header=BB4_124 Depth=2
	v_cmp_ne_u16_sdwa s[88:89], v14, s53 src0_sel:BYTE_0 src1_sel:DWORD
	v_bfrev_b32_e32 v28, 1
	s_and_saveexec_b64 s[78:79], s[88:89]
	s_cbranch_execz .LBB4_1233
; %bb.1230:                             ;   in Loop: Header=BB4_124 Depth=2
	v_bfe_u32 v29, v36, 16, 7
	v_cmp_ne_u32_e32 vcc, s51, v29
	v_mov_b32_e32 v28, 0x7f800001
	s_and_saveexec_b64 s[88:89], vcc
	s_cbranch_execz .LBB4_1232
; %bb.1231:                             ;   in Loop: Header=BB4_124 Depth=2
	v_and_b32_e32 v48, 7, v14
	v_ffbh_u32_e32 v28, v48
	v_min_u32_e32 v52, 32, v28
	v_subrev_u32_e32 v28, 28, v52
	v_lshrrev_b32_e32 v49, 3, v29
	v_cmp_gt_u32_e32 vcc, 8, v29
	v_lshlrev_b64 v[28:29], v28, v[14:15]
	v_sub_u32_e32 v29, 29, v52
	v_and_b32_e32 v28, 7, v28
	v_cndmask_b32_e32 v29, v49, v29, vcc
	v_cndmask_b32_e32 v28, v48, v28, vcc
	v_lshlrev_b32_e32 v14, 24, v14
	v_lshlrev_b32_e32 v28, 20, v28
	v_and_b32_e32 v14, 0x80000000, v14
	v_lshl_add_u32 v29, v29, 23, v58
	v_or3_b32 v28, v14, v29, v28
.LBB4_1232:                             ;   in Loop: Header=BB4_124 Depth=2
	s_or_b64 exec, exec, s[88:89]
.LBB4_1233:                             ;   in Loop: Header=BB4_124 Depth=2
	s_or_b64 exec, exec, s[78:79]
.LBB4_1234:                             ;   in Loop: Header=BB4_124 Depth=2
	s_or_b64 exec, exec, s[20:21]
	v_lshrrev_b32_e32 v14, 16, v17
	v_cmp_ne_u16_sdwa s[78:79], v14, v37 src0_sel:BYTE_0 src1_sel:DWORD
	s_and_saveexec_b64 s[20:21], s[78:79]
	s_cbranch_execz .LBB4_1240
; %bb.1235:                             ;   in Loop: Header=BB4_124 Depth=2
	v_cmp_ne_u16_sdwa s[88:89], v14, s53 src0_sel:BYTE_0 src1_sel:DWORD
	v_bfrev_b32_e32 v15, 1
	s_and_saveexec_b64 s[78:79], s[88:89]
	s_cbranch_execz .LBB4_1239
; %bb.1236:                             ;   in Loop: Header=BB4_124 Depth=2
	v_bfe_u32 v29, v17, 16, 7
	v_cmp_ne_u32_e32 vcc, s51, v29
	v_mov_b32_e32 v15, 0x7f800001
	s_and_saveexec_b64 s[88:89], vcc
	s_cbranch_execz .LBB4_1238
; %bb.1237:                             ;   in Loop: Header=BB4_124 Depth=2
	v_and_b32_e32 v48, 7, v14
	v_ffbh_u32_e32 v15, v48
	v_lshrrev_b32_e32 v49, 3, v29
	v_cmp_gt_u32_e32 vcc, 8, v29
	v_min_u32_e32 v29, 32, v15
	v_subrev_u32_e32 v15, 28, v29
	v_lshlrev_b64 v[14:15], v15, v[14:15]
	v_sub_u32_e32 v15, 29, v29
	v_and_b32_e32 v14, 7, v14
	v_cndmask_b32_e32 v15, v49, v15, vcc
	v_cndmask_b32_e32 v14, v48, v14, vcc
	v_lshlrev_b32_e32 v29, 8, v17
	v_lshlrev_b32_e32 v14, 20, v14
	v_and_b32_e32 v29, 0x80000000, v29
	v_lshl_add_u32 v15, v15, 23, v58
	v_or3_b32 v15, v29, v15, v14
.LBB4_1238:                             ;   in Loop: Header=BB4_124 Depth=2
	s_or_b64 exec, exec, s[88:89]
.LBB4_1239:                             ;   in Loop: Header=BB4_124 Depth=2
	s_or_b64 exec, exec, s[78:79]
.LBB4_1240:                             ;   in Loop: Header=BB4_124 Depth=2
	s_or_b64 exec, exec, s[20:21]
	v_add_f32_e32 v14, v28, v15
	v_and_b32_e32 v28, 0x7f800000, v14
	v_mov_b32_e32 v29, v37
	v_cmp_ne_u64_e32 vcc, s[56:57], v[28:29]
                                        ; implicit-def: $vgpr52
	s_and_saveexec_b64 s[20:21], vcc
	s_xor_b64 s[78:79], exec, s[20:21]
	s_cbranch_execz .LBB4_1254
; %bb.1241:                             ;   in Loop: Header=BB4_124 Depth=2
	v_and_b32_e32 v28, 0x7fffffff, v14
	v_mov_b32_e32 v29, v37
	v_cmp_gt_u64_e32 vcc, s[58:59], v[28:29]
	v_and_b32_sdwa v28, v14, s53 dst_sel:DWORD dst_unused:UNUSED_PAD src0_sel:BYTE_3 src1_sel:DWORD
                                        ; implicit-def: $vgpr52
	s_and_saveexec_b64 s[20:21], vcc
	s_xor_b64 s[88:89], exec, s[20:21]
	s_cbranch_execz .LBB4_1251
; %bb.1242:                             ;   in Loop: Header=BB4_124 Depth=2
	v_mov_b32_e32 v52, 0
	v_cmp_ne_u32_e32 vcc, 0, v14
	s_and_saveexec_b64 s[90:91], vcc
	s_cbranch_execz .LBB4_1250
; %bb.1243:                             ;   in Loop: Header=BB4_124 Depth=2
	v_bfe_u32 v29, v14, 23, 8
	v_and_b32_e32 v15, 0x7fffff, v14
	v_cmp_gt_u32_e64 s[20:21], s54, v29
	v_sub_u32_e32 v14, 0x79, v29
	v_cmp_eq_u32_e32 vcc, 0, v29
	v_cndmask_b32_e64 v14, 0, v14, s[20:21]
	v_or_b32_e32 v48, 0x800000, v15
	v_cndmask_b32_e32 v52, v14, v31, vcc
	v_cndmask_b32_e32 v14, v48, v15, vcc
	v_add_u32_e32 v48, 20, v52
	v_lshlrev_b64 v[48:49], v48, -1
	v_mov_b32_e32 v15, v37
	v_add_u32_e32 v44, 19, v52
	v_bfi_b32 v48, v48, 0, v14
	v_lshlrev_b64 v[44:45], v44, 1
	v_lshrrev_b64 v[14:15], v52, v[14:15]
	v_bfi_b32 v49, v49, 0, 0
	v_cmp_eq_u64_e64 s[20:21], v[48:49], v[44:45]
	v_mov_b32_e32 v45, v15
	v_mov_b32_e32 v44, v14
	s_and_saveexec_b64 s[92:93], s[20:21]
; %bb.1244:                             ;   in Loop: Header=BB4_124 Depth=2
	v_bfe_u32 v15, v14, 20, 1
	v_add_co_u32_e64 v15, s[20:21], v14, v15
	v_add_co_u32_e64 v44, s[20:21], -1, v15
; %bb.1245:                             ;   in Loop: Header=BB4_124 Depth=2
	s_or_b64 exec, exec, s[92:93]
	v_add_u32_e32 v15, 0xffffff81, v29
	v_cndmask_b32_e32 v15, v15, v62, vcc
	v_lshrrev_b32_e32 v29, 23, v14
	v_add3_u32 v45, v52, v15, v29
	v_add_u32_e32 v52, 6, v45
	v_and_b32_e32 v15, 0xfffff, v44
	v_add_u32_e32 v14, v15, v14
	v_mov_b32_e32 v15, v37
	v_cmp_ne_u32_e32 vcc, 0, v52
                                        ; implicit-def: $vgpr29
	s_and_saveexec_b64 s[20:21], vcc
	s_xor_b64 s[20:21], exec, s[20:21]
; %bb.1246:                             ;   in Loop: Header=BB4_124 Depth=2
	v_cmp_lt_u64_e32 vcc, s[60:61], v[14:15]
	v_add_u32_e32 v29, 7, v45
	v_cndmask_b32_e64 v48, 0, 1, vcc
	v_cndmask_b32_e32 v29, v52, v29, vcc
	v_lshrrev_b64 v[14:15], v48, v[14:15]
; %bb.1247:                             ;   in Loop: Header=BB4_124 Depth=2
	s_andn2_saveexec_b64 s[20:21], s[20:21]
; %bb.1248:                             ;   in Loop: Header=BB4_124 Depth=2
	v_bfe_u32 v29, v14, 23, 1
; %bb.1249:                             ;   in Loop: Header=BB4_124 Depth=2
	s_or_b64 exec, exec, s[20:21]
	v_lshrrev_b64 v[14:15], 20, v[14:15]
	v_cmp_gt_i32_e32 vcc, 16, v29
	v_cndmask_b32_e32 v15, 0, v15, vcc
	v_cndmask_b32_e32 v14, 7, v14, vcc
	v_cmp_eq_u64_e64 s[20:21], 0, v[14:15]
	v_min_i32_e32 v15, 15, v29
	v_lshlrev_b32_e32 v15, 3, v15
	v_cmp_eq_u32_e32 vcc, 0, v29
	v_and_b32_e32 v15, 0xf8, v15
	v_and_or_b32 v14, v14, 7, v15
	s_and_b64 s[20:21], vcc, s[20:21]
	v_cndmask_b32_e64 v14, v14, 0, s[20:21]
	v_or_b32_e32 v52, v14, v28
.LBB4_1250:                             ;   in Loop: Header=BB4_124 Depth=2
	s_or_b64 exec, exec, s[90:91]
                                        ; implicit-def: $vgpr28
.LBB4_1251:                             ;   in Loop: Header=BB4_124 Depth=2
	s_andn2_saveexec_b64 s[20:21], s[88:89]
; %bb.1252:                             ;   in Loop: Header=BB4_124 Depth=2
	v_or_b32_e32 v52, 0x7e, v28
; %bb.1253:                             ;   in Loop: Header=BB4_124 Depth=2
	s_or_b64 exec, exec, s[20:21]
                                        ; implicit-def: $vgpr14
.LBB4_1254:                             ;   in Loop: Header=BB4_124 Depth=2
	s_andn2_saveexec_b64 s[20:21], s[78:79]
; %bb.1255:                             ;   in Loop: Header=BB4_124 Depth=2
	v_or_b32_sdwa v52, v14, s51 dst_sel:DWORD dst_unused:UNUSED_PAD src0_sel:BYTE_3 src1_sel:DWORD
; %bb.1256:                             ;   in Loop: Header=BB4_124 Depth=2
	s_or_b64 exec, exec, s[20:21]
	v_cmp_lt_u32_e32 vcc, s63, v36
	v_mov_b32_e32 v15, 0
	v_mov_b32_e32 v28, 0
	s_and_saveexec_b64 s[20:21], vcc
	s_cbranch_execz .LBB4_1262
; %bb.1257:                             ;   in Loop: Header=BB4_124 Depth=2
	v_lshrrev_b32_e32 v14, 24, v36
	v_cmp_ne_u32_sdwa s[88:89], v36, s53 src0_sel:BYTE_3 src1_sel:DWORD
	v_bfrev_b32_e32 v28, 1
	s_and_saveexec_b64 s[78:79], s[88:89]
	s_cbranch_execz .LBB4_1261
; %bb.1258:                             ;   in Loop: Header=BB4_124 Depth=2
	v_bfe_u32 v29, v36, 24, 7
	v_cmp_ne_u32_e32 vcc, s51, v29
	v_mov_b32_e32 v28, 0x7f800001
	s_and_saveexec_b64 s[88:89], vcc
	s_cbranch_execz .LBB4_1260
; %bb.1259:                             ;   in Loop: Header=BB4_124 Depth=2
	v_and_b32_e32 v48, 7, v14
	v_ffbh_u32_e32 v28, v48
	v_min_u32_e32 v44, 32, v28
	v_subrev_u32_e32 v28, 28, v44
	v_lshrrev_b32_e32 v49, 3, v29
	v_cmp_gt_u32_e32 vcc, 8, v29
	v_lshlrev_b64 v[28:29], v28, v[14:15]
	v_sub_u32_e32 v14, 29, v44
	v_and_b32_e32 v28, 7, v28
	v_mov_b32_e32 v29, 24
	v_cndmask_b32_e32 v14, v49, v14, vcc
	v_cndmask_b32_e32 v28, v48, v28, vcc
	v_lshlrev_b32_sdwa v29, v29, v36 dst_sel:DWORD dst_unused:UNUSED_PAD src0_sel:DWORD src1_sel:BYTE_3
	v_lshlrev_b32_e32 v28, 20, v28
	v_and_b32_e32 v29, 0x80000000, v29
	v_lshl_add_u32 v14, v14, 23, v58
	v_or3_b32 v28, v29, v14, v28
.LBB4_1260:                             ;   in Loop: Header=BB4_124 Depth=2
	s_or_b64 exec, exec, s[88:89]
.LBB4_1261:                             ;   in Loop: Header=BB4_124 Depth=2
	s_or_b64 exec, exec, s[78:79]
.LBB4_1262:                             ;   in Loop: Header=BB4_124 Depth=2
	s_or_b64 exec, exec, s[20:21]
	v_cmp_lt_u64_e32 vcc, s[62:63], v[16:17]
	s_and_saveexec_b64 s[20:21], vcc
	s_cbranch_execz .LBB4_1268
; %bb.1263:                             ;   in Loop: Header=BB4_124 Depth=2
	v_lshrrev_b32_e32 v14, 24, v17
	v_cmp_ne_u32_e32 vcc, s53, v14
	v_bfrev_b32_e32 v15, 1
	s_and_saveexec_b64 s[78:79], vcc
	s_cbranch_execz .LBB4_1267
; %bb.1264:                             ;   in Loop: Header=BB4_124 Depth=2
	v_bfe_u32 v16, v17, 24, 7
	v_cmp_ne_u32_e32 vcc, s51, v16
	v_mov_b32_e32 v15, 0x7f800001
	s_and_saveexec_b64 s[88:89], vcc
	s_cbranch_execz .LBB4_1266
; %bb.1265:                             ;   in Loop: Header=BB4_124 Depth=2
	v_and_b32_e32 v17, 7, v14
	v_ffbh_u32_e32 v15, v17
	v_min_u32_e32 v36, 32, v15
	v_subrev_u32_e32 v15, 28, v36
	v_lshrrev_b32_e32 v29, 3, v16
	v_cmp_gt_u32_e32 vcc, 8, v16
	v_lshlrev_b64 v[15:16], v15, v[14:15]
	v_sub_u32_e32 v16, 29, v36
	v_and_b32_e32 v15, 7, v15
	v_cndmask_b32_e32 v16, v29, v16, vcc
	v_cndmask_b32_e32 v15, v17, v15, vcc
	v_lshlrev_b32_e32 v14, 24, v14
	v_lshlrev_b32_e32 v15, 20, v15
	v_and_b32_e32 v14, 0x80000000, v14
	v_lshl_add_u32 v16, v16, 23, v58
	v_or3_b32 v15, v14, v16, v15
.LBB4_1266:                             ;   in Loop: Header=BB4_124 Depth=2
	s_or_b64 exec, exec, s[88:89]
.LBB4_1267:                             ;   in Loop: Header=BB4_124 Depth=2
	s_or_b64 exec, exec, s[78:79]
.LBB4_1268:                             ;   in Loop: Header=BB4_124 Depth=2
	s_or_b64 exec, exec, s[20:21]
	v_add_f32_e32 v14, v28, v15
	v_and_b32_e32 v36, 0x7f800000, v14
	v_cmp_ne_u64_e32 vcc, s[56:57], v[36:37]
                                        ; implicit-def: $vgpr17
	s_and_saveexec_b64 s[20:21], vcc
	s_xor_b64 s[78:79], exec, s[20:21]
	s_cbranch_execz .LBB4_1282
; %bb.1269:                             ;   in Loop: Header=BB4_124 Depth=2
	v_and_b32_e32 v36, 0x7fffffff, v14
	v_cmp_gt_u64_e32 vcc, s[58:59], v[36:37]
	v_and_b32_sdwa v28, v14, s53 dst_sel:DWORD dst_unused:UNUSED_PAD src0_sel:BYTE_3 src1_sel:DWORD
                                        ; implicit-def: $vgpr17
	s_and_saveexec_b64 s[20:21], vcc
	s_xor_b64 s[88:89], exec, s[20:21]
	s_cbranch_execz .LBB4_1279
; %bb.1270:                             ;   in Loop: Header=BB4_124 Depth=2
	v_mov_b32_e32 v17, 0
	v_cmp_ne_u32_e32 vcc, 0, v14
	s_and_saveexec_b64 s[90:91], vcc
	s_cbranch_execz .LBB4_1278
; %bb.1271:                             ;   in Loop: Header=BB4_124 Depth=2
	v_bfe_u32 v17, v14, 23, 8
	v_and_b32_e32 v15, 0x7fffff, v14
	v_cmp_gt_u32_e64 s[20:21], s54, v17
	v_sub_u32_e32 v14, 0x79, v17
	v_cmp_eq_u32_e32 vcc, 0, v17
	v_cndmask_b32_e64 v14, 0, v14, s[20:21]
	v_cndmask_b32_e32 v29, v14, v31, vcc
	v_or_b32_e32 v16, 0x800000, v15
	v_add_u32_e32 v14, 20, v29
	v_cndmask_b32_e32 v36, v16, v15, vcc
	v_lshlrev_b64 v[14:15], v14, -1
	v_add_u32_e32 v16, 19, v29
	v_lshlrev_b64 v[48:49], v16, 1
	v_bfi_b32 v15, v15, 0, 0
	v_bfi_b32 v14, v14, 0, v36
	v_cmp_eq_u64_e64 s[20:21], v[14:15], v[48:49]
	v_lshrrev_b64 v[14:15], v29, v[36:37]
	v_mov_b32_e32 v16, v15
	v_mov_b32_e32 v15, v14
	s_and_saveexec_b64 s[92:93], s[20:21]
; %bb.1272:                             ;   in Loop: Header=BB4_124 Depth=2
	v_bfe_u32 v15, v14, 20, 1
	v_add_co_u32_e64 v15, s[20:21], v14, v15
	v_add_co_u32_e64 v15, s[20:21], -1, v15
; %bb.1273:                             ;   in Loop: Header=BB4_124 Depth=2
	s_or_b64 exec, exec, s[92:93]
	v_add_u32_e32 v16, 0xffffff81, v17
	v_cndmask_b32_e32 v16, v16, v62, vcc
	v_lshrrev_b32_e32 v17, 23, v14
	v_add3_u32 v29, v29, v16, v17
	v_add_u32_e32 v17, 6, v29
	v_and_b32_e32 v15, 0xfffff, v15
	v_add_u32_e32 v36, v15, v14
	v_cmp_ne_u32_e32 vcc, 0, v17
                                        ; implicit-def: $vgpr14_vgpr15
                                        ; implicit-def: $vgpr16
	s_and_saveexec_b64 s[20:21], vcc
	s_xor_b64 s[20:21], exec, s[20:21]
; %bb.1274:                             ;   in Loop: Header=BB4_124 Depth=2
	v_cmp_lt_u64_e32 vcc, s[60:61], v[36:37]
	v_add_u32_e32 v14, 7, v29
	v_cndmask_b32_e32 v16, v17, v14, vcc
	v_cndmask_b32_e64 v14, 0, 1, vcc
	v_lshrrev_b64 v[14:15], v14, v[36:37]
; %bb.1275:                             ;   in Loop: Header=BB4_124 Depth=2
	s_andn2_saveexec_b64 s[20:21], s[20:21]
; %bb.1276:                             ;   in Loop: Header=BB4_124 Depth=2
	v_mov_b32_e32 v14, v36
	v_bfe_u32 v16, v36, 23, 1
	v_mov_b32_e32 v15, v37
; %bb.1277:                             ;   in Loop: Header=BB4_124 Depth=2
	s_or_b64 exec, exec, s[20:21]
	v_lshrrev_b64 v[14:15], 20, v[14:15]
	v_cmp_gt_i32_e32 vcc, 16, v16
	v_cndmask_b32_e32 v15, 0, v15, vcc
	v_cndmask_b32_e32 v14, 7, v14, vcc
	v_cmp_eq_u64_e64 s[20:21], 0, v[14:15]
	v_min_i32_e32 v15, 15, v16
	v_lshlrev_b32_e32 v15, 3, v15
	v_cmp_eq_u32_e32 vcc, 0, v16
	v_and_b32_e32 v15, 0xf8, v15
	v_and_or_b32 v14, v14, 7, v15
	s_and_b64 s[20:21], vcc, s[20:21]
	v_cndmask_b32_e64 v14, v14, 0, s[20:21]
	v_or_b32_e32 v17, v14, v28
.LBB4_1278:                             ;   in Loop: Header=BB4_124 Depth=2
	s_or_b64 exec, exec, s[90:91]
                                        ; implicit-def: $vgpr28
.LBB4_1279:                             ;   in Loop: Header=BB4_124 Depth=2
	s_andn2_saveexec_b64 s[20:21], s[88:89]
; %bb.1280:                             ;   in Loop: Header=BB4_124 Depth=2
	v_or_b32_e32 v17, 0x7e, v28
; %bb.1281:                             ;   in Loop: Header=BB4_124 Depth=2
	s_or_b64 exec, exec, s[20:21]
                                        ; implicit-def: $vgpr14
.LBB4_1282:                             ;   in Loop: Header=BB4_124 Depth=2
	s_andn2_saveexec_b64 s[20:21], s[78:79]
; %bb.1283:                             ;   in Loop: Header=BB4_124 Depth=2
	v_or_b32_sdwa v17, v14, s51 dst_sel:DWORD dst_unused:UNUSED_PAD src0_sel:BYTE_3 src1_sel:DWORD
; %bb.1284:                             ;   in Loop: Header=BB4_124 Depth=2
	s_or_b64 exec, exec, s[20:21]
	v_lshl_or_b32 v28, v33, 8, v19
	v_lshlrev_b32_e32 v14, 16, v50
	v_lshlrev_b32_e32 v15, 24, v53
	v_or3_b32 v36, v14, v15, v28
	v_cmp_ne_u32_e32 vcc, 0, v19
	v_mov_b32_e32 v14, 0
	v_mov_b32_e32 v15, 0
	s_and_saveexec_b64 s[20:21], vcc
	s_cbranch_execz .LBB4_1290
; %bb.1285:                             ;   in Loop: Header=BB4_124 Depth=2
	v_cmp_ne_u32_e32 vcc, s53, v19
	v_bfrev_b32_e32 v15, 1
	s_and_saveexec_b64 s[78:79], vcc
	s_cbranch_execz .LBB4_1289
; %bb.1286:                             ;   in Loop: Header=BB4_124 Depth=2
	v_and_b32_e32 v16, 0x7f, v19
	v_cmp_ne_u32_e32 vcc, s51, v16
	v_mov_b32_e32 v15, 0x7f800001
	s_and_saveexec_b64 s[88:89], vcc
	s_cbranch_execz .LBB4_1288
; %bb.1287:                             ;   in Loop: Header=BB4_124 Depth=2
	v_and_b32_e32 v15, 7, v19
	v_ffbh_u32_e32 v15, v15
	v_min_u32_e32 v15, 32, v15
	v_lshrrev_b32_e32 v19, 3, v16
	v_cmp_gt_u32_e32 vcc, 8, v16
	v_subrev_u32_e32 v16, 28, v15
	v_sub_u32_e32 v15, 29, v15
	v_cndmask_b32_e32 v19, v19, v15, vcc
	v_cndmask_b32_e32 v15, 0, v16, vcc
	v_lshlrev_b64 v[15:16], v15, v[36:37]
	v_lshlrev_b32_e32 v16, 24, v36
	v_lshlrev_b32_e32 v15, 20, v15
	v_and_b32_e32 v15, 0x700000, v15
	v_and_b32_e32 v16, 0x80000000, v16
	v_lshl_add_u32 v19, v19, 23, v58
	v_or3_b32 v15, v16, v19, v15
.LBB4_1288:                             ;   in Loop: Header=BB4_124 Depth=2
	s_or_b64 exec, exec, s[88:89]
.LBB4_1289:                             ;   in Loop: Header=BB4_124 Depth=2
	s_or_b64 exec, exec, s[78:79]
.LBB4_1290:                             ;   in Loop: Header=BB4_124 Depth=2
	s_or_b64 exec, exec, s[20:21]
	s_waitcnt vmcnt(0)
	v_cmp_ne_u16_sdwa s[78:79], v10, v37 src0_sel:BYTE_0 src1_sel:DWORD
	s_and_saveexec_b64 s[20:21], s[78:79]
	s_cbranch_execz .LBB4_1296
; %bb.1291:                             ;   in Loop: Header=BB4_124 Depth=2
	v_cmp_ne_u16_sdwa s[88:89], v10, s53 src0_sel:BYTE_0 src1_sel:DWORD
	v_bfrev_b32_e32 v14, 1
	s_and_saveexec_b64 s[78:79], s[88:89]
	s_cbranch_execz .LBB4_1295
; %bb.1292:                             ;   in Loop: Header=BB4_124 Depth=2
	v_and_b32_e32 v16, 0x7f, v10
	v_cmp_ne_u32_e32 vcc, s51, v16
	v_mov_b32_e32 v14, 0x7f800001
	s_and_saveexec_b64 s[88:89], vcc
	s_cbranch_execz .LBB4_1294
; %bb.1293:                             ;   in Loop: Header=BB4_124 Depth=2
	v_and_b32_e32 v14, 7, v10
	v_ffbh_u32_e32 v14, v14
	v_min_u32_e32 v14, 32, v14
	v_lshrrev_b32_e32 v19, 3, v16
	v_cmp_gt_u32_e32 vcc, 8, v16
	v_subrev_u32_e32 v16, 28, v14
	v_cndmask_b32_e32 v16, 0, v16, vcc
	v_lshlrev_b64 v[48:49], v16, v[10:11]
	v_sub_u32_e32 v14, 29, v14
	v_cndmask_b32_e32 v14, v19, v14, vcc
	v_lshlrev_b32_e32 v16, 20, v48
	v_lshlrev_b32_e32 v19, 24, v10
	v_and_b32_e32 v16, 0x700000, v16
	v_and_b32_e32 v19, 0x80000000, v19
	v_lshl_add_u32 v14, v14, 23, v58
	v_or3_b32 v14, v19, v14, v16
.LBB4_1294:                             ;   in Loop: Header=BB4_124 Depth=2
	s_or_b64 exec, exec, s[88:89]
.LBB4_1295:                             ;   in Loop: Header=BB4_124 Depth=2
	s_or_b64 exec, exec, s[78:79]
.LBB4_1296:                             ;   in Loop: Header=BB4_124 Depth=2
	s_or_b64 exec, exec, s[20:21]
	v_add_f32_e32 v14, v15, v14
	v_and_b32_e32 v15, 0x7f800000, v14
	v_mov_b32_e32 v16, v37
	v_cmp_ne_u64_e32 vcc, s[56:57], v[15:16]
                                        ; implicit-def: $vgpr19
	s_and_saveexec_b64 s[20:21], vcc
	s_xor_b64 s[78:79], exec, s[20:21]
	s_cbranch_execz .LBB4_1310
; %bb.1297:                             ;   in Loop: Header=BB4_124 Depth=2
	v_and_b32_e32 v15, 0x7fffffff, v14
	v_mov_b32_e32 v16, v37
	v_cmp_gt_u64_e32 vcc, s[58:59], v[15:16]
	v_and_b32_sdwa v29, v14, s53 dst_sel:DWORD dst_unused:UNUSED_PAD src0_sel:BYTE_3 src1_sel:DWORD
                                        ; implicit-def: $vgpr19
	s_and_saveexec_b64 s[20:21], vcc
	s_xor_b64 s[88:89], exec, s[20:21]
	s_cbranch_execz .LBB4_1307
; %bb.1298:                             ;   in Loop: Header=BB4_124 Depth=2
	v_mov_b32_e32 v19, 0
	v_cmp_ne_u32_e32 vcc, 0, v14
	s_and_saveexec_b64 s[90:91], vcc
	s_cbranch_execz .LBB4_1306
; %bb.1299:                             ;   in Loop: Header=BB4_124 Depth=2
	v_bfe_u32 v19, v14, 23, 8
	v_and_b32_e32 v15, 0x7fffff, v14
	v_cmp_gt_u32_e64 s[20:21], s54, v19
	v_sub_u32_e32 v14, 0x79, v19
	v_cmp_eq_u32_e32 vcc, 0, v19
	v_cndmask_b32_e64 v14, 0, v14, s[20:21]
	v_or_b32_e32 v16, 0x800000, v15
	v_cndmask_b32_e32 v33, v14, v31, vcc
	v_cndmask_b32_e32 v14, v16, v15, vcc
	v_add_u32_e32 v16, 20, v33
	v_lshlrev_b64 v[48:49], v16, -1
	v_mov_b32_e32 v15, v37
	v_add_u32_e32 v16, 19, v33
	v_bfi_b32 v48, v48, 0, v14
	v_lshlrev_b64 v[44:45], v16, 1
	v_lshrrev_b64 v[14:15], v33, v[14:15]
	v_bfi_b32 v49, v49, 0, 0
	v_cmp_eq_u64_e64 s[20:21], v[48:49], v[44:45]
	v_mov_b32_e32 v16, v15
	v_mov_b32_e32 v15, v14
	s_and_saveexec_b64 s[92:93], s[20:21]
; %bb.1300:                             ;   in Loop: Header=BB4_124 Depth=2
	v_bfe_u32 v15, v14, 20, 1
	v_add_co_u32_e64 v15, s[20:21], v14, v15
	v_add_co_u32_e64 v15, s[20:21], -1, v15
; %bb.1301:                             ;   in Loop: Header=BB4_124 Depth=2
	s_or_b64 exec, exec, s[92:93]
	v_add_u32_e32 v16, 0xffffff81, v19
	v_cndmask_b32_e32 v16, v16, v62, vcc
	v_lshrrev_b32_e32 v19, 23, v14
	v_add3_u32 v33, v33, v16, v19
	v_add_u32_e32 v19, 6, v33
	v_and_b32_e32 v15, 0xfffff, v15
	v_add_u32_e32 v14, v15, v14
	v_mov_b32_e32 v15, v37
	v_cmp_ne_u32_e32 vcc, 0, v19
                                        ; implicit-def: $vgpr16
	s_and_saveexec_b64 s[20:21], vcc
	s_xor_b64 s[20:21], exec, s[20:21]
; %bb.1302:                             ;   in Loop: Header=BB4_124 Depth=2
	v_cmp_lt_u64_e32 vcc, s[60:61], v[14:15]
	v_add_u32_e32 v16, 7, v33
	v_cndmask_b32_e32 v16, v19, v16, vcc
	v_cndmask_b32_e64 v19, 0, 1, vcc
	v_lshrrev_b64 v[14:15], v19, v[14:15]
; %bb.1303:                             ;   in Loop: Header=BB4_124 Depth=2
	s_andn2_saveexec_b64 s[20:21], s[20:21]
; %bb.1304:                             ;   in Loop: Header=BB4_124 Depth=2
	v_bfe_u32 v16, v14, 23, 1
; %bb.1305:                             ;   in Loop: Header=BB4_124 Depth=2
	s_or_b64 exec, exec, s[20:21]
	v_lshrrev_b64 v[14:15], 20, v[14:15]
	v_cmp_gt_i32_e32 vcc, 16, v16
	v_cndmask_b32_e32 v15, 0, v15, vcc
	v_cndmask_b32_e32 v14, 7, v14, vcc
	v_cmp_eq_u64_e64 s[20:21], 0, v[14:15]
	v_min_i32_e32 v15, 15, v16
	v_lshlrev_b32_e32 v15, 3, v15
	v_cmp_eq_u32_e32 vcc, 0, v16
	v_and_b32_e32 v15, 0xf8, v15
	v_and_or_b32 v14, v14, 7, v15
	s_and_b64 s[20:21], vcc, s[20:21]
	v_cndmask_b32_e64 v14, v14, 0, s[20:21]
	v_or_b32_e32 v19, v14, v29
.LBB4_1306:                             ;   in Loop: Header=BB4_124 Depth=2
	s_or_b64 exec, exec, s[90:91]
                                        ; implicit-def: $vgpr29
.LBB4_1307:                             ;   in Loop: Header=BB4_124 Depth=2
	s_andn2_saveexec_b64 s[20:21], s[88:89]
; %bb.1308:                             ;   in Loop: Header=BB4_124 Depth=2
	v_or_b32_e32 v19, 0x7e, v29
; %bb.1309:                             ;   in Loop: Header=BB4_124 Depth=2
	s_or_b64 exec, exec, s[20:21]
                                        ; implicit-def: $vgpr14
.LBB4_1310:                             ;   in Loop: Header=BB4_124 Depth=2
	s_andn2_saveexec_b64 s[20:21], s[78:79]
; %bb.1311:                             ;   in Loop: Header=BB4_124 Depth=2
	v_or_b32_sdwa v19, v14, s51 dst_sel:DWORD dst_unused:UNUSED_PAD src0_sel:BYTE_3 src1_sel:DWORD
; %bb.1312:                             ;   in Loop: Header=BB4_124 Depth=2
	s_or_b64 exec, exec, s[20:21]
	v_lshrrev_b16_e32 v14, 8, v28
	v_cmp_ne_u16_e32 vcc, 0, v14
	v_mov_b32_e32 v15, 0
	v_mov_b32_e32 v16, 0
	s_and_saveexec_b64 s[20:21], vcc
	s_cbranch_execz .LBB4_1318
; %bb.1313:                             ;   in Loop: Header=BB4_124 Depth=2
	v_cmp_ne_u16_e32 vcc, s53, v14
	v_bfrev_b32_e32 v16, 1
	s_and_saveexec_b64 s[78:79], vcc
	s_cbranch_execz .LBB4_1317
; %bb.1314:                             ;   in Loop: Header=BB4_124 Depth=2
	v_and_b32_e32 v29, 0x7f, v14
	v_cmp_ne_u32_e32 vcc, s51, v29
	v_mov_b32_e32 v16, 0x7f800001
	s_and_saveexec_b64 s[88:89], vcc
	s_cbranch_execz .LBB4_1316
; %bb.1315:                             ;   in Loop: Header=BB4_124 Depth=2
	v_and_b32_e32 v16, 7, v14
	v_lshrrev_b32_e32 v33, 3, v29
	v_cmp_gt_u32_e32 vcc, 8, v29
	v_ffbh_u32_e32 v29, v16
	v_min_u32_e32 v29, 32, v29
	v_subrev_u32_e32 v48, 28, v29
	v_lshlrev_b64 v[48:49], v48, v[14:15]
	v_sub_u32_e32 v14, 29, v29
	v_and_b32_e32 v29, 7, v48
	v_cndmask_b32_e32 v14, v33, v14, vcc
	v_cndmask_b32_e32 v16, v16, v29, vcc
	v_lshlrev_b32_e32 v28, 16, v28
	v_lshlrev_b32_e32 v16, 20, v16
	v_and_b32_e32 v28, 0x80000000, v28
	v_lshl_add_u32 v14, v14, 23, v58
	v_or3_b32 v16, v28, v14, v16
.LBB4_1316:                             ;   in Loop: Header=BB4_124 Depth=2
	s_or_b64 exec, exec, s[88:89]
.LBB4_1317:                             ;   in Loop: Header=BB4_124 Depth=2
	s_or_b64 exec, exec, s[78:79]
.LBB4_1318:                             ;   in Loop: Header=BB4_124 Depth=2
	s_or_b64 exec, exec, s[20:21]
	v_lshrrev_b16_e32 v14, 8, v10
	v_cmp_ne_u16_e32 vcc, 0, v14
	s_and_saveexec_b64 s[20:21], vcc
	s_cbranch_execz .LBB4_1324
; %bb.1319:                             ;   in Loop: Header=BB4_124 Depth=2
	v_cmp_ne_u16_e32 vcc, s53, v14
	v_bfrev_b32_e32 v15, 1
	s_and_saveexec_b64 s[78:79], vcc
	s_cbranch_execz .LBB4_1323
; %bb.1320:                             ;   in Loop: Header=BB4_124 Depth=2
	v_and_b32_e32 v28, 0x7f, v14
	v_cmp_ne_u32_e32 vcc, s51, v28
	v_mov_b32_e32 v15, 0x7f800001
	s_and_saveexec_b64 s[88:89], vcc
	s_cbranch_execz .LBB4_1322
; %bb.1321:                             ;   in Loop: Header=BB4_124 Depth=2
	v_and_b32_e32 v29, 7, v14
	v_ffbh_u32_e32 v15, v29
	v_lshrrev_b32_e32 v33, 3, v28
	v_cmp_gt_u32_e32 vcc, 8, v28
	v_min_u32_e32 v28, 32, v15
	v_subrev_u32_e32 v15, 28, v28
	v_lshlrev_b64 v[14:15], v15, v[14:15]
	v_sub_u32_e32 v15, 29, v28
	v_and_b32_e32 v14, 7, v14
	v_cndmask_b32_e32 v15, v33, v15, vcc
	v_cndmask_b32_e32 v14, v29, v14, vcc
	v_lshlrev_b32_e32 v28, 16, v10
	v_lshlrev_b32_e32 v14, 20, v14
	v_and_b32_e32 v28, 0x80000000, v28
	v_lshl_add_u32 v15, v15, 23, v58
	v_or3_b32 v15, v28, v15, v14
.LBB4_1322:                             ;   in Loop: Header=BB4_124 Depth=2
	s_or_b64 exec, exec, s[88:89]
.LBB4_1323:                             ;   in Loop: Header=BB4_124 Depth=2
	s_or_b64 exec, exec, s[78:79]
.LBB4_1324:                             ;   in Loop: Header=BB4_124 Depth=2
	s_or_b64 exec, exec, s[20:21]
	v_add_f32_e32 v14, v16, v15
	v_and_b32_e32 v15, 0x7f800000, v14
	v_mov_b32_e32 v16, v37
	v_cmp_ne_u64_e32 vcc, s[56:57], v[15:16]
                                        ; implicit-def: $vgpr33
	s_and_saveexec_b64 s[20:21], vcc
	s_xor_b64 s[78:79], exec, s[20:21]
	s_cbranch_execz .LBB4_1338
; %bb.1325:                             ;   in Loop: Header=BB4_124 Depth=2
	v_and_b32_e32 v15, 0x7fffffff, v14
	v_mov_b32_e32 v16, v37
	v_cmp_gt_u64_e32 vcc, s[58:59], v[15:16]
	v_and_b32_sdwa v28, v14, s53 dst_sel:DWORD dst_unused:UNUSED_PAD src0_sel:BYTE_3 src1_sel:DWORD
                                        ; implicit-def: $vgpr33
	s_and_saveexec_b64 s[20:21], vcc
	s_xor_b64 s[88:89], exec, s[20:21]
	s_cbranch_execz .LBB4_1335
; %bb.1326:                             ;   in Loop: Header=BB4_124 Depth=2
	v_mov_b32_e32 v33, 0
	v_cmp_ne_u32_e32 vcc, 0, v14
	s_and_saveexec_b64 s[90:91], vcc
	s_cbranch_execz .LBB4_1334
; %bb.1327:                             ;   in Loop: Header=BB4_124 Depth=2
	v_bfe_u32 v29, v14, 23, 8
	v_and_b32_e32 v15, 0x7fffff, v14
	v_cmp_gt_u32_e64 s[20:21], s54, v29
	v_sub_u32_e32 v14, 0x79, v29
	v_cmp_eq_u32_e32 vcc, 0, v29
	v_cndmask_b32_e64 v14, 0, v14, s[20:21]
	v_or_b32_e32 v16, 0x800000, v15
	v_cndmask_b32_e32 v33, v14, v31, vcc
	v_cndmask_b32_e32 v14, v16, v15, vcc
	v_add_u32_e32 v16, 20, v33
	v_lshlrev_b64 v[48:49], v16, -1
	v_mov_b32_e32 v15, v37
	v_add_u32_e32 v16, 19, v33
	v_bfi_b32 v48, v48, 0, v14
	v_lshlrev_b64 v[44:45], v16, 1
	v_lshrrev_b64 v[14:15], v33, v[14:15]
	v_bfi_b32 v49, v49, 0, 0
	v_cmp_eq_u64_e64 s[20:21], v[48:49], v[44:45]
	v_mov_b32_e32 v16, v15
	v_mov_b32_e32 v15, v14
	s_and_saveexec_b64 s[92:93], s[20:21]
; %bb.1328:                             ;   in Loop: Header=BB4_124 Depth=2
	v_bfe_u32 v15, v14, 20, 1
	v_add_co_u32_e64 v15, s[20:21], v14, v15
	v_add_co_u32_e64 v15, s[20:21], -1, v15
; %bb.1329:                             ;   in Loop: Header=BB4_124 Depth=2
	s_or_b64 exec, exec, s[92:93]
	v_add_u32_e32 v16, 0xffffff81, v29
	v_cndmask_b32_e32 v16, v16, v62, vcc
	v_lshrrev_b32_e32 v29, 23, v14
	v_add3_u32 v33, v33, v16, v29
	v_add_u32_e32 v29, 6, v33
	v_and_b32_e32 v15, 0xfffff, v15
	v_add_u32_e32 v14, v15, v14
	v_mov_b32_e32 v15, v37
	v_cmp_ne_u32_e32 vcc, 0, v29
                                        ; implicit-def: $vgpr16
	s_and_saveexec_b64 s[20:21], vcc
	s_xor_b64 s[20:21], exec, s[20:21]
; %bb.1330:                             ;   in Loop: Header=BB4_124 Depth=2
	v_cmp_lt_u64_e32 vcc, s[60:61], v[14:15]
	v_add_u32_e32 v16, 7, v33
	v_cndmask_b32_e32 v16, v29, v16, vcc
	v_cndmask_b32_e64 v29, 0, 1, vcc
	v_lshrrev_b64 v[14:15], v29, v[14:15]
; %bb.1331:                             ;   in Loop: Header=BB4_124 Depth=2
	s_andn2_saveexec_b64 s[20:21], s[20:21]
; %bb.1332:                             ;   in Loop: Header=BB4_124 Depth=2
	v_bfe_u32 v16, v14, 23, 1
; %bb.1333:                             ;   in Loop: Header=BB4_124 Depth=2
	s_or_b64 exec, exec, s[20:21]
	v_lshrrev_b64 v[14:15], 20, v[14:15]
	v_cmp_gt_i32_e32 vcc, 16, v16
	v_cndmask_b32_e32 v15, 0, v15, vcc
	v_cndmask_b32_e32 v14, 7, v14, vcc
	v_cmp_eq_u64_e64 s[20:21], 0, v[14:15]
	v_min_i32_e32 v15, 15, v16
	v_lshlrev_b32_e32 v15, 3, v15
	v_cmp_eq_u32_e32 vcc, 0, v16
	v_and_b32_e32 v15, 0xf8, v15
	v_and_or_b32 v14, v14, 7, v15
	s_and_b64 s[20:21], vcc, s[20:21]
	v_cndmask_b32_e64 v14, v14, 0, s[20:21]
	v_or_b32_e32 v33, v14, v28
.LBB4_1334:                             ;   in Loop: Header=BB4_124 Depth=2
	s_or_b64 exec, exec, s[90:91]
                                        ; implicit-def: $vgpr28
.LBB4_1335:                             ;   in Loop: Header=BB4_124 Depth=2
	s_andn2_saveexec_b64 s[20:21], s[88:89]
; %bb.1336:                             ;   in Loop: Header=BB4_124 Depth=2
	v_or_b32_e32 v33, 0x7e, v28
; %bb.1337:                             ;   in Loop: Header=BB4_124 Depth=2
	s_or_b64 exec, exec, s[20:21]
                                        ; implicit-def: $vgpr14
.LBB4_1338:                             ;   in Loop: Header=BB4_124 Depth=2
	s_andn2_saveexec_b64 s[20:21], s[78:79]
; %bb.1339:                             ;   in Loop: Header=BB4_124 Depth=2
	v_or_b32_sdwa v33, v14, s51 dst_sel:DWORD dst_unused:UNUSED_PAD src0_sel:BYTE_3 src1_sel:DWORD
; %bb.1340:                             ;   in Loop: Header=BB4_124 Depth=2
	s_or_b64 exec, exec, s[20:21]
	v_lshrrev_b32_e32 v14, 16, v36
	v_cmp_ne_u16_sdwa s[78:79], v14, v37 src0_sel:BYTE_0 src1_sel:DWORD
	v_mov_b32_e32 v15, 0
	v_mov_b32_e32 v16, 0
	s_and_saveexec_b64 s[20:21], s[78:79]
	s_cbranch_execz .LBB4_1346
; %bb.1341:                             ;   in Loop: Header=BB4_124 Depth=2
	v_cmp_ne_u16_sdwa s[88:89], v14, s53 src0_sel:BYTE_0 src1_sel:DWORD
	v_bfrev_b32_e32 v16, 1
	s_and_saveexec_b64 s[78:79], s[88:89]
	s_cbranch_execz .LBB4_1345
; %bb.1342:                             ;   in Loop: Header=BB4_124 Depth=2
	v_bfe_u32 v28, v36, 16, 7
	v_cmp_ne_u32_e32 vcc, s51, v28
	v_mov_b32_e32 v16, 0x7f800001
	s_and_saveexec_b64 s[88:89], vcc
	s_cbranch_execz .LBB4_1344
; %bb.1343:                             ;   in Loop: Header=BB4_124 Depth=2
	v_and_b32_e32 v16, 7, v14
	v_lshrrev_b32_e32 v48, 3, v28
	v_cmp_gt_u32_e32 vcc, 8, v28
	v_ffbh_u32_e32 v28, v16
	v_min_u32_e32 v49, 32, v28
	v_subrev_u32_e32 v28, 28, v49
	v_lshlrev_b64 v[28:29], v28, v[14:15]
	v_sub_u32_e32 v29, 29, v49
	v_and_b32_e32 v28, 7, v28
	v_cndmask_b32_e32 v29, v48, v29, vcc
	v_cndmask_b32_e32 v16, v16, v28, vcc
	v_lshlrev_b32_e32 v14, 24, v14
	v_lshlrev_b32_e32 v16, 20, v16
	v_and_b32_e32 v14, 0x80000000, v14
	v_lshl_add_u32 v28, v29, 23, v58
	v_or3_b32 v16, v14, v28, v16
.LBB4_1344:                             ;   in Loop: Header=BB4_124 Depth=2
	s_or_b64 exec, exec, s[88:89]
.LBB4_1345:                             ;   in Loop: Header=BB4_124 Depth=2
	s_or_b64 exec, exec, s[78:79]
.LBB4_1346:                             ;   in Loop: Header=BB4_124 Depth=2
	s_or_b64 exec, exec, s[20:21]
	v_lshrrev_b32_e32 v14, 16, v10
	v_cmp_ne_u16_sdwa s[78:79], v14, v37 src0_sel:BYTE_0 src1_sel:DWORD
	s_and_saveexec_b64 s[20:21], s[78:79]
	s_cbranch_execz .LBB4_1352
; %bb.1347:                             ;   in Loop: Header=BB4_124 Depth=2
	v_cmp_ne_u16_sdwa s[88:89], v14, s53 src0_sel:BYTE_0 src1_sel:DWORD
	v_bfrev_b32_e32 v15, 1
	s_and_saveexec_b64 s[78:79], s[88:89]
	s_cbranch_execz .LBB4_1351
; %bb.1348:                             ;   in Loop: Header=BB4_124 Depth=2
	v_bfe_u32 v28, v10, 16, 7
	v_cmp_ne_u32_e32 vcc, s51, v28
	v_mov_b32_e32 v15, 0x7f800001
	s_and_saveexec_b64 s[88:89], vcc
	s_cbranch_execz .LBB4_1350
; %bb.1349:                             ;   in Loop: Header=BB4_124 Depth=2
	v_and_b32_e32 v29, 7, v14
	v_ffbh_u32_e32 v15, v29
	v_lshrrev_b32_e32 v48, 3, v28
	v_cmp_gt_u32_e32 vcc, 8, v28
	v_min_u32_e32 v28, 32, v15
	v_subrev_u32_e32 v15, 28, v28
	v_lshlrev_b64 v[14:15], v15, v[14:15]
	v_sub_u32_e32 v15, 29, v28
	v_and_b32_e32 v14, 7, v14
	v_cndmask_b32_e32 v15, v48, v15, vcc
	v_cndmask_b32_e32 v14, v29, v14, vcc
	v_lshlrev_b32_e32 v28, 8, v10
	v_lshlrev_b32_e32 v14, 20, v14
	v_and_b32_e32 v28, 0x80000000, v28
	v_lshl_add_u32 v15, v15, 23, v58
	v_or3_b32 v15, v28, v15, v14
.LBB4_1350:                             ;   in Loop: Header=BB4_124 Depth=2
	s_or_b64 exec, exec, s[88:89]
.LBB4_1351:                             ;   in Loop: Header=BB4_124 Depth=2
	s_or_b64 exec, exec, s[78:79]
.LBB4_1352:                             ;   in Loop: Header=BB4_124 Depth=2
	s_or_b64 exec, exec, s[20:21]
	v_add_f32_e32 v14, v16, v15
	v_and_b32_e32 v15, 0x7f800000, v14
	v_mov_b32_e32 v16, v37
	v_cmp_ne_u64_e32 vcc, s[56:57], v[15:16]
                                        ; implicit-def: $vgpr50
	s_and_saveexec_b64 s[20:21], vcc
	s_xor_b64 s[78:79], exec, s[20:21]
	s_cbranch_execz .LBB4_1366
; %bb.1353:                             ;   in Loop: Header=BB4_124 Depth=2
	v_and_b32_e32 v15, 0x7fffffff, v14
	v_mov_b32_e32 v16, v37
	v_cmp_gt_u64_e32 vcc, s[58:59], v[15:16]
	v_and_b32_sdwa v28, v14, s53 dst_sel:DWORD dst_unused:UNUSED_PAD src0_sel:BYTE_3 src1_sel:DWORD
                                        ; implicit-def: $vgpr50
	s_and_saveexec_b64 s[20:21], vcc
	s_xor_b64 s[88:89], exec, s[20:21]
	s_cbranch_execz .LBB4_1363
; %bb.1354:                             ;   in Loop: Header=BB4_124 Depth=2
	v_mov_b32_e32 v50, 0
	v_cmp_ne_u32_e32 vcc, 0, v14
	s_and_saveexec_b64 s[90:91], vcc
	s_cbranch_execz .LBB4_1362
; %bb.1355:                             ;   in Loop: Header=BB4_124 Depth=2
	v_bfe_u32 v29, v14, 23, 8
	v_and_b32_e32 v15, 0x7fffff, v14
	v_cmp_gt_u32_e64 s[20:21], s54, v29
	v_sub_u32_e32 v14, 0x79, v29
	v_cmp_eq_u32_e32 vcc, 0, v29
	v_cndmask_b32_e64 v14, 0, v14, s[20:21]
	v_or_b32_e32 v16, 0x800000, v15
	v_cndmask_b32_e32 v50, v14, v31, vcc
	v_cndmask_b32_e32 v14, v16, v15, vcc
	v_add_u32_e32 v16, 20, v50
	v_lshlrev_b64 v[48:49], v16, -1
	v_mov_b32_e32 v15, v37
	v_add_u32_e32 v16, 19, v50
	v_bfi_b32 v48, v48, 0, v14
	v_lshlrev_b64 v[44:45], v16, 1
	v_lshrrev_b64 v[14:15], v50, v[14:15]
	v_bfi_b32 v49, v49, 0, 0
	v_cmp_eq_u64_e64 s[20:21], v[48:49], v[44:45]
	v_mov_b32_e32 v16, v15
	v_mov_b32_e32 v15, v14
	s_and_saveexec_b64 s[92:93], s[20:21]
; %bb.1356:                             ;   in Loop: Header=BB4_124 Depth=2
	v_bfe_u32 v15, v14, 20, 1
	v_add_co_u32_e64 v15, s[20:21], v14, v15
	v_add_co_u32_e64 v15, s[20:21], -1, v15
; %bb.1357:                             ;   in Loop: Header=BB4_124 Depth=2
	s_or_b64 exec, exec, s[92:93]
	v_add_u32_e32 v16, 0xffffff81, v29
	v_cndmask_b32_e32 v16, v16, v62, vcc
	v_lshrrev_b32_e32 v29, 23, v14
	v_add3_u32 v50, v50, v16, v29
	v_add_u32_e32 v29, 6, v50
	v_and_b32_e32 v15, 0xfffff, v15
	v_add_u32_e32 v14, v15, v14
	v_mov_b32_e32 v15, v37
	v_cmp_ne_u32_e32 vcc, 0, v29
                                        ; implicit-def: $vgpr16
	s_and_saveexec_b64 s[20:21], vcc
	s_xor_b64 s[20:21], exec, s[20:21]
; %bb.1358:                             ;   in Loop: Header=BB4_124 Depth=2
	v_cmp_lt_u64_e32 vcc, s[60:61], v[14:15]
	v_add_u32_e32 v16, 7, v50
	v_cndmask_b32_e32 v16, v29, v16, vcc
	v_cndmask_b32_e64 v29, 0, 1, vcc
	v_lshrrev_b64 v[14:15], v29, v[14:15]
; %bb.1359:                             ;   in Loop: Header=BB4_124 Depth=2
	s_andn2_saveexec_b64 s[20:21], s[20:21]
; %bb.1360:                             ;   in Loop: Header=BB4_124 Depth=2
	v_bfe_u32 v16, v14, 23, 1
; %bb.1361:                             ;   in Loop: Header=BB4_124 Depth=2
	s_or_b64 exec, exec, s[20:21]
	v_lshrrev_b64 v[14:15], 20, v[14:15]
	v_cmp_gt_i32_e32 vcc, 16, v16
	v_cndmask_b32_e32 v15, 0, v15, vcc
	v_cndmask_b32_e32 v14, 7, v14, vcc
	v_cmp_eq_u64_e64 s[20:21], 0, v[14:15]
	v_min_i32_e32 v15, 15, v16
	v_lshlrev_b32_e32 v15, 3, v15
	v_cmp_eq_u32_e32 vcc, 0, v16
	v_and_b32_e32 v15, 0xf8, v15
	v_and_or_b32 v14, v14, 7, v15
	s_and_b64 s[20:21], vcc, s[20:21]
	v_cndmask_b32_e64 v14, v14, 0, s[20:21]
	v_or_b32_e32 v50, v14, v28
.LBB4_1362:                             ;   in Loop: Header=BB4_124 Depth=2
	s_or_b64 exec, exec, s[90:91]
                                        ; implicit-def: $vgpr28
.LBB4_1363:                             ;   in Loop: Header=BB4_124 Depth=2
	s_andn2_saveexec_b64 s[20:21], s[88:89]
; %bb.1364:                             ;   in Loop: Header=BB4_124 Depth=2
	v_or_b32_e32 v50, 0x7e, v28
; %bb.1365:                             ;   in Loop: Header=BB4_124 Depth=2
	s_or_b64 exec, exec, s[20:21]
                                        ; implicit-def: $vgpr14
.LBB4_1366:                             ;   in Loop: Header=BB4_124 Depth=2
	s_andn2_saveexec_b64 s[20:21], s[78:79]
; %bb.1367:                             ;   in Loop: Header=BB4_124 Depth=2
	v_or_b32_sdwa v50, v14, s51 dst_sel:DWORD dst_unused:UNUSED_PAD src0_sel:BYTE_3 src1_sel:DWORD
; %bb.1368:                             ;   in Loop: Header=BB4_124 Depth=2
	s_or_b64 exec, exec, s[20:21]
	v_cmp_lt_u32_e32 vcc, s63, v36
	v_mov_b32_e32 v15, 0
	v_mov_b32_e32 v16, 0
	s_and_saveexec_b64 s[20:21], vcc
	s_cbranch_execz .LBB4_1374
; %bb.1369:                             ;   in Loop: Header=BB4_124 Depth=2
	v_lshrrev_b32_e32 v14, 24, v36
	v_cmp_ne_u32_sdwa s[88:89], v36, s53 src0_sel:BYTE_3 src1_sel:DWORD
	v_bfrev_b32_e32 v16, 1
	s_and_saveexec_b64 s[78:79], s[88:89]
	s_cbranch_execz .LBB4_1373
; %bb.1370:                             ;   in Loop: Header=BB4_124 Depth=2
	v_bfe_u32 v28, v36, 24, 7
	v_cmp_ne_u32_e32 vcc, s51, v28
	v_mov_b32_e32 v16, 0x7f800001
	s_and_saveexec_b64 s[88:89], vcc
	s_cbranch_execz .LBB4_1372
; %bb.1371:                             ;   in Loop: Header=BB4_124 Depth=2
	v_and_b32_e32 v16, 7, v14
	v_lshrrev_b32_e32 v48, 3, v28
	v_cmp_gt_u32_e32 vcc, 8, v28
	v_ffbh_u32_e32 v28, v16
	v_min_u32_e32 v49, 32, v28
	v_subrev_u32_e32 v28, 28, v49
	v_lshlrev_b64 v[28:29], v28, v[14:15]
	v_sub_u32_e32 v14, 29, v49
	v_and_b32_e32 v28, 7, v28
	v_cndmask_b32_e32 v16, v16, v28, vcc
	v_mov_b32_e32 v28, 24
	v_cndmask_b32_e32 v14, v48, v14, vcc
	v_lshlrev_b32_sdwa v28, v28, v36 dst_sel:DWORD dst_unused:UNUSED_PAD src0_sel:DWORD src1_sel:BYTE_3
	v_lshlrev_b32_e32 v16, 20, v16
	v_and_b32_e32 v28, 0x80000000, v28
	v_lshl_add_u32 v14, v14, 23, v58
	v_or3_b32 v16, v28, v14, v16
.LBB4_1372:                             ;   in Loop: Header=BB4_124 Depth=2
	s_or_b64 exec, exec, s[88:89]
.LBB4_1373:                             ;   in Loop: Header=BB4_124 Depth=2
	s_or_b64 exec, exec, s[78:79]
.LBB4_1374:                             ;   in Loop: Header=BB4_124 Depth=2
	s_or_b64 exec, exec, s[20:21]
	v_cmp_lt_u32_e32 vcc, s63, v10
	s_and_saveexec_b64 s[20:21], vcc
	s_cbranch_execz .LBB4_1380
; %bb.1375:                             ;   in Loop: Header=BB4_124 Depth=2
	v_lshrrev_b32_e32 v14, 24, v10
	v_cmp_ne_u32_e32 vcc, s53, v14
	v_bfrev_b32_e32 v15, 1
	s_and_saveexec_b64 s[78:79], vcc
	s_cbranch_execz .LBB4_1379
; %bb.1376:                             ;   in Loop: Header=BB4_124 Depth=2
	v_bfe_u32 v28, v10, 24, 7
	v_cmp_ne_u32_e32 vcc, s51, v28
	v_mov_b32_e32 v15, 0x7f800001
	s_and_saveexec_b64 s[88:89], vcc
	s_cbranch_execz .LBB4_1378
; %bb.1377:                             ;   in Loop: Header=BB4_124 Depth=2
	v_and_b32_e32 v15, 7, v14
	v_lshrrev_b32_e32 v36, 3, v28
	v_cmp_gt_u32_e32 vcc, 8, v28
	v_ffbh_u32_e32 v28, v15
	v_min_u32_e32 v48, 32, v28
	v_subrev_u32_e32 v28, 28, v48
	v_lshlrev_b64 v[28:29], v28, v[14:15]
	v_sub_u32_e32 v29, 29, v48
	v_and_b32_e32 v28, 7, v28
	v_cndmask_b32_e32 v29, v36, v29, vcc
	v_cndmask_b32_e32 v15, v15, v28, vcc
	v_lshlrev_b32_e32 v14, 24, v14
	v_lshlrev_b32_e32 v15, 20, v15
	v_and_b32_e32 v14, 0x80000000, v14
	v_lshl_add_u32 v28, v29, 23, v58
	v_or3_b32 v15, v14, v28, v15
.LBB4_1378:                             ;   in Loop: Header=BB4_124 Depth=2
	s_or_b64 exec, exec, s[88:89]
.LBB4_1379:                             ;   in Loop: Header=BB4_124 Depth=2
	s_or_b64 exec, exec, s[78:79]
.LBB4_1380:                             ;   in Loop: Header=BB4_124 Depth=2
	s_or_b64 exec, exec, s[20:21]
	v_add_f32_e32 v14, v16, v15
	v_and_b32_e32 v36, 0x7f800000, v14
	v_cmp_ne_u64_e32 vcc, s[56:57], v[36:37]
                                        ; implicit-def: $vgpr53
	s_and_saveexec_b64 s[20:21], vcc
	s_xor_b64 s[78:79], exec, s[20:21]
	s_cbranch_execz .LBB4_1394
; %bb.1381:                             ;   in Loop: Header=BB4_124 Depth=2
	v_and_b32_e32 v36, 0x7fffffff, v14
	v_cmp_gt_u64_e32 vcc, s[58:59], v[36:37]
	v_and_b32_sdwa v28, v14, s53 dst_sel:DWORD dst_unused:UNUSED_PAD src0_sel:BYTE_3 src1_sel:DWORD
                                        ; implicit-def: $vgpr53
	s_and_saveexec_b64 s[20:21], vcc
	s_xor_b64 s[88:89], exec, s[20:21]
	s_cbranch_execz .LBB4_1391
; %bb.1382:                             ;   in Loop: Header=BB4_124 Depth=2
	v_mov_b32_e32 v53, 0
	v_cmp_ne_u32_e32 vcc, 0, v14
	s_and_saveexec_b64 s[90:91], vcc
	s_cbranch_execz .LBB4_1390
; %bb.1383:                             ;   in Loop: Header=BB4_124 Depth=2
	v_bfe_u32 v29, v14, 23, 8
	v_and_b32_e32 v15, 0x7fffff, v14
	v_cmp_gt_u32_e64 s[20:21], s54, v29
	v_sub_u32_e32 v14, 0x79, v29
	v_cmp_eq_u32_e32 vcc, 0, v29
	v_cndmask_b32_e64 v14, 0, v14, s[20:21]
	v_cndmask_b32_e32 v53, v14, v31, vcc
	v_or_b32_e32 v16, 0x800000, v15
	v_add_u32_e32 v14, 20, v53
	v_cndmask_b32_e32 v36, v16, v15, vcc
	v_lshlrev_b64 v[14:15], v14, -1
	v_add_u32_e32 v16, 19, v53
	v_lshlrev_b64 v[48:49], v16, 1
	v_bfi_b32 v15, v15, 0, 0
	v_bfi_b32 v14, v14, 0, v36
	v_cmp_eq_u64_e64 s[20:21], v[14:15], v[48:49]
	v_lshrrev_b64 v[14:15], v53, v[36:37]
	v_mov_b32_e32 v16, v15
	v_mov_b32_e32 v15, v14
	s_and_saveexec_b64 s[92:93], s[20:21]
; %bb.1384:                             ;   in Loop: Header=BB4_124 Depth=2
	v_bfe_u32 v15, v14, 20, 1
	v_add_co_u32_e64 v15, s[20:21], v14, v15
	v_add_co_u32_e64 v15, s[20:21], -1, v15
; %bb.1385:                             ;   in Loop: Header=BB4_124 Depth=2
	s_or_b64 exec, exec, s[92:93]
	v_add_u32_e32 v16, 0xffffff81, v29
	v_cndmask_b32_e32 v16, v16, v62, vcc
	v_lshrrev_b32_e32 v29, 23, v14
	v_add3_u32 v53, v53, v16, v29
	v_add_u32_e32 v29, 6, v53
	v_and_b32_e32 v15, 0xfffff, v15
	v_add_u32_e32 v36, v15, v14
	v_cmp_ne_u32_e32 vcc, 0, v29
                                        ; implicit-def: $vgpr14_vgpr15
                                        ; implicit-def: $vgpr16
	s_and_saveexec_b64 s[20:21], vcc
	s_xor_b64 s[20:21], exec, s[20:21]
; %bb.1386:                             ;   in Loop: Header=BB4_124 Depth=2
	v_cmp_lt_u64_e32 vcc, s[60:61], v[36:37]
	v_add_u32_e32 v14, 7, v53
	v_cndmask_b32_e32 v16, v29, v14, vcc
	v_cndmask_b32_e64 v14, 0, 1, vcc
	v_lshrrev_b64 v[14:15], v14, v[36:37]
; %bb.1387:                             ;   in Loop: Header=BB4_124 Depth=2
	s_andn2_saveexec_b64 s[20:21], s[20:21]
; %bb.1388:                             ;   in Loop: Header=BB4_124 Depth=2
	v_mov_b32_e32 v14, v36
	v_bfe_u32 v16, v36, 23, 1
	v_mov_b32_e32 v15, v37
; %bb.1389:                             ;   in Loop: Header=BB4_124 Depth=2
	s_or_b64 exec, exec, s[20:21]
	v_lshrrev_b64 v[14:15], 20, v[14:15]
	v_cmp_gt_i32_e32 vcc, 16, v16
	v_cndmask_b32_e32 v15, 0, v15, vcc
	v_cndmask_b32_e32 v14, 7, v14, vcc
	v_cmp_eq_u64_e64 s[20:21], 0, v[14:15]
	v_min_i32_e32 v15, 15, v16
	v_lshlrev_b32_e32 v15, 3, v15
	v_cmp_eq_u32_e32 vcc, 0, v16
	v_and_b32_e32 v15, 0xf8, v15
	v_and_or_b32 v14, v14, 7, v15
	s_and_b64 s[20:21], vcc, s[20:21]
	v_cndmask_b32_e64 v14, v14, 0, s[20:21]
	v_or_b32_e32 v53, v14, v28
.LBB4_1390:                             ;   in Loop: Header=BB4_124 Depth=2
	s_or_b64 exec, exec, s[90:91]
                                        ; implicit-def: $vgpr28
.LBB4_1391:                             ;   in Loop: Header=BB4_124 Depth=2
	s_andn2_saveexec_b64 s[20:21], s[88:89]
; %bb.1392:                             ;   in Loop: Header=BB4_124 Depth=2
	v_or_b32_e32 v53, 0x7e, v28
; %bb.1393:                             ;   in Loop: Header=BB4_124 Depth=2
	s_or_b64 exec, exec, s[20:21]
                                        ; implicit-def: $vgpr14
.LBB4_1394:                             ;   in Loop: Header=BB4_124 Depth=2
	s_andn2_saveexec_b64 s[20:21], s[78:79]
; %bb.1395:                             ;   in Loop: Header=BB4_124 Depth=2
	v_or_b32_sdwa v53, v14, s51 dst_sel:DWORD dst_unused:UNUSED_PAD src0_sel:BYTE_3 src1_sel:DWORD
; %bb.1396:                             ;   in Loop: Header=BB4_124 Depth=2
	s_or_b64 exec, exec, s[20:21]
	v_lshl_or_b32 v24, v24, 8, v7
	v_lshlrev_b32_e32 v14, 16, v35
	v_lshlrev_b32_e32 v15, 24, v51
	v_or3_b32 v36, v14, v15, v24
	v_cmp_ne_u32_e32 vcc, 0, v7
	v_mov_b32_e32 v15, 0
	v_mov_b32_e32 v14, 0
	s_and_saveexec_b64 s[20:21], vcc
	s_cbranch_execz .LBB4_1402
; %bb.1397:                             ;   in Loop: Header=BB4_124 Depth=2
	v_cmp_ne_u32_e32 vcc, s53, v7
	v_bfrev_b32_e32 v14, 1
	s_and_saveexec_b64 s[78:79], vcc
	s_cbranch_execz .LBB4_1401
; %bb.1398:                             ;   in Loop: Header=BB4_124 Depth=2
	v_and_b32_e32 v16, 0x7f, v7
	v_cmp_ne_u32_e32 vcc, s51, v16
	v_mov_b32_e32 v14, 0x7f800001
	s_and_saveexec_b64 s[88:89], vcc
	s_cbranch_execz .LBB4_1400
; %bb.1399:                             ;   in Loop: Header=BB4_124 Depth=2
	v_and_b32_e32 v7, 7, v7
	v_ffbh_u32_e32 v7, v7
	v_min_u32_e32 v7, 32, v7
	v_lshrrev_b32_e32 v14, 3, v16
	v_cmp_gt_u32_e32 vcc, 8, v16
	v_subrev_u32_e32 v16, 28, v7
	v_sub_u32_e32 v7, 29, v7
	v_cndmask_b32_e32 v7, v14, v7, vcc
	v_cndmask_b32_e32 v14, 0, v16, vcc
	v_lshlrev_b64 v[28:29], v14, v[36:37]
	v_lshlrev_b32_e32 v16, 24, v36
	v_lshlrev_b32_e32 v14, 20, v28
	v_and_b32_e32 v14, 0x700000, v14
	v_and_b32_e32 v16, 0x80000000, v16
	v_lshl_add_u32 v7, v7, 23, v58
	v_or3_b32 v14, v16, v7, v14
.LBB4_1400:                             ;   in Loop: Header=BB4_124 Depth=2
	s_or_b64 exec, exec, s[88:89]
.LBB4_1401:                             ;   in Loop: Header=BB4_124 Depth=2
	s_or_b64 exec, exec, s[78:79]
.LBB4_1402:                             ;   in Loop: Header=BB4_124 Depth=2
	s_or_b64 exec, exec, s[20:21]
	v_cmp_ne_u16_sdwa s[78:79], v11, v37 src0_sel:BYTE_0 src1_sel:DWORD
	s_and_saveexec_b64 s[20:21], s[78:79]
	s_cbranch_execz .LBB4_1408
; %bb.1403:                             ;   in Loop: Header=BB4_124 Depth=2
	v_cmp_ne_u16_sdwa s[88:89], v11, s53 src0_sel:BYTE_0 src1_sel:DWORD
	v_bfrev_b32_e32 v15, 1
	s_and_saveexec_b64 s[78:79], s[88:89]
	s_cbranch_execz .LBB4_1407
; %bb.1404:                             ;   in Loop: Header=BB4_124 Depth=2
	v_and_b32_e32 v7, 0x7f, v11
	v_cmp_ne_u32_e32 vcc, s51, v7
	v_mov_b32_e32 v15, 0x7f800001
	s_and_saveexec_b64 s[88:89], vcc
	s_cbranch_execz .LBB4_1406
; %bb.1405:                             ;   in Loop: Header=BB4_124 Depth=2
	v_and_b32_e32 v28, 7, v11
	v_lshrrev_b32_e32 v29, 3, v7
	v_cmp_gt_u32_e32 vcc, 8, v7
	v_ffbh_u32_e32 v7, v28
	v_min_u32_e32 v7, 32, v7
	v_subrev_u32_e32 v28, 28, v7
	v_mov_b32_e32 v15, v11
	v_mov_b32_e32 v16, v37
	v_sub_u32_e32 v7, 29, v7
	v_cndmask_b32_e32 v28, 0, v28, vcc
	v_cndmask_b32_e32 v7, v29, v7, vcc
	v_lshlrev_b64 v[28:29], v28, v[15:16]
	v_lshlrev_b32_e32 v15, 24, v15
	v_lshlrev_b32_e32 v16, 20, v28
	v_and_b32_e32 v16, 0x700000, v16
	v_and_b32_e32 v15, 0x80000000, v15
	v_lshl_add_u32 v7, v7, 23, v58
	v_or3_b32 v15, v15, v7, v16
.LBB4_1406:                             ;   in Loop: Header=BB4_124 Depth=2
	s_or_b64 exec, exec, s[88:89]
.LBB4_1407:                             ;   in Loop: Header=BB4_124 Depth=2
	s_or_b64 exec, exec, s[78:79]
.LBB4_1408:                             ;   in Loop: Header=BB4_124 Depth=2
	s_or_b64 exec, exec, s[20:21]
	v_add_f32_e32 v14, v14, v15
	v_and_b32_e32 v15, 0x7f800000, v14
	v_mov_b32_e32 v16, v37
	v_cmp_ne_u64_e32 vcc, s[56:57], v[15:16]
                                        ; implicit-def: $vgpr7
	s_and_saveexec_b64 s[20:21], vcc
	s_xor_b64 s[78:79], exec, s[20:21]
	s_cbranch_execz .LBB4_1422
; %bb.1409:                             ;   in Loop: Header=BB4_124 Depth=2
	v_and_b32_e32 v15, 0x7fffffff, v14
	v_mov_b32_e32 v16, v37
	v_cmp_gt_u64_e32 vcc, s[58:59], v[15:16]
	v_and_b32_sdwa v28, v14, s53 dst_sel:DWORD dst_unused:UNUSED_PAD src0_sel:BYTE_3 src1_sel:DWORD
                                        ; implicit-def: $vgpr7
	s_and_saveexec_b64 s[20:21], vcc
	s_xor_b64 s[88:89], exec, s[20:21]
	s_cbranch_execz .LBB4_1419
; %bb.1410:                             ;   in Loop: Header=BB4_124 Depth=2
	v_mov_b32_e32 v7, 0
	v_cmp_ne_u32_e32 vcc, 0, v14
	s_and_saveexec_b64 s[90:91], vcc
	s_cbranch_execz .LBB4_1418
; %bb.1411:                             ;   in Loop: Header=BB4_124 Depth=2
	v_bfe_u32 v7, v14, 23, 8
	v_and_b32_e32 v15, 0x7fffff, v14
	v_cmp_gt_u32_e64 s[20:21], s54, v7
	v_sub_u32_e32 v14, 0x79, v7
	v_cmp_eq_u32_e32 vcc, 0, v7
	v_cndmask_b32_e64 v14, 0, v14, s[20:21]
	v_or_b32_e32 v16, 0x800000, v15
	v_cndmask_b32_e32 v29, v14, v31, vcc
	v_cndmask_b32_e32 v14, v16, v15, vcc
	v_add_u32_e32 v16, 20, v29
	v_lshlrev_b64 v[48:49], v16, -1
	v_mov_b32_e32 v15, v37
	v_add_u32_e32 v16, 19, v29
	v_bfi_b32 v48, v48, 0, v14
	v_lshlrev_b64 v[44:45], v16, 1
	v_lshrrev_b64 v[14:15], v29, v[14:15]
	v_bfi_b32 v49, v49, 0, 0
	v_cmp_eq_u64_e64 s[20:21], v[48:49], v[44:45]
	v_mov_b32_e32 v16, v15
	v_mov_b32_e32 v15, v14
	s_and_saveexec_b64 s[92:93], s[20:21]
; %bb.1412:                             ;   in Loop: Header=BB4_124 Depth=2
	v_bfe_u32 v15, v14, 20, 1
	v_add_co_u32_e64 v15, s[20:21], v14, v15
	v_add_co_u32_e64 v15, s[20:21], -1, v15
; %bb.1413:                             ;   in Loop: Header=BB4_124 Depth=2
	s_or_b64 exec, exec, s[92:93]
	v_add_u32_e32 v7, 0xffffff81, v7
	v_cndmask_b32_e32 v7, v7, v62, vcc
	v_lshrrev_b32_e32 v16, 23, v14
	v_add3_u32 v29, v29, v7, v16
	v_add_u32_e32 v16, 6, v29
	v_and_b32_e32 v7, 0xfffff, v15
	v_add_u32_e32 v14, v7, v14
	v_mov_b32_e32 v15, v37
	v_cmp_ne_u32_e32 vcc, 0, v16
                                        ; implicit-def: $vgpr7
	s_and_saveexec_b64 s[20:21], vcc
	s_xor_b64 s[20:21], exec, s[20:21]
; %bb.1414:                             ;   in Loop: Header=BB4_124 Depth=2
	v_cmp_lt_u64_e32 vcc, s[60:61], v[14:15]
	v_add_u32_e32 v7, 7, v29
	v_cndmask_b32_e32 v7, v16, v7, vcc
	v_cndmask_b32_e64 v16, 0, 1, vcc
	v_lshrrev_b64 v[14:15], v16, v[14:15]
; %bb.1415:                             ;   in Loop: Header=BB4_124 Depth=2
	s_andn2_saveexec_b64 s[20:21], s[20:21]
; %bb.1416:                             ;   in Loop: Header=BB4_124 Depth=2
	v_bfe_u32 v7, v14, 23, 1
; %bb.1417:                             ;   in Loop: Header=BB4_124 Depth=2
	s_or_b64 exec, exec, s[20:21]
	v_lshrrev_b64 v[14:15], 20, v[14:15]
	v_cmp_gt_i32_e32 vcc, 16, v7
	v_cndmask_b32_e32 v15, 0, v15, vcc
	v_cndmask_b32_e32 v14, 7, v14, vcc
	v_cmp_eq_u32_e32 vcc, 0, v7
	v_min_i32_e32 v7, 15, v7
	v_cmp_eq_u64_e64 s[20:21], 0, v[14:15]
	v_lshlrev_b32_e32 v7, 3, v7
	v_and_b32_e32 v7, 0xf8, v7
	v_and_or_b32 v7, v14, 7, v7
	s_and_b64 s[20:21], vcc, s[20:21]
	v_cndmask_b32_e64 v7, v7, 0, s[20:21]
	v_or_b32_e32 v7, v7, v28
.LBB4_1418:                             ;   in Loop: Header=BB4_124 Depth=2
	s_or_b64 exec, exec, s[90:91]
                                        ; implicit-def: $vgpr28
.LBB4_1419:                             ;   in Loop: Header=BB4_124 Depth=2
	s_andn2_saveexec_b64 s[20:21], s[88:89]
; %bb.1420:                             ;   in Loop: Header=BB4_124 Depth=2
	v_or_b32_e32 v7, 0x7e, v28
; %bb.1421:                             ;   in Loop: Header=BB4_124 Depth=2
	s_or_b64 exec, exec, s[20:21]
                                        ; implicit-def: $vgpr14
.LBB4_1422:                             ;   in Loop: Header=BB4_124 Depth=2
	s_andn2_saveexec_b64 s[20:21], s[78:79]
; %bb.1423:                             ;   in Loop: Header=BB4_124 Depth=2
	v_or_b32_sdwa v7, v14, s51 dst_sel:DWORD dst_unused:UNUSED_PAD src0_sel:BYTE_3 src1_sel:DWORD
; %bb.1424:                             ;   in Loop: Header=BB4_124 Depth=2
	s_or_b64 exec, exec, s[20:21]
	v_lshrrev_b16_e32 v14, 8, v24
	v_cmp_ne_u16_e32 vcc, 0, v14
	v_mov_b32_e32 v15, 0
	v_mov_b32_e32 v16, 0
	s_and_saveexec_b64 s[20:21], vcc
	s_cbranch_execz .LBB4_1430
; %bb.1425:                             ;   in Loop: Header=BB4_124 Depth=2
	v_cmp_ne_u16_e32 vcc, s53, v14
	v_bfrev_b32_e32 v16, 1
	s_and_saveexec_b64 s[78:79], vcc
	s_cbranch_execz .LBB4_1429
; %bb.1426:                             ;   in Loop: Header=BB4_124 Depth=2
	v_and_b32_e32 v28, 0x7f, v14
	v_cmp_ne_u32_e32 vcc, s51, v28
	v_mov_b32_e32 v16, 0x7f800001
	s_and_saveexec_b64 s[88:89], vcc
	s_cbranch_execz .LBB4_1428
; %bb.1427:                             ;   in Loop: Header=BB4_124 Depth=2
	v_and_b32_e32 v16, 7, v14
	v_lshrrev_b32_e32 v35, 3, v28
	v_cmp_gt_u32_e32 vcc, 8, v28
	v_ffbh_u32_e32 v28, v16
	v_min_u32_e32 v48, 32, v28
	v_subrev_u32_e32 v28, 28, v48
	v_lshlrev_b64 v[28:29], v28, v[14:15]
	v_sub_u32_e32 v14, 29, v48
	v_and_b32_e32 v28, 7, v28
	v_cndmask_b32_e32 v14, v35, v14, vcc
	v_cndmask_b32_e32 v16, v16, v28, vcc
	v_lshlrev_b32_e32 v24, 16, v24
	v_lshlrev_b32_e32 v16, 20, v16
	v_and_b32_e32 v24, 0x80000000, v24
	v_lshl_add_u32 v14, v14, 23, v58
	v_or3_b32 v16, v24, v14, v16
.LBB4_1428:                             ;   in Loop: Header=BB4_124 Depth=2
	s_or_b64 exec, exec, s[88:89]
.LBB4_1429:                             ;   in Loop: Header=BB4_124 Depth=2
	s_or_b64 exec, exec, s[78:79]
.LBB4_1430:                             ;   in Loop: Header=BB4_124 Depth=2
	s_or_b64 exec, exec, s[20:21]
	v_lshrrev_b16_e32 v14, 8, v11
	v_cmp_ne_u16_e32 vcc, 0, v14
	s_and_saveexec_b64 s[20:21], vcc
	s_cbranch_execz .LBB4_1436
; %bb.1431:                             ;   in Loop: Header=BB4_124 Depth=2
	v_cmp_ne_u16_e32 vcc, s53, v14
	v_bfrev_b32_e32 v15, 1
	s_and_saveexec_b64 s[78:79], vcc
	s_cbranch_execz .LBB4_1435
; %bb.1432:                             ;   in Loop: Header=BB4_124 Depth=2
	v_and_b32_e32 v24, 0x7f, v14
	v_cmp_ne_u32_e32 vcc, s51, v24
	v_mov_b32_e32 v15, 0x7f800001
	s_and_saveexec_b64 s[88:89], vcc
	s_cbranch_execz .LBB4_1434
; %bb.1433:                             ;   in Loop: Header=BB4_124 Depth=2
	v_and_b32_e32 v28, 7, v14
	v_ffbh_u32_e32 v15, v28
	v_lshrrev_b32_e32 v29, 3, v24
	v_cmp_gt_u32_e32 vcc, 8, v24
	v_min_u32_e32 v24, 32, v15
	v_subrev_u32_e32 v15, 28, v24
	v_lshlrev_b64 v[14:15], v15, v[14:15]
	v_sub_u32_e32 v15, 29, v24
	v_and_b32_e32 v14, 7, v14
	v_cndmask_b32_e32 v15, v29, v15, vcc
	v_cndmask_b32_e32 v14, v28, v14, vcc
	v_lshlrev_b32_e32 v24, 16, v11
	v_lshlrev_b32_e32 v14, 20, v14
	v_and_b32_e32 v24, 0x80000000, v24
	v_lshl_add_u32 v15, v15, 23, v58
	v_or3_b32 v15, v24, v15, v14
.LBB4_1434:                             ;   in Loop: Header=BB4_124 Depth=2
	s_or_b64 exec, exec, s[88:89]
.LBB4_1435:                             ;   in Loop: Header=BB4_124 Depth=2
	s_or_b64 exec, exec, s[78:79]
.LBB4_1436:                             ;   in Loop: Header=BB4_124 Depth=2
	s_or_b64 exec, exec, s[20:21]
	v_add_f32_e32 v14, v16, v15
	v_and_b32_e32 v15, 0x7f800000, v14
	v_mov_b32_e32 v16, v37
	v_cmp_ne_u64_e32 vcc, s[56:57], v[15:16]
                                        ; implicit-def: $vgpr24
	s_and_saveexec_b64 s[20:21], vcc
	s_xor_b64 s[78:79], exec, s[20:21]
	s_cbranch_execz .LBB4_1450
; %bb.1437:                             ;   in Loop: Header=BB4_124 Depth=2
	v_and_b32_e32 v15, 0x7fffffff, v14
	v_mov_b32_e32 v16, v37
	v_cmp_gt_u64_e32 vcc, s[58:59], v[15:16]
	v_and_b32_sdwa v28, v14, s53 dst_sel:DWORD dst_unused:UNUSED_PAD src0_sel:BYTE_3 src1_sel:DWORD
                                        ; implicit-def: $vgpr24
	s_and_saveexec_b64 s[20:21], vcc
	s_xor_b64 s[88:89], exec, s[20:21]
	s_cbranch_execz .LBB4_1447
; %bb.1438:                             ;   in Loop: Header=BB4_124 Depth=2
	v_mov_b32_e32 v24, 0
	v_cmp_ne_u32_e32 vcc, 0, v14
	s_and_saveexec_b64 s[90:91], vcc
	s_cbranch_execz .LBB4_1446
; %bb.1439:                             ;   in Loop: Header=BB4_124 Depth=2
	v_bfe_u32 v24, v14, 23, 8
	v_and_b32_e32 v15, 0x7fffff, v14
	v_cmp_gt_u32_e64 s[20:21], s54, v24
	v_sub_u32_e32 v14, 0x79, v24
	v_cmp_eq_u32_e32 vcc, 0, v24
	v_cndmask_b32_e64 v14, 0, v14, s[20:21]
	v_or_b32_e32 v16, 0x800000, v15
	v_cndmask_b32_e32 v29, v14, v31, vcc
	v_cndmask_b32_e32 v14, v16, v15, vcc
	v_add_u32_e32 v16, 20, v29
	v_lshlrev_b64 v[48:49], v16, -1
	v_mov_b32_e32 v15, v37
	v_add_u32_e32 v16, 19, v29
	v_bfi_b32 v48, v48, 0, v14
	v_lshlrev_b64 v[44:45], v16, 1
	v_lshrrev_b64 v[14:15], v29, v[14:15]
	v_bfi_b32 v49, v49, 0, 0
	v_cmp_eq_u64_e64 s[20:21], v[48:49], v[44:45]
	v_mov_b32_e32 v16, v15
	v_mov_b32_e32 v15, v14
	s_and_saveexec_b64 s[92:93], s[20:21]
; %bb.1440:                             ;   in Loop: Header=BB4_124 Depth=2
	v_bfe_u32 v15, v14, 20, 1
	v_add_co_u32_e64 v15, s[20:21], v14, v15
	v_add_co_u32_e64 v15, s[20:21], -1, v15
; %bb.1441:                             ;   in Loop: Header=BB4_124 Depth=2
	s_or_b64 exec, exec, s[92:93]
	v_add_u32_e32 v16, 0xffffff81, v24
	v_cndmask_b32_e32 v16, v16, v62, vcc
	v_lshrrev_b32_e32 v24, 23, v14
	v_add3_u32 v29, v29, v16, v24
	v_add_u32_e32 v24, 6, v29
	v_and_b32_e32 v15, 0xfffff, v15
	v_add_u32_e32 v14, v15, v14
	v_mov_b32_e32 v15, v37
	v_cmp_ne_u32_e32 vcc, 0, v24
                                        ; implicit-def: $vgpr16
	s_and_saveexec_b64 s[20:21], vcc
	s_xor_b64 s[20:21], exec, s[20:21]
; %bb.1442:                             ;   in Loop: Header=BB4_124 Depth=2
	v_cmp_lt_u64_e32 vcc, s[60:61], v[14:15]
	v_add_u32_e32 v16, 7, v29
	v_cndmask_b32_e32 v16, v24, v16, vcc
	v_cndmask_b32_e64 v24, 0, 1, vcc
	v_lshrrev_b64 v[14:15], v24, v[14:15]
; %bb.1443:                             ;   in Loop: Header=BB4_124 Depth=2
	s_andn2_saveexec_b64 s[20:21], s[20:21]
; %bb.1444:                             ;   in Loop: Header=BB4_124 Depth=2
	v_bfe_u32 v16, v14, 23, 1
; %bb.1445:                             ;   in Loop: Header=BB4_124 Depth=2
	s_or_b64 exec, exec, s[20:21]
	v_lshrrev_b64 v[14:15], 20, v[14:15]
	v_cmp_gt_i32_e32 vcc, 16, v16
	v_cndmask_b32_e32 v15, 0, v15, vcc
	v_cndmask_b32_e32 v14, 7, v14, vcc
	v_cmp_eq_u64_e64 s[20:21], 0, v[14:15]
	v_min_i32_e32 v15, 15, v16
	v_lshlrev_b32_e32 v15, 3, v15
	v_cmp_eq_u32_e32 vcc, 0, v16
	v_and_b32_e32 v15, 0xf8, v15
	v_and_or_b32 v14, v14, 7, v15
	s_and_b64 s[20:21], vcc, s[20:21]
	v_cndmask_b32_e64 v14, v14, 0, s[20:21]
	v_or_b32_e32 v24, v14, v28
.LBB4_1446:                             ;   in Loop: Header=BB4_124 Depth=2
	s_or_b64 exec, exec, s[90:91]
                                        ; implicit-def: $vgpr28
.LBB4_1447:                             ;   in Loop: Header=BB4_124 Depth=2
	s_andn2_saveexec_b64 s[20:21], s[88:89]
; %bb.1448:                             ;   in Loop: Header=BB4_124 Depth=2
	v_or_b32_e32 v24, 0x7e, v28
; %bb.1449:                             ;   in Loop: Header=BB4_124 Depth=2
	s_or_b64 exec, exec, s[20:21]
                                        ; implicit-def: $vgpr14
.LBB4_1450:                             ;   in Loop: Header=BB4_124 Depth=2
	s_andn2_saveexec_b64 s[20:21], s[78:79]
; %bb.1451:                             ;   in Loop: Header=BB4_124 Depth=2
	v_or_b32_sdwa v24, v14, s51 dst_sel:DWORD dst_unused:UNUSED_PAD src0_sel:BYTE_3 src1_sel:DWORD
; %bb.1452:                             ;   in Loop: Header=BB4_124 Depth=2
	s_or_b64 exec, exec, s[20:21]
	v_lshrrev_b32_e32 v14, 16, v36
	v_cmp_ne_u16_sdwa s[78:79], v14, v37 src0_sel:BYTE_0 src1_sel:DWORD
	v_mov_b32_e32 v15, 0
	v_mov_b32_e32 v16, 0
	s_and_saveexec_b64 s[20:21], s[78:79]
	s_cbranch_execz .LBB4_1458
; %bb.1453:                             ;   in Loop: Header=BB4_124 Depth=2
	v_cmp_ne_u16_sdwa s[88:89], v14, s53 src0_sel:BYTE_0 src1_sel:DWORD
	v_bfrev_b32_e32 v16, 1
	s_and_saveexec_b64 s[78:79], s[88:89]
	s_cbranch_execz .LBB4_1457
; %bb.1454:                             ;   in Loop: Header=BB4_124 Depth=2
	v_bfe_u32 v28, v36, 16, 7
	v_cmp_ne_u32_e32 vcc, s51, v28
	v_mov_b32_e32 v16, 0x7f800001
	s_and_saveexec_b64 s[88:89], vcc
	s_cbranch_execz .LBB4_1456
; %bb.1455:                             ;   in Loop: Header=BB4_124 Depth=2
	v_and_b32_e32 v16, 7, v14
	v_lshrrev_b32_e32 v35, 3, v28
	v_cmp_gt_u32_e32 vcc, 8, v28
	v_ffbh_u32_e32 v28, v16
	v_min_u32_e32 v48, 32, v28
	v_subrev_u32_e32 v28, 28, v48
	v_lshlrev_b64 v[28:29], v28, v[14:15]
	v_sub_u32_e32 v29, 29, v48
	v_and_b32_e32 v28, 7, v28
	v_cndmask_b32_e32 v29, v35, v29, vcc
	v_cndmask_b32_e32 v16, v16, v28, vcc
	v_lshlrev_b32_e32 v14, 24, v14
	v_lshlrev_b32_e32 v16, 20, v16
	v_and_b32_e32 v14, 0x80000000, v14
	v_lshl_add_u32 v28, v29, 23, v58
	v_or3_b32 v16, v14, v28, v16
.LBB4_1456:                             ;   in Loop: Header=BB4_124 Depth=2
	s_or_b64 exec, exec, s[88:89]
.LBB4_1457:                             ;   in Loop: Header=BB4_124 Depth=2
	s_or_b64 exec, exec, s[78:79]
.LBB4_1458:                             ;   in Loop: Header=BB4_124 Depth=2
	s_or_b64 exec, exec, s[20:21]
	v_lshrrev_b32_e32 v14, 16, v11
	v_cmp_ne_u16_sdwa s[78:79], v14, v37 src0_sel:BYTE_0 src1_sel:DWORD
	s_and_saveexec_b64 s[20:21], s[78:79]
	s_cbranch_execz .LBB4_1464
; %bb.1459:                             ;   in Loop: Header=BB4_124 Depth=2
	v_cmp_ne_u16_sdwa s[88:89], v14, s53 src0_sel:BYTE_0 src1_sel:DWORD
	v_bfrev_b32_e32 v15, 1
	s_and_saveexec_b64 s[78:79], s[88:89]
	s_cbranch_execz .LBB4_1463
; %bb.1460:                             ;   in Loop: Header=BB4_124 Depth=2
	v_bfe_u32 v28, v11, 16, 7
	v_cmp_ne_u32_e32 vcc, s51, v28
	v_mov_b32_e32 v15, 0x7f800001
	s_and_saveexec_b64 s[88:89], vcc
	s_cbranch_execz .LBB4_1462
; %bb.1461:                             ;   in Loop: Header=BB4_124 Depth=2
	v_and_b32_e32 v29, 7, v14
	v_ffbh_u32_e32 v15, v29
	v_lshrrev_b32_e32 v35, 3, v28
	v_cmp_gt_u32_e32 vcc, 8, v28
	v_min_u32_e32 v28, 32, v15
	v_subrev_u32_e32 v15, 28, v28
	v_lshlrev_b64 v[14:15], v15, v[14:15]
	v_sub_u32_e32 v15, 29, v28
	v_and_b32_e32 v14, 7, v14
	v_cndmask_b32_e32 v15, v35, v15, vcc
	v_cndmask_b32_e32 v14, v29, v14, vcc
	v_lshlrev_b32_e32 v28, 8, v11
	v_lshlrev_b32_e32 v14, 20, v14
	v_and_b32_e32 v28, 0x80000000, v28
	v_lshl_add_u32 v15, v15, 23, v58
	v_or3_b32 v15, v28, v15, v14
.LBB4_1462:                             ;   in Loop: Header=BB4_124 Depth=2
	s_or_b64 exec, exec, s[88:89]
.LBB4_1463:                             ;   in Loop: Header=BB4_124 Depth=2
	s_or_b64 exec, exec, s[78:79]
.LBB4_1464:                             ;   in Loop: Header=BB4_124 Depth=2
	s_or_b64 exec, exec, s[20:21]
	v_add_f32_e32 v14, v16, v15
	v_and_b32_e32 v15, 0x7f800000, v14
	v_mov_b32_e32 v16, v37
	v_cmp_ne_u64_e32 vcc, s[56:57], v[15:16]
                                        ; implicit-def: $vgpr16
	s_and_saveexec_b64 s[20:21], vcc
	s_xor_b64 s[78:79], exec, s[20:21]
	s_cbranch_execz .LBB4_1478
; %bb.1465:                             ;   in Loop: Header=BB4_124 Depth=2
	v_and_b32_e32 v15, 0x7fffffff, v14
	v_mov_b32_e32 v16, v37
	v_cmp_gt_u64_e32 vcc, s[58:59], v[15:16]
	v_and_b32_sdwa v28, v14, s53 dst_sel:DWORD dst_unused:UNUSED_PAD src0_sel:BYTE_3 src1_sel:DWORD
                                        ; implicit-def: $vgpr16
	s_and_saveexec_b64 s[20:21], vcc
	s_xor_b64 s[88:89], exec, s[20:21]
	s_cbranch_execz .LBB4_1475
; %bb.1466:                             ;   in Loop: Header=BB4_124 Depth=2
	v_mov_b32_e32 v16, 0
	v_cmp_ne_u32_e32 vcc, 0, v14
	s_and_saveexec_b64 s[90:91], vcc
	s_cbranch_execz .LBB4_1474
; %bb.1467:                             ;   in Loop: Header=BB4_124 Depth=2
	v_bfe_u32 v29, v14, 23, 8
	v_and_b32_e32 v15, 0x7fffff, v14
	v_cmp_gt_u32_e64 s[20:21], s54, v29
	v_sub_u32_e32 v14, 0x79, v29
	v_cmp_eq_u32_e32 vcc, 0, v29
	v_cndmask_b32_e64 v14, 0, v14, s[20:21]
	v_or_b32_e32 v16, 0x800000, v15
	v_cndmask_b32_e32 v35, v14, v31, vcc
	v_cndmask_b32_e32 v14, v16, v15, vcc
	v_add_u32_e32 v16, 20, v35
	v_lshlrev_b64 v[48:49], v16, -1
	v_mov_b32_e32 v15, v37
	v_add_u32_e32 v16, 19, v35
	v_bfi_b32 v48, v48, 0, v14
	v_lshlrev_b64 v[44:45], v16, 1
	v_lshrrev_b64 v[14:15], v35, v[14:15]
	v_bfi_b32 v49, v49, 0, 0
	v_cmp_eq_u64_e64 s[20:21], v[48:49], v[44:45]
	v_mov_b32_e32 v16, v15
	v_mov_b32_e32 v15, v14
	s_and_saveexec_b64 s[92:93], s[20:21]
; %bb.1468:                             ;   in Loop: Header=BB4_124 Depth=2
	v_bfe_u32 v15, v14, 20, 1
	v_add_co_u32_e64 v15, s[20:21], v14, v15
	v_add_co_u32_e64 v15, s[20:21], -1, v15
; %bb.1469:                             ;   in Loop: Header=BB4_124 Depth=2
	s_or_b64 exec, exec, s[92:93]
	v_add_u32_e32 v16, 0xffffff81, v29
	v_cndmask_b32_e32 v16, v16, v62, vcc
	v_lshrrev_b32_e32 v29, 23, v14
	v_add3_u32 v35, v35, v16, v29
	v_add_u32_e32 v29, 6, v35
	v_and_b32_e32 v15, 0xfffff, v15
	v_add_u32_e32 v14, v15, v14
	v_mov_b32_e32 v15, v37
	v_cmp_ne_u32_e32 vcc, 0, v29
                                        ; implicit-def: $vgpr16
	s_and_saveexec_b64 s[20:21], vcc
	s_xor_b64 s[20:21], exec, s[20:21]
; %bb.1470:                             ;   in Loop: Header=BB4_124 Depth=2
	v_cmp_lt_u64_e32 vcc, s[60:61], v[14:15]
	v_add_u32_e32 v16, 7, v35
	v_cndmask_b32_e32 v16, v29, v16, vcc
	v_cndmask_b32_e64 v29, 0, 1, vcc
	v_lshrrev_b64 v[14:15], v29, v[14:15]
; %bb.1471:                             ;   in Loop: Header=BB4_124 Depth=2
	s_andn2_saveexec_b64 s[20:21], s[20:21]
; %bb.1472:                             ;   in Loop: Header=BB4_124 Depth=2
	v_bfe_u32 v16, v14, 23, 1
; %bb.1473:                             ;   in Loop: Header=BB4_124 Depth=2
	s_or_b64 exec, exec, s[20:21]
	v_lshrrev_b64 v[14:15], 20, v[14:15]
	v_cmp_gt_i32_e32 vcc, 16, v16
	v_cndmask_b32_e32 v15, 0, v15, vcc
	v_cndmask_b32_e32 v14, 7, v14, vcc
	v_cmp_eq_u64_e64 s[20:21], 0, v[14:15]
	v_min_i32_e32 v15, 15, v16
	v_lshlrev_b32_e32 v15, 3, v15
	v_cmp_eq_u32_e32 vcc, 0, v16
	v_and_b32_e32 v15, 0xf8, v15
	v_and_or_b32 v14, v14, 7, v15
	s_and_b64 s[20:21], vcc, s[20:21]
	v_cndmask_b32_e64 v14, v14, 0, s[20:21]
	v_or_b32_e32 v16, v14, v28
.LBB4_1474:                             ;   in Loop: Header=BB4_124 Depth=2
	s_or_b64 exec, exec, s[90:91]
                                        ; implicit-def: $vgpr28
.LBB4_1475:                             ;   in Loop: Header=BB4_124 Depth=2
	s_andn2_saveexec_b64 s[20:21], s[88:89]
; %bb.1476:                             ;   in Loop: Header=BB4_124 Depth=2
	v_or_b32_e32 v16, 0x7e, v28
; %bb.1477:                             ;   in Loop: Header=BB4_124 Depth=2
	s_or_b64 exec, exec, s[20:21]
                                        ; implicit-def: $vgpr14
.LBB4_1478:                             ;   in Loop: Header=BB4_124 Depth=2
	s_andn2_saveexec_b64 s[20:21], s[78:79]
; %bb.1479:                             ;   in Loop: Header=BB4_124 Depth=2
	v_or_b32_sdwa v16, v14, s51 dst_sel:DWORD dst_unused:UNUSED_PAD src0_sel:BYTE_3 src1_sel:DWORD
; %bb.1480:                             ;   in Loop: Header=BB4_124 Depth=2
	s_or_b64 exec, exec, s[20:21]
	v_cmp_lt_u32_e32 vcc, s63, v36
	v_mov_b32_e32 v15, 0
	v_mov_b32_e32 v28, 0
	s_and_saveexec_b64 s[20:21], vcc
	s_cbranch_execz .LBB4_1486
; %bb.1481:                             ;   in Loop: Header=BB4_124 Depth=2
	v_lshrrev_b32_e32 v14, 24, v36
	v_cmp_ne_u32_sdwa s[88:89], v36, s53 src0_sel:BYTE_3 src1_sel:DWORD
	v_bfrev_b32_e32 v28, 1
	s_and_saveexec_b64 s[78:79], s[88:89]
	s_cbranch_execz .LBB4_1485
; %bb.1482:                             ;   in Loop: Header=BB4_124 Depth=2
	v_bfe_u32 v29, v36, 24, 7
	v_cmp_ne_u32_e32 vcc, s51, v29
	v_mov_b32_e32 v28, 0x7f800001
	s_and_saveexec_b64 s[88:89], vcc
	s_cbranch_execz .LBB4_1484
; %bb.1483:                             ;   in Loop: Header=BB4_124 Depth=2
	v_and_b32_e32 v35, 7, v14
	v_ffbh_u32_e32 v28, v35
	v_min_u32_e32 v49, 32, v28
	v_subrev_u32_e32 v28, 28, v49
	v_lshrrev_b32_e32 v48, 3, v29
	v_cmp_gt_u32_e32 vcc, 8, v29
	v_lshlrev_b64 v[28:29], v28, v[14:15]
	v_sub_u32_e32 v14, 29, v49
	v_and_b32_e32 v28, 7, v28
	v_mov_b32_e32 v29, 24
	v_cndmask_b32_e32 v14, v48, v14, vcc
	v_cndmask_b32_e32 v28, v35, v28, vcc
	v_lshlrev_b32_sdwa v29, v29, v36 dst_sel:DWORD dst_unused:UNUSED_PAD src0_sel:DWORD src1_sel:BYTE_3
	v_lshlrev_b32_e32 v28, 20, v28
	v_and_b32_e32 v29, 0x80000000, v29
	v_lshl_add_u32 v14, v14, 23, v58
	v_or3_b32 v28, v29, v14, v28
.LBB4_1484:                             ;   in Loop: Header=BB4_124 Depth=2
	s_or_b64 exec, exec, s[88:89]
.LBB4_1485:                             ;   in Loop: Header=BB4_124 Depth=2
	s_or_b64 exec, exec, s[78:79]
.LBB4_1486:                             ;   in Loop: Header=BB4_124 Depth=2
	s_or_b64 exec, exec, s[20:21]
	v_cmp_lt_u64_e32 vcc, s[62:63], v[10:11]
	s_and_saveexec_b64 s[20:21], vcc
	s_cbranch_execz .LBB4_1492
; %bb.1487:                             ;   in Loop: Header=BB4_124 Depth=2
	v_lshrrev_b32_e32 v10, 24, v11
	v_cmp_ne_u32_e32 vcc, s53, v10
	v_bfrev_b32_e32 v15, 1
	s_and_saveexec_b64 s[78:79], vcc
	s_cbranch_execz .LBB4_1491
; %bb.1488:                             ;   in Loop: Header=BB4_124 Depth=2
	v_bfe_u32 v11, v11, 24, 7
	v_cmp_ne_u32_e32 vcc, s51, v11
	v_mov_b32_e32 v15, 0x7f800001
	s_and_saveexec_b64 s[88:89], vcc
	s_cbranch_execz .LBB4_1490
; %bb.1489:                             ;   in Loop: Header=BB4_124 Depth=2
	v_and_b32_e32 v29, 7, v10
	v_lshrrev_b32_e32 v35, 3, v11
	v_cmp_gt_u32_e32 vcc, 8, v11
	v_ffbh_u32_e32 v11, v29
	v_min_u32_e32 v11, 32, v11
	v_subrev_u32_e32 v14, 28, v11
	v_lshlrev_b64 v[14:15], v14, v[10:11]
	v_sub_u32_e32 v11, 29, v11
	v_and_b32_e32 v14, 7, v14
	v_cndmask_b32_e32 v11, v35, v11, vcc
	v_cndmask_b32_e32 v14, v29, v14, vcc
	v_lshlrev_b32_e32 v10, 24, v10
	v_lshlrev_b32_e32 v14, 20, v14
	v_and_b32_e32 v10, 0x80000000, v10
	v_lshl_add_u32 v11, v11, 23, v58
	v_or3_b32 v15, v10, v11, v14
.LBB4_1490:                             ;   in Loop: Header=BB4_124 Depth=2
	s_or_b64 exec, exec, s[88:89]
.LBB4_1491:                             ;   in Loop: Header=BB4_124 Depth=2
	s_or_b64 exec, exec, s[78:79]
.LBB4_1492:                             ;   in Loop: Header=BB4_124 Depth=2
	s_or_b64 exec, exec, s[20:21]
	v_add_f32_e32 v10, v28, v15
	v_and_b32_e32 v36, 0x7f800000, v10
	v_cmp_ne_u64_e32 vcc, s[56:57], v[36:37]
                                        ; implicit-def: $vgpr35
	s_and_saveexec_b64 s[20:21], vcc
	s_xor_b64 s[78:79], exec, s[20:21]
	s_cbranch_execz .LBB4_1506
; %bb.1493:                             ;   in Loop: Header=BB4_124 Depth=2
	v_and_b32_e32 v36, 0x7fffffff, v10
	v_cmp_gt_u64_e32 vcc, s[58:59], v[36:37]
	v_and_b32_sdwa v28, v10, s53 dst_sel:DWORD dst_unused:UNUSED_PAD src0_sel:BYTE_3 src1_sel:DWORD
                                        ; implicit-def: $vgpr35
	s_and_saveexec_b64 s[20:21], vcc
	s_xor_b64 s[88:89], exec, s[20:21]
	s_cbranch_execz .LBB4_1503
; %bb.1494:                             ;   in Loop: Header=BB4_124 Depth=2
	v_mov_b32_e32 v35, 0
	v_cmp_ne_u32_e32 vcc, 0, v10
	s_and_saveexec_b64 s[90:91], vcc
	s_cbranch_execz .LBB4_1502
; %bb.1495:                             ;   in Loop: Header=BB4_124 Depth=2
	v_bfe_u32 v29, v10, 23, 8
	v_and_b32_e32 v11, 0x7fffff, v10
	v_cmp_gt_u32_e64 s[20:21], s54, v29
	v_sub_u32_e32 v10, 0x79, v29
	v_cmp_eq_u32_e32 vcc, 0, v29
	v_cndmask_b32_e64 v10, 0, v10, s[20:21]
	v_cndmask_b32_e32 v35, v10, v31, vcc
	v_or_b32_e32 v14, 0x800000, v11
	v_add_u32_e32 v10, 20, v35
	v_cndmask_b32_e32 v36, v14, v11, vcc
	v_lshlrev_b64 v[10:11], v10, -1
	v_add_u32_e32 v14, 19, v35
	v_lshlrev_b64 v[14:15], v14, 1
	v_bfi_b32 v11, v11, 0, 0
	v_bfi_b32 v10, v10, 0, v36
	v_cmp_eq_u64_e64 s[20:21], v[10:11], v[14:15]
	v_lshrrev_b64 v[10:11], v35, v[36:37]
	v_mov_b32_e32 v15, v11
	v_mov_b32_e32 v14, v10
	s_and_saveexec_b64 s[92:93], s[20:21]
; %bb.1496:                             ;   in Loop: Header=BB4_124 Depth=2
	v_bfe_u32 v11, v10, 20, 1
	v_add_co_u32_e64 v11, s[20:21], v10, v11
	v_add_co_u32_e64 v14, s[20:21], -1, v11
; %bb.1497:                             ;   in Loop: Header=BB4_124 Depth=2
	s_or_b64 exec, exec, s[92:93]
	v_add_u32_e32 v11, 0xffffff81, v29
	v_cndmask_b32_e32 v11, v11, v62, vcc
	v_lshrrev_b32_e32 v15, 23, v10
	v_add3_u32 v29, v35, v11, v15
	v_add_u32_e32 v15, 6, v29
	v_and_b32_e32 v11, 0xfffff, v14
	v_add_u32_e32 v36, v11, v10
	v_cmp_ne_u32_e32 vcc, 0, v15
                                        ; implicit-def: $vgpr10_vgpr11
                                        ; implicit-def: $vgpr14
	s_and_saveexec_b64 s[20:21], vcc
	s_xor_b64 s[20:21], exec, s[20:21]
; %bb.1498:                             ;   in Loop: Header=BB4_124 Depth=2
	v_cmp_lt_u64_e32 vcc, s[60:61], v[36:37]
	v_add_u32_e32 v10, 7, v29
	v_cndmask_b32_e32 v14, v15, v10, vcc
	v_cndmask_b32_e64 v10, 0, 1, vcc
	v_lshrrev_b64 v[10:11], v10, v[36:37]
; %bb.1499:                             ;   in Loop: Header=BB4_124 Depth=2
	s_andn2_saveexec_b64 s[20:21], s[20:21]
; %bb.1500:                             ;   in Loop: Header=BB4_124 Depth=2
	v_mov_b32_e32 v10, v36
	v_bfe_u32 v14, v36, 23, 1
	v_mov_b32_e32 v11, v37
; %bb.1501:                             ;   in Loop: Header=BB4_124 Depth=2
	s_or_b64 exec, exec, s[20:21]
	v_lshrrev_b64 v[10:11], 20, v[10:11]
	v_cmp_gt_i32_e32 vcc, 16, v14
	v_cndmask_b32_e32 v11, 0, v11, vcc
	v_cndmask_b32_e32 v10, 7, v10, vcc
	v_cmp_eq_u64_e64 s[20:21], 0, v[10:11]
	v_min_i32_e32 v11, 15, v14
	v_lshlrev_b32_e32 v11, 3, v11
	v_cmp_eq_u32_e32 vcc, 0, v14
	v_and_b32_e32 v11, 0xf8, v11
	v_and_or_b32 v10, v10, 7, v11
	s_and_b64 s[20:21], vcc, s[20:21]
	v_cndmask_b32_e64 v10, v10, 0, s[20:21]
	v_or_b32_e32 v35, v10, v28
.LBB4_1502:                             ;   in Loop: Header=BB4_124 Depth=2
	s_or_b64 exec, exec, s[90:91]
                                        ; implicit-def: $vgpr28
.LBB4_1503:                             ;   in Loop: Header=BB4_124 Depth=2
	s_andn2_saveexec_b64 s[20:21], s[88:89]
; %bb.1504:                             ;   in Loop: Header=BB4_124 Depth=2
	v_or_b32_e32 v35, 0x7e, v28
; %bb.1505:                             ;   in Loop: Header=BB4_124 Depth=2
	s_or_b64 exec, exec, s[20:21]
                                        ; implicit-def: $vgpr10
.LBB4_1506:                             ;   in Loop: Header=BB4_124 Depth=2
	s_andn2_saveexec_b64 s[20:21], s[78:79]
; %bb.1507:                             ;   in Loop: Header=BB4_124 Depth=2
	v_or_b32_sdwa v35, v10, s51 dst_sel:DWORD dst_unused:UNUSED_PAD src0_sel:BYTE_3 src1_sel:DWORD
; %bb.1508:                             ;   in Loop: Header=BB4_124 Depth=2
	s_or_b64 exec, exec, s[20:21]
	v_lshl_or_b32 v9, v9, 8, v5
	v_lshlrev_b32_e32 v10, 16, v25
	v_lshlrev_b32_e32 v11, 24, v56
	v_or3_b32 v36, v10, v11, v9
	v_cmp_ne_u32_e32 vcc, 0, v5
	v_mov_b32_e32 v10, 0
	v_mov_b32_e32 v11, 0
	s_and_saveexec_b64 s[20:21], vcc
	s_cbranch_execz .LBB4_1514
; %bb.1509:                             ;   in Loop: Header=BB4_124 Depth=2
	v_cmp_ne_u32_e32 vcc, s53, v5
	v_bfrev_b32_e32 v11, 1
	s_and_saveexec_b64 s[78:79], vcc
	s_cbranch_execz .LBB4_1513
; %bb.1510:                             ;   in Loop: Header=BB4_124 Depth=2
	v_and_b32_e32 v14, 0x7f, v5
	v_cmp_ne_u32_e32 vcc, s51, v14
	v_mov_b32_e32 v11, 0x7f800001
	s_and_saveexec_b64 s[88:89], vcc
	s_cbranch_execz .LBB4_1512
; %bb.1511:                             ;   in Loop: Header=BB4_124 Depth=2
	v_and_b32_e32 v5, 7, v5
	v_ffbh_u32_e32 v5, v5
	v_min_u32_e32 v5, 32, v5
	v_lshrrev_b32_e32 v11, 3, v14
	v_cmp_gt_u32_e32 vcc, 8, v14
	v_subrev_u32_e32 v14, 28, v5
	v_sub_u32_e32 v5, 29, v5
	v_cndmask_b32_e32 v5, v11, v5, vcc
	v_cndmask_b32_e32 v11, 0, v14, vcc
	v_lshlrev_b64 v[14:15], v11, v[36:37]
	v_lshl_add_u32 v5, v5, 23, v58
	v_lshlrev_b32_e32 v11, 20, v14
	v_lshlrev_b32_e32 v14, 24, v36
	v_and_b32_e32 v11, 0x700000, v11
	v_and_b32_e32 v14, 0x80000000, v14
	v_or3_b32 v11, v14, v5, v11
.LBB4_1512:                             ;   in Loop: Header=BB4_124 Depth=2
	s_or_b64 exec, exec, s[88:89]
.LBB4_1513:                             ;   in Loop: Header=BB4_124 Depth=2
	s_or_b64 exec, exec, s[78:79]
.LBB4_1514:                             ;   in Loop: Header=BB4_124 Depth=2
	s_or_b64 exec, exec, s[20:21]
	v_cmp_ne_u16_sdwa s[78:79], v12, v37 src0_sel:BYTE_0 src1_sel:DWORD
	s_and_saveexec_b64 s[20:21], s[78:79]
	s_cbranch_execz .LBB4_1520
; %bb.1515:                             ;   in Loop: Header=BB4_124 Depth=2
	v_cmp_ne_u16_sdwa s[88:89], v12, s53 src0_sel:BYTE_0 src1_sel:DWORD
	v_bfrev_b32_e32 v10, 1
	s_and_saveexec_b64 s[78:79], s[88:89]
	s_cbranch_execz .LBB4_1519
; %bb.1516:                             ;   in Loop: Header=BB4_124 Depth=2
	v_and_b32_e32 v5, 0x7f, v12
	v_cmp_ne_u32_e32 vcc, s51, v5
	v_mov_b32_e32 v10, 0x7f800001
	s_and_saveexec_b64 s[88:89], vcc
	s_cbranch_execz .LBB4_1518
; %bb.1517:                             ;   in Loop: Header=BB4_124 Depth=2
	v_and_b32_e32 v10, 7, v12
	v_lshrrev_b32_e32 v14, 3, v5
	v_cmp_gt_u32_e32 vcc, 8, v5
	v_ffbh_u32_e32 v5, v10
	v_min_u32_e32 v5, 32, v5
	v_subrev_u32_e32 v10, 28, v5
	v_sub_u32_e32 v5, 29, v5
	v_cndmask_b32_e32 v10, 0, v10, vcc
	v_cndmask_b32_e32 v5, v14, v5, vcc
	v_lshlrev_b64 v[14:15], v10, v[12:13]
	v_lshl_add_u32 v5, v5, 23, v58
	v_lshlrev_b32_e32 v10, 20, v14
	v_lshlrev_b32_e32 v14, 24, v12
	v_and_b32_e32 v10, 0x700000, v10
	v_and_b32_e32 v14, 0x80000000, v14
	v_or3_b32 v10, v14, v5, v10
.LBB4_1518:                             ;   in Loop: Header=BB4_124 Depth=2
	s_or_b64 exec, exec, s[88:89]
.LBB4_1519:                             ;   in Loop: Header=BB4_124 Depth=2
	s_or_b64 exec, exec, s[78:79]
.LBB4_1520:                             ;   in Loop: Header=BB4_124 Depth=2
	s_or_b64 exec, exec, s[20:21]
	v_add_f32_e32 v10, v11, v10
	v_and_b32_e32 v14, 0x7f800000, v10
	v_mov_b32_e32 v15, v37
	v_cmp_ne_u64_e32 vcc, s[56:57], v[14:15]
                                        ; implicit-def: $vgpr5
	s_and_saveexec_b64 s[20:21], vcc
	s_xor_b64 s[78:79], exec, s[20:21]
	s_cbranch_execz .LBB4_1534
; %bb.1521:                             ;   in Loop: Header=BB4_124 Depth=2
	v_and_b32_e32 v14, 0x7fffffff, v10
	v_mov_b32_e32 v15, v37
	v_cmp_gt_u64_e32 vcc, s[58:59], v[14:15]
	v_and_b32_sdwa v25, v10, s53 dst_sel:DWORD dst_unused:UNUSED_PAD src0_sel:BYTE_3 src1_sel:DWORD
                                        ; implicit-def: $vgpr5
	s_and_saveexec_b64 s[20:21], vcc
	s_xor_b64 s[88:89], exec, s[20:21]
	s_cbranch_execz .LBB4_1531
; %bb.1522:                             ;   in Loop: Header=BB4_124 Depth=2
	v_mov_b32_e32 v5, 0
	v_cmp_ne_u32_e32 vcc, 0, v10
	s_and_saveexec_b64 s[90:91], vcc
	s_cbranch_execz .LBB4_1530
; %bb.1523:                             ;   in Loop: Header=BB4_124 Depth=2
	v_bfe_u32 v5, v10, 23, 8
	v_and_b32_e32 v11, 0x7fffff, v10
	v_cmp_gt_u32_e64 s[20:21], s54, v5
	v_sub_u32_e32 v10, 0x79, v5
	v_cmp_eq_u32_e32 vcc, 0, v5
	v_cndmask_b32_e64 v10, 0, v10, s[20:21]
	v_or_b32_e32 v14, 0x800000, v11
	v_cndmask_b32_e32 v28, v10, v31, vcc
	v_cndmask_b32_e32 v10, v14, v11, vcc
	v_add_u32_e32 v14, 20, v28
	v_lshlrev_b64 v[14:15], v14, -1
	v_mov_b32_e32 v11, v37
	v_add_u32_e32 v29, 19, v28
	v_bfi_b32 v14, v14, 0, v10
	v_lshlrev_b64 v[48:49], v29, 1
	v_lshrrev_b64 v[10:11], v28, v[10:11]
	v_bfi_b32 v15, v15, 0, 0
	v_cmp_eq_u64_e64 s[20:21], v[14:15], v[48:49]
	v_mov_b32_e32 v15, v11
	v_mov_b32_e32 v14, v10
	s_and_saveexec_b64 s[92:93], s[20:21]
; %bb.1524:                             ;   in Loop: Header=BB4_124 Depth=2
	v_bfe_u32 v11, v10, 20, 1
	v_add_co_u32_e64 v11, s[20:21], v10, v11
	v_add_co_u32_e64 v14, s[20:21], -1, v11
; %bb.1525:                             ;   in Loop: Header=BB4_124 Depth=2
	s_or_b64 exec, exec, s[92:93]
	v_add_u32_e32 v5, 0xffffff81, v5
	v_cndmask_b32_e32 v5, v5, v62, vcc
	v_lshrrev_b32_e32 v11, 23, v10
	v_add3_u32 v28, v28, v5, v11
	v_add_u32_e32 v15, 6, v28
	v_and_b32_e32 v5, 0xfffff, v14
	v_add_u32_e32 v10, v5, v10
	v_mov_b32_e32 v11, v37
	v_cmp_ne_u32_e32 vcc, 0, v15
                                        ; implicit-def: $vgpr5
	s_and_saveexec_b64 s[20:21], vcc
	s_xor_b64 s[20:21], exec, s[20:21]
; %bb.1526:                             ;   in Loop: Header=BB4_124 Depth=2
	v_cmp_lt_u64_e32 vcc, s[60:61], v[10:11]
	v_add_u32_e32 v5, 7, v28
	v_cndmask_b32_e64 v14, 0, 1, vcc
	v_lshrrev_b64 v[10:11], v14, v[10:11]
	v_cndmask_b32_e32 v5, v15, v5, vcc
; %bb.1527:                             ;   in Loop: Header=BB4_124 Depth=2
	s_andn2_saveexec_b64 s[20:21], s[20:21]
; %bb.1528:                             ;   in Loop: Header=BB4_124 Depth=2
	v_bfe_u32 v5, v10, 23, 1
; %bb.1529:                             ;   in Loop: Header=BB4_124 Depth=2
	s_or_b64 exec, exec, s[20:21]
	v_lshrrev_b64 v[10:11], 20, v[10:11]
	v_cmp_gt_i32_e32 vcc, 16, v5
	v_cndmask_b32_e32 v11, 0, v11, vcc
	v_cndmask_b32_e32 v10, 7, v10, vcc
	v_cmp_eq_u32_e32 vcc, 0, v5
	v_min_i32_e32 v5, 15, v5
	v_cmp_eq_u64_e64 s[20:21], 0, v[10:11]
	v_lshlrev_b32_e32 v5, 3, v5
	v_and_b32_e32 v5, 0xf8, v5
	v_and_or_b32 v5, v10, 7, v5
	s_and_b64 s[20:21], vcc, s[20:21]
	v_cndmask_b32_e64 v5, v5, 0, s[20:21]
	v_or_b32_e32 v5, v5, v25
.LBB4_1530:                             ;   in Loop: Header=BB4_124 Depth=2
	s_or_b64 exec, exec, s[90:91]
                                        ; implicit-def: $vgpr25
.LBB4_1531:                             ;   in Loop: Header=BB4_124 Depth=2
	s_andn2_saveexec_b64 s[20:21], s[88:89]
; %bb.1532:                             ;   in Loop: Header=BB4_124 Depth=2
	v_or_b32_e32 v5, 0x7e, v25
; %bb.1533:                             ;   in Loop: Header=BB4_124 Depth=2
	s_or_b64 exec, exec, s[20:21]
                                        ; implicit-def: $vgpr10
.LBB4_1534:                             ;   in Loop: Header=BB4_124 Depth=2
	s_andn2_saveexec_b64 s[20:21], s[78:79]
; %bb.1535:                             ;   in Loop: Header=BB4_124 Depth=2
	v_or_b32_sdwa v5, v10, s51 dst_sel:DWORD dst_unused:UNUSED_PAD src0_sel:BYTE_3 src1_sel:DWORD
; %bb.1536:                             ;   in Loop: Header=BB4_124 Depth=2
	s_or_b64 exec, exec, s[20:21]
	v_lshrrev_b16_e32 v10, 8, v9
	v_cmp_ne_u16_e32 vcc, 0, v10
	v_mov_b32_e32 v11, 0
	v_mov_b32_e32 v14, 0
	s_and_saveexec_b64 s[20:21], vcc
	s_cbranch_execz .LBB4_1542
; %bb.1537:                             ;   in Loop: Header=BB4_124 Depth=2
	v_cmp_ne_u16_e32 vcc, s53, v10
	v_bfrev_b32_e32 v14, 1
	s_and_saveexec_b64 s[78:79], vcc
	s_cbranch_execz .LBB4_1541
; %bb.1538:                             ;   in Loop: Header=BB4_124 Depth=2
	v_and_b32_e32 v15, 0x7f, v10
	v_cmp_ne_u32_e32 vcc, s51, v15
	v_mov_b32_e32 v14, 0x7f800001
	s_and_saveexec_b64 s[88:89], vcc
	s_cbranch_execz .LBB4_1540
; %bb.1539:                             ;   in Loop: Header=BB4_124 Depth=2
	v_and_b32_e32 v25, 7, v10
	v_ffbh_u32_e32 v14, v25
	v_min_u32_e32 v29, 32, v14
	v_subrev_u32_e32 v14, 28, v29
	v_lshrrev_b32_e32 v28, 3, v15
	v_cmp_gt_u32_e32 vcc, 8, v15
	v_lshlrev_b64 v[14:15], v14, v[10:11]
	v_sub_u32_e32 v10, 29, v29
	v_and_b32_e32 v14, 7, v14
	v_cndmask_b32_e32 v10, v28, v10, vcc
	v_cndmask_b32_e32 v14, v25, v14, vcc
	v_lshlrev_b32_e32 v9, 16, v9
	v_lshlrev_b32_e32 v14, 20, v14
	v_and_b32_e32 v9, 0x80000000, v9
	v_lshl_add_u32 v10, v10, 23, v58
	v_or3_b32 v14, v9, v10, v14
.LBB4_1540:                             ;   in Loop: Header=BB4_124 Depth=2
	s_or_b64 exec, exec, s[88:89]
.LBB4_1541:                             ;   in Loop: Header=BB4_124 Depth=2
	s_or_b64 exec, exec, s[78:79]
.LBB4_1542:                             ;   in Loop: Header=BB4_124 Depth=2
	s_or_b64 exec, exec, s[20:21]
	v_lshrrev_b16_e32 v10, 8, v12
	v_cmp_ne_u16_e32 vcc, 0, v10
	s_and_saveexec_b64 s[20:21], vcc
	s_cbranch_execz .LBB4_1548
; %bb.1543:                             ;   in Loop: Header=BB4_124 Depth=2
	v_cmp_ne_u16_e32 vcc, s53, v10
	v_bfrev_b32_e32 v11, 1
	s_and_saveexec_b64 s[78:79], vcc
	s_cbranch_execz .LBB4_1547
; %bb.1544:                             ;   in Loop: Header=BB4_124 Depth=2
	v_and_b32_e32 v9, 0x7f, v10
	v_cmp_ne_u32_e32 vcc, s51, v9
	v_mov_b32_e32 v11, 0x7f800001
	s_and_saveexec_b64 s[88:89], vcc
	s_cbranch_execz .LBB4_1546
; %bb.1545:                             ;   in Loop: Header=BB4_124 Depth=2
	v_and_b32_e32 v11, 7, v10
	v_lshrrev_b32_e32 v15, 3, v9
	v_cmp_gt_u32_e32 vcc, 8, v9
	v_ffbh_u32_e32 v9, v11
	v_min_u32_e32 v25, 32, v9
	v_subrev_u32_e32 v9, 28, v25
	v_lshlrev_b64 v[9:10], v9, v[10:11]
	v_sub_u32_e32 v10, 29, v25
	v_and_b32_e32 v9, 7, v9
	v_cndmask_b32_e32 v10, v15, v10, vcc
	v_cndmask_b32_e32 v9, v11, v9, vcc
	v_lshlrev_b32_e32 v11, 16, v12
	v_lshlrev_b32_e32 v9, 20, v9
	v_and_b32_e32 v11, 0x80000000, v11
	v_lshl_add_u32 v10, v10, 23, v58
	v_or3_b32 v11, v11, v10, v9
.LBB4_1546:                             ;   in Loop: Header=BB4_124 Depth=2
	s_or_b64 exec, exec, s[88:89]
.LBB4_1547:                             ;   in Loop: Header=BB4_124 Depth=2
	s_or_b64 exec, exec, s[78:79]
.LBB4_1548:                             ;   in Loop: Header=BB4_124 Depth=2
	s_or_b64 exec, exec, s[20:21]
	v_add_f32_e32 v10, v14, v11
	v_and_b32_e32 v14, 0x7f800000, v10
	v_mov_b32_e32 v15, v37
	v_cmp_ne_u64_e32 vcc, s[56:57], v[14:15]
                                        ; implicit-def: $vgpr9
	s_and_saveexec_b64 s[20:21], vcc
	s_xor_b64 s[78:79], exec, s[20:21]
	s_cbranch_execz .LBB4_1562
; %bb.1549:                             ;   in Loop: Header=BB4_124 Depth=2
	v_and_b32_e32 v14, 0x7fffffff, v10
	v_mov_b32_e32 v15, v37
	v_cmp_gt_u64_e32 vcc, s[58:59], v[14:15]
	v_and_b32_sdwa v25, v10, s53 dst_sel:DWORD dst_unused:UNUSED_PAD src0_sel:BYTE_3 src1_sel:DWORD
                                        ; implicit-def: $vgpr9
	s_and_saveexec_b64 s[20:21], vcc
	s_xor_b64 s[88:89], exec, s[20:21]
	s_cbranch_execz .LBB4_1559
; %bb.1550:                             ;   in Loop: Header=BB4_124 Depth=2
	v_mov_b32_e32 v9, 0
	v_cmp_ne_u32_e32 vcc, 0, v10
	s_and_saveexec_b64 s[90:91], vcc
	s_cbranch_execz .LBB4_1558
; %bb.1551:                             ;   in Loop: Header=BB4_124 Depth=2
	v_bfe_u32 v9, v10, 23, 8
	v_and_b32_e32 v11, 0x7fffff, v10
	v_cmp_gt_u32_e64 s[20:21], s54, v9
	v_sub_u32_e32 v10, 0x79, v9
	v_cmp_eq_u32_e32 vcc, 0, v9
	v_cndmask_b32_e64 v10, 0, v10, s[20:21]
	v_or_b32_e32 v14, 0x800000, v11
	v_cndmask_b32_e32 v28, v10, v31, vcc
	v_cndmask_b32_e32 v10, v14, v11, vcc
	v_add_u32_e32 v14, 20, v28
	v_lshlrev_b64 v[14:15], v14, -1
	v_mov_b32_e32 v11, v37
	v_add_u32_e32 v29, 19, v28
	v_bfi_b32 v14, v14, 0, v10
	v_lshlrev_b64 v[48:49], v29, 1
	v_lshrrev_b64 v[10:11], v28, v[10:11]
	v_bfi_b32 v15, v15, 0, 0
	v_cmp_eq_u64_e64 s[20:21], v[14:15], v[48:49]
	v_mov_b32_e32 v15, v11
	v_mov_b32_e32 v14, v10
	s_and_saveexec_b64 s[92:93], s[20:21]
; %bb.1552:                             ;   in Loop: Header=BB4_124 Depth=2
	v_bfe_u32 v11, v10, 20, 1
	v_add_co_u32_e64 v11, s[20:21], v10, v11
	v_add_co_u32_e64 v14, s[20:21], -1, v11
; %bb.1553:                             ;   in Loop: Header=BB4_124 Depth=2
	s_or_b64 exec, exec, s[92:93]
	v_add_u32_e32 v9, 0xffffff81, v9
	v_cndmask_b32_e32 v9, v9, v62, vcc
	v_lshrrev_b32_e32 v11, 23, v10
	v_add3_u32 v28, v28, v9, v11
	v_add_u32_e32 v15, 6, v28
	v_and_b32_e32 v9, 0xfffff, v14
	v_add_u32_e32 v10, v9, v10
	v_mov_b32_e32 v11, v37
	v_cmp_ne_u32_e32 vcc, 0, v15
                                        ; implicit-def: $vgpr9
	s_and_saveexec_b64 s[20:21], vcc
	s_xor_b64 s[20:21], exec, s[20:21]
; %bb.1554:                             ;   in Loop: Header=BB4_124 Depth=2
	v_cmp_lt_u64_e32 vcc, s[60:61], v[10:11]
	v_add_u32_e32 v9, 7, v28
	v_cndmask_b32_e64 v14, 0, 1, vcc
	v_lshrrev_b64 v[10:11], v14, v[10:11]
	v_cndmask_b32_e32 v9, v15, v9, vcc
; %bb.1555:                             ;   in Loop: Header=BB4_124 Depth=2
	s_andn2_saveexec_b64 s[20:21], s[20:21]
; %bb.1556:                             ;   in Loop: Header=BB4_124 Depth=2
	v_bfe_u32 v9, v10, 23, 1
; %bb.1557:                             ;   in Loop: Header=BB4_124 Depth=2
	s_or_b64 exec, exec, s[20:21]
	v_lshrrev_b64 v[10:11], 20, v[10:11]
	v_cmp_gt_i32_e32 vcc, 16, v9
	v_cndmask_b32_e32 v11, 0, v11, vcc
	v_cndmask_b32_e32 v10, 7, v10, vcc
	v_cmp_eq_u32_e32 vcc, 0, v9
	v_min_i32_e32 v9, 15, v9
	v_cmp_eq_u64_e64 s[20:21], 0, v[10:11]
	v_lshlrev_b32_e32 v9, 3, v9
	v_and_b32_e32 v9, 0xf8, v9
	v_and_or_b32 v9, v10, 7, v9
	s_and_b64 s[20:21], vcc, s[20:21]
	v_cndmask_b32_e64 v9, v9, 0, s[20:21]
	v_or_b32_e32 v9, v9, v25
.LBB4_1558:                             ;   in Loop: Header=BB4_124 Depth=2
	s_or_b64 exec, exec, s[90:91]
                                        ; implicit-def: $vgpr25
.LBB4_1559:                             ;   in Loop: Header=BB4_124 Depth=2
	s_andn2_saveexec_b64 s[20:21], s[88:89]
; %bb.1560:                             ;   in Loop: Header=BB4_124 Depth=2
	v_or_b32_e32 v9, 0x7e, v25
; %bb.1561:                             ;   in Loop: Header=BB4_124 Depth=2
	s_or_b64 exec, exec, s[20:21]
                                        ; implicit-def: $vgpr10
.LBB4_1562:                             ;   in Loop: Header=BB4_124 Depth=2
	s_andn2_saveexec_b64 s[20:21], s[78:79]
; %bb.1563:                             ;   in Loop: Header=BB4_124 Depth=2
	v_or_b32_sdwa v9, v10, s51 dst_sel:DWORD dst_unused:UNUSED_PAD src0_sel:BYTE_3 src1_sel:DWORD
; %bb.1564:                             ;   in Loop: Header=BB4_124 Depth=2
	s_or_b64 exec, exec, s[20:21]
	v_lshrrev_b32_e32 v10, 16, v36
	v_cmp_ne_u16_sdwa s[78:79], v10, v37 src0_sel:BYTE_0 src1_sel:DWORD
	v_mov_b32_e32 v11, 0
	v_mov_b32_e32 v14, 0
	s_and_saveexec_b64 s[20:21], s[78:79]
	s_cbranch_execz .LBB4_1570
; %bb.1565:                             ;   in Loop: Header=BB4_124 Depth=2
	v_cmp_ne_u16_sdwa s[88:89], v10, s53 src0_sel:BYTE_0 src1_sel:DWORD
	v_bfrev_b32_e32 v14, 1
	s_and_saveexec_b64 s[78:79], s[88:89]
	s_cbranch_execz .LBB4_1569
; %bb.1566:                             ;   in Loop: Header=BB4_124 Depth=2
	v_bfe_u32 v15, v36, 16, 7
	v_cmp_ne_u32_e32 vcc, s51, v15
	v_mov_b32_e32 v14, 0x7f800001
	s_and_saveexec_b64 s[88:89], vcc
	s_cbranch_execz .LBB4_1568
; %bb.1567:                             ;   in Loop: Header=BB4_124 Depth=2
	v_and_b32_e32 v25, 7, v10
	v_ffbh_u32_e32 v14, v25
	v_min_u32_e32 v29, 32, v14
	v_subrev_u32_e32 v14, 28, v29
	v_lshrrev_b32_e32 v28, 3, v15
	v_cmp_gt_u32_e32 vcc, 8, v15
	v_lshlrev_b64 v[14:15], v14, v[10:11]
	v_sub_u32_e32 v15, 29, v29
	v_and_b32_e32 v14, 7, v14
	v_cndmask_b32_e32 v15, v28, v15, vcc
	v_cndmask_b32_e32 v14, v25, v14, vcc
	v_lshlrev_b32_e32 v10, 24, v10
	v_lshlrev_b32_e32 v14, 20, v14
	v_and_b32_e32 v10, 0x80000000, v10
	v_lshl_add_u32 v15, v15, 23, v58
	v_or3_b32 v14, v10, v15, v14
.LBB4_1568:                             ;   in Loop: Header=BB4_124 Depth=2
	s_or_b64 exec, exec, s[88:89]
.LBB4_1569:                             ;   in Loop: Header=BB4_124 Depth=2
	s_or_b64 exec, exec, s[78:79]
.LBB4_1570:                             ;   in Loop: Header=BB4_124 Depth=2
	s_or_b64 exec, exec, s[20:21]
	v_lshrrev_b32_e32 v10, 16, v12
	v_cmp_ne_u16_sdwa s[78:79], v10, v37 src0_sel:BYTE_0 src1_sel:DWORD
	s_and_saveexec_b64 s[20:21], s[78:79]
	s_cbranch_execz .LBB4_1576
; %bb.1571:                             ;   in Loop: Header=BB4_124 Depth=2
	v_cmp_ne_u16_sdwa s[88:89], v10, s53 src0_sel:BYTE_0 src1_sel:DWORD
	v_bfrev_b32_e32 v11, 1
	s_and_saveexec_b64 s[78:79], s[88:89]
	s_cbranch_execz .LBB4_1575
; %bb.1572:                             ;   in Loop: Header=BB4_124 Depth=2
	v_bfe_u32 v15, v12, 16, 7
	v_cmp_ne_u32_e32 vcc, s51, v15
	v_mov_b32_e32 v11, 0x7f800001
	s_and_saveexec_b64 s[88:89], vcc
	s_cbranch_execz .LBB4_1574
; %bb.1573:                             ;   in Loop: Header=BB4_124 Depth=2
	v_and_b32_e32 v25, 7, v10
	v_ffbh_u32_e32 v11, v25
	v_lshrrev_b32_e32 v28, 3, v15
	v_cmp_gt_u32_e32 vcc, 8, v15
	v_min_u32_e32 v15, 32, v11
	v_subrev_u32_e32 v11, 28, v15
	v_lshlrev_b64 v[10:11], v11, v[10:11]
	v_sub_u32_e32 v11, 29, v15
	v_and_b32_e32 v10, 7, v10
	v_cndmask_b32_e32 v11, v28, v11, vcc
	v_cndmask_b32_e32 v10, v25, v10, vcc
	v_lshlrev_b32_e32 v15, 8, v12
	v_lshlrev_b32_e32 v10, 20, v10
	v_and_b32_e32 v15, 0x80000000, v15
	v_lshl_add_u32 v11, v11, 23, v58
	v_or3_b32 v11, v15, v11, v10
.LBB4_1574:                             ;   in Loop: Header=BB4_124 Depth=2
	s_or_b64 exec, exec, s[88:89]
.LBB4_1575:                             ;   in Loop: Header=BB4_124 Depth=2
	s_or_b64 exec, exec, s[78:79]
.LBB4_1576:                             ;   in Loop: Header=BB4_124 Depth=2
	s_or_b64 exec, exec, s[20:21]
	v_add_f32_e32 v10, v14, v11
	v_and_b32_e32 v14, 0x7f800000, v10
	v_mov_b32_e32 v15, v37
	v_cmp_ne_u64_e32 vcc, s[56:57], v[14:15]
                                        ; implicit-def: $vgpr25
	s_and_saveexec_b64 s[20:21], vcc
	s_xor_b64 s[78:79], exec, s[20:21]
	s_cbranch_execz .LBB4_1590
; %bb.1577:                             ;   in Loop: Header=BB4_124 Depth=2
	v_and_b32_e32 v14, 0x7fffffff, v10
	v_mov_b32_e32 v15, v37
	v_cmp_gt_u64_e32 vcc, s[58:59], v[14:15]
	v_and_b32_sdwa v28, v10, s53 dst_sel:DWORD dst_unused:UNUSED_PAD src0_sel:BYTE_3 src1_sel:DWORD
                                        ; implicit-def: $vgpr25
	s_and_saveexec_b64 s[20:21], vcc
	s_xor_b64 s[88:89], exec, s[20:21]
	s_cbranch_execz .LBB4_1587
; %bb.1578:                             ;   in Loop: Header=BB4_124 Depth=2
	v_mov_b32_e32 v25, 0
	v_cmp_ne_u32_e32 vcc, 0, v10
	s_and_saveexec_b64 s[90:91], vcc
	s_cbranch_execz .LBB4_1586
; %bb.1579:                             ;   in Loop: Header=BB4_124 Depth=2
	v_bfe_u32 v25, v10, 23, 8
	v_and_b32_e32 v11, 0x7fffff, v10
	v_cmp_gt_u32_e64 s[20:21], s54, v25
	v_sub_u32_e32 v10, 0x79, v25
	v_cmp_eq_u32_e32 vcc, 0, v25
	v_cndmask_b32_e64 v10, 0, v10, s[20:21]
	v_or_b32_e32 v14, 0x800000, v11
	v_cndmask_b32_e32 v29, v10, v31, vcc
	v_cndmask_b32_e32 v10, v14, v11, vcc
	v_add_u32_e32 v14, 20, v29
	v_lshlrev_b64 v[14:15], v14, -1
	v_mov_b32_e32 v11, v37
	v_add_u32_e32 v48, 19, v29
	v_bfi_b32 v14, v14, 0, v10
	v_lshlrev_b64 v[48:49], v48, 1
	v_lshrrev_b64 v[10:11], v29, v[10:11]
	v_bfi_b32 v15, v15, 0, 0
	v_cmp_eq_u64_e64 s[20:21], v[14:15], v[48:49]
	v_mov_b32_e32 v15, v11
	v_mov_b32_e32 v14, v10
	s_and_saveexec_b64 s[92:93], s[20:21]
; %bb.1580:                             ;   in Loop: Header=BB4_124 Depth=2
	v_bfe_u32 v11, v10, 20, 1
	v_add_co_u32_e64 v11, s[20:21], v10, v11
	v_add_co_u32_e64 v14, s[20:21], -1, v11
; %bb.1581:                             ;   in Loop: Header=BB4_124 Depth=2
	s_or_b64 exec, exec, s[92:93]
	v_add_u32_e32 v11, 0xffffff81, v25
	v_cndmask_b32_e32 v11, v11, v62, vcc
	v_lshrrev_b32_e32 v15, 23, v10
	v_add3_u32 v25, v29, v11, v15
	v_add_u32_e32 v15, 6, v25
	v_and_b32_e32 v11, 0xfffff, v14
	v_add_u32_e32 v10, v11, v10
	v_mov_b32_e32 v11, v37
	v_cmp_ne_u32_e32 vcc, 0, v15
                                        ; implicit-def: $vgpr14
	s_and_saveexec_b64 s[20:21], vcc
	s_xor_b64 s[20:21], exec, s[20:21]
; %bb.1582:                             ;   in Loop: Header=BB4_124 Depth=2
	v_cmp_lt_u64_e32 vcc, s[60:61], v[10:11]
	v_add_u32_e32 v14, 7, v25
	v_cndmask_b32_e32 v14, v15, v14, vcc
	v_cndmask_b32_e64 v15, 0, 1, vcc
	v_lshrrev_b64 v[10:11], v15, v[10:11]
; %bb.1583:                             ;   in Loop: Header=BB4_124 Depth=2
	s_andn2_saveexec_b64 s[20:21], s[20:21]
; %bb.1584:                             ;   in Loop: Header=BB4_124 Depth=2
	v_bfe_u32 v14, v10, 23, 1
; %bb.1585:                             ;   in Loop: Header=BB4_124 Depth=2
	s_or_b64 exec, exec, s[20:21]
	v_lshrrev_b64 v[10:11], 20, v[10:11]
	v_cmp_gt_i32_e32 vcc, 16, v14
	v_cndmask_b32_e32 v11, 0, v11, vcc
	v_cndmask_b32_e32 v10, 7, v10, vcc
	v_cmp_eq_u64_e64 s[20:21], 0, v[10:11]
	v_min_i32_e32 v11, 15, v14
	v_lshlrev_b32_e32 v11, 3, v11
	v_cmp_eq_u32_e32 vcc, 0, v14
	v_and_b32_e32 v11, 0xf8, v11
	v_and_or_b32 v10, v10, 7, v11
	s_and_b64 s[20:21], vcc, s[20:21]
	v_cndmask_b32_e64 v10, v10, 0, s[20:21]
	v_or_b32_e32 v25, v10, v28
.LBB4_1586:                             ;   in Loop: Header=BB4_124 Depth=2
	s_or_b64 exec, exec, s[90:91]
                                        ; implicit-def: $vgpr28
.LBB4_1587:                             ;   in Loop: Header=BB4_124 Depth=2
	s_andn2_saveexec_b64 s[20:21], s[88:89]
; %bb.1588:                             ;   in Loop: Header=BB4_124 Depth=2
	v_or_b32_e32 v25, 0x7e, v28
; %bb.1589:                             ;   in Loop: Header=BB4_124 Depth=2
	s_or_b64 exec, exec, s[20:21]
                                        ; implicit-def: $vgpr10
.LBB4_1590:                             ;   in Loop: Header=BB4_124 Depth=2
	s_andn2_saveexec_b64 s[20:21], s[78:79]
; %bb.1591:                             ;   in Loop: Header=BB4_124 Depth=2
	v_or_b32_sdwa v25, v10, s51 dst_sel:DWORD dst_unused:UNUSED_PAD src0_sel:BYTE_3 src1_sel:DWORD
; %bb.1592:                             ;   in Loop: Header=BB4_124 Depth=2
	s_or_b64 exec, exec, s[20:21]
	v_cmp_lt_u32_e32 vcc, s63, v36
	v_mov_b32_e32 v11, 0
	v_mov_b32_e32 v14, 0
	s_and_saveexec_b64 s[20:21], vcc
	s_cbranch_execz .LBB4_1598
; %bb.1593:                             ;   in Loop: Header=BB4_124 Depth=2
	v_lshrrev_b32_e32 v10, 24, v36
	v_cmp_ne_u32_sdwa s[88:89], v36, s53 src0_sel:BYTE_3 src1_sel:DWORD
	v_bfrev_b32_e32 v14, 1
	s_and_saveexec_b64 s[78:79], s[88:89]
	s_cbranch_execz .LBB4_1597
; %bb.1594:                             ;   in Loop: Header=BB4_124 Depth=2
	v_bfe_u32 v15, v36, 24, 7
	v_cmp_ne_u32_e32 vcc, s51, v15
	v_mov_b32_e32 v14, 0x7f800001
	s_and_saveexec_b64 s[88:89], vcc
	s_cbranch_execz .LBB4_1596
; %bb.1595:                             ;   in Loop: Header=BB4_124 Depth=2
	v_and_b32_e32 v28, 7, v10
	v_ffbh_u32_e32 v14, v28
	v_min_u32_e32 v48, 32, v14
	v_subrev_u32_e32 v14, 28, v48
	v_lshrrev_b32_e32 v29, 3, v15
	v_cmp_gt_u32_e32 vcc, 8, v15
	v_lshlrev_b64 v[14:15], v14, v[10:11]
	v_sub_u32_e32 v10, 29, v48
	v_and_b32_e32 v14, 7, v14
	v_mov_b32_e32 v15, 24
	v_cndmask_b32_e32 v10, v29, v10, vcc
	v_cndmask_b32_e32 v14, v28, v14, vcc
	v_lshlrev_b32_sdwa v15, v15, v36 dst_sel:DWORD dst_unused:UNUSED_PAD src0_sel:DWORD src1_sel:BYTE_3
	v_lshlrev_b32_e32 v14, 20, v14
	v_and_b32_e32 v15, 0x80000000, v15
	v_lshl_add_u32 v10, v10, 23, v58
	v_or3_b32 v14, v15, v10, v14
.LBB4_1596:                             ;   in Loop: Header=BB4_124 Depth=2
	s_or_b64 exec, exec, s[88:89]
.LBB4_1597:                             ;   in Loop: Header=BB4_124 Depth=2
	s_or_b64 exec, exec, s[78:79]
.LBB4_1598:                             ;   in Loop: Header=BB4_124 Depth=2
	s_or_b64 exec, exec, s[20:21]
	v_cmp_lt_u32_e32 vcc, s63, v12
	s_and_saveexec_b64 s[20:21], vcc
	s_cbranch_execz .LBB4_1604
; %bb.1599:                             ;   in Loop: Header=BB4_124 Depth=2
	v_lshrrev_b32_e32 v10, 24, v12
	v_cmp_ne_u32_e32 vcc, s53, v10
	v_bfrev_b32_e32 v11, 1
	s_and_saveexec_b64 s[78:79], vcc
	s_cbranch_execz .LBB4_1603
; %bb.1600:                             ;   in Loop: Header=BB4_124 Depth=2
	v_bfe_u32 v15, v12, 24, 7
	v_cmp_ne_u32_e32 vcc, s51, v15
	v_mov_b32_e32 v11, 0x7f800001
	s_and_saveexec_b64 s[88:89], vcc
	s_cbranch_execz .LBB4_1602
; %bb.1601:                             ;   in Loop: Header=BB4_124 Depth=2
	v_and_b32_e32 v11, 7, v10
	v_lshrrev_b32_e32 v36, 3, v15
	v_cmp_gt_u32_e32 vcc, 8, v15
	v_ffbh_u32_e32 v15, v11
	v_min_u32_e32 v15, 32, v15
	v_subrev_u32_e32 v28, 28, v15
	v_lshlrev_b64 v[28:29], v28, v[10:11]
	v_sub_u32_e32 v15, 29, v15
	v_and_b32_e32 v28, 7, v28
	v_cndmask_b32_e32 v15, v36, v15, vcc
	v_cndmask_b32_e32 v11, v11, v28, vcc
	v_lshlrev_b32_e32 v10, 24, v10
	v_lshlrev_b32_e32 v11, 20, v11
	v_and_b32_e32 v10, 0x80000000, v10
	v_lshl_add_u32 v15, v15, 23, v58
	v_or3_b32 v11, v10, v15, v11
.LBB4_1602:                             ;   in Loop: Header=BB4_124 Depth=2
	s_or_b64 exec, exec, s[88:89]
.LBB4_1603:                             ;   in Loop: Header=BB4_124 Depth=2
	s_or_b64 exec, exec, s[78:79]
.LBB4_1604:                             ;   in Loop: Header=BB4_124 Depth=2
	s_or_b64 exec, exec, s[20:21]
	v_add_f32_e32 v10, v14, v11
	v_and_b32_e32 v36, 0x7f800000, v10
	v_cmp_ne_u64_e32 vcc, s[56:57], v[36:37]
                                        ; implicit-def: $vgpr51
	s_and_saveexec_b64 s[20:21], vcc
	s_xor_b64 s[78:79], exec, s[20:21]
	s_cbranch_execz .LBB4_1618
; %bb.1605:                             ;   in Loop: Header=BB4_124 Depth=2
	v_and_b32_e32 v36, 0x7fffffff, v10
	v_cmp_gt_u64_e32 vcc, s[58:59], v[36:37]
	v_and_b32_sdwa v28, v10, s53 dst_sel:DWORD dst_unused:UNUSED_PAD src0_sel:BYTE_3 src1_sel:DWORD
                                        ; implicit-def: $vgpr51
	s_and_saveexec_b64 s[20:21], vcc
	s_xor_b64 s[88:89], exec, s[20:21]
	s_cbranch_execz .LBB4_1615
; %bb.1606:                             ;   in Loop: Header=BB4_124 Depth=2
	v_mov_b32_e32 v51, 0
	v_cmp_ne_u32_e32 vcc, 0, v10
	s_and_saveexec_b64 s[90:91], vcc
	s_cbranch_execz .LBB4_1614
; %bb.1607:                             ;   in Loop: Header=BB4_124 Depth=2
	v_bfe_u32 v29, v10, 23, 8
	v_and_b32_e32 v11, 0x7fffff, v10
	v_cmp_gt_u32_e64 s[20:21], s54, v29
	v_sub_u32_e32 v10, 0x79, v29
	v_cmp_eq_u32_e32 vcc, 0, v29
	v_cndmask_b32_e64 v10, 0, v10, s[20:21]
	v_cndmask_b32_e32 v51, v10, v31, vcc
	v_or_b32_e32 v14, 0x800000, v11
	v_add_u32_e32 v10, 20, v51
	v_cndmask_b32_e32 v36, v14, v11, vcc
	v_lshlrev_b64 v[10:11], v10, -1
	v_add_u32_e32 v14, 19, v51
	v_lshlrev_b64 v[14:15], v14, 1
	v_bfi_b32 v11, v11, 0, 0
	v_bfi_b32 v10, v10, 0, v36
	v_cmp_eq_u64_e64 s[20:21], v[10:11], v[14:15]
	v_lshrrev_b64 v[10:11], v51, v[36:37]
	v_mov_b32_e32 v15, v11
	v_mov_b32_e32 v14, v10
	s_and_saveexec_b64 s[92:93], s[20:21]
; %bb.1608:                             ;   in Loop: Header=BB4_124 Depth=2
	v_bfe_u32 v11, v10, 20, 1
	v_add_co_u32_e64 v11, s[20:21], v10, v11
	v_add_co_u32_e64 v14, s[20:21], -1, v11
; %bb.1609:                             ;   in Loop: Header=BB4_124 Depth=2
	s_or_b64 exec, exec, s[92:93]
	v_add_u32_e32 v11, 0xffffff81, v29
	v_cndmask_b32_e32 v11, v11, v62, vcc
	v_lshrrev_b32_e32 v15, 23, v10
	v_add3_u32 v29, v51, v11, v15
	v_add_u32_e32 v15, 6, v29
	v_and_b32_e32 v11, 0xfffff, v14
	v_add_u32_e32 v36, v11, v10
	v_cmp_ne_u32_e32 vcc, 0, v15
                                        ; implicit-def: $vgpr10_vgpr11
                                        ; implicit-def: $vgpr14
	s_and_saveexec_b64 s[20:21], vcc
	s_xor_b64 s[20:21], exec, s[20:21]
; %bb.1610:                             ;   in Loop: Header=BB4_124 Depth=2
	v_cmp_lt_u64_e32 vcc, s[60:61], v[36:37]
	v_add_u32_e32 v10, 7, v29
	v_cndmask_b32_e32 v14, v15, v10, vcc
	v_cndmask_b32_e64 v10, 0, 1, vcc
	v_lshrrev_b64 v[10:11], v10, v[36:37]
; %bb.1611:                             ;   in Loop: Header=BB4_124 Depth=2
	s_andn2_saveexec_b64 s[20:21], s[20:21]
; %bb.1612:                             ;   in Loop: Header=BB4_124 Depth=2
	v_mov_b32_e32 v10, v36
	v_bfe_u32 v14, v36, 23, 1
	v_mov_b32_e32 v11, v37
; %bb.1613:                             ;   in Loop: Header=BB4_124 Depth=2
	s_or_b64 exec, exec, s[20:21]
	v_lshrrev_b64 v[10:11], 20, v[10:11]
	v_cmp_gt_i32_e32 vcc, 16, v14
	v_cndmask_b32_e32 v11, 0, v11, vcc
	v_cndmask_b32_e32 v10, 7, v10, vcc
	v_cmp_eq_u64_e64 s[20:21], 0, v[10:11]
	v_min_i32_e32 v11, 15, v14
	v_lshlrev_b32_e32 v11, 3, v11
	v_cmp_eq_u32_e32 vcc, 0, v14
	v_and_b32_e32 v11, 0xf8, v11
	v_and_or_b32 v10, v10, 7, v11
	s_and_b64 s[20:21], vcc, s[20:21]
	v_cndmask_b32_e64 v10, v10, 0, s[20:21]
	v_or_b32_e32 v51, v10, v28
.LBB4_1614:                             ;   in Loop: Header=BB4_124 Depth=2
	s_or_b64 exec, exec, s[90:91]
                                        ; implicit-def: $vgpr28
.LBB4_1615:                             ;   in Loop: Header=BB4_124 Depth=2
	s_andn2_saveexec_b64 s[20:21], s[88:89]
; %bb.1616:                             ;   in Loop: Header=BB4_124 Depth=2
	v_or_b32_e32 v51, 0x7e, v28
; %bb.1617:                             ;   in Loop: Header=BB4_124 Depth=2
	s_or_b64 exec, exec, s[20:21]
                                        ; implicit-def: $vgpr10
.LBB4_1618:                             ;   in Loop: Header=BB4_124 Depth=2
	s_andn2_saveexec_b64 s[20:21], s[78:79]
; %bb.1619:                             ;   in Loop: Header=BB4_124 Depth=2
	v_or_b32_sdwa v51, v10, s51 dst_sel:DWORD dst_unused:UNUSED_PAD src0_sel:BYTE_3 src1_sel:DWORD
; %bb.1620:                             ;   in Loop: Header=BB4_124 Depth=2
	s_or_b64 exec, exec, s[20:21]
	v_lshlrev_b32_e32 v10, 24, v26
	v_lshlrev_b32_e32 v11, 16, v18
	v_lshl_or_b32 v6, v6, 8, v1
	v_or3_b32 v36, v11, v10, v6
	v_cmp_ne_u32_e32 vcc, 0, v1
	v_mov_b32_e32 v11, 0
	v_mov_b32_e32 v10, 0
	s_and_saveexec_b64 s[20:21], vcc
	s_cbranch_execz .LBB4_1626
; %bb.1621:                             ;   in Loop: Header=BB4_124 Depth=2
	v_cmp_ne_u32_e32 vcc, s53, v1
	v_bfrev_b32_e32 v10, 1
	s_and_saveexec_b64 s[78:79], vcc
	s_cbranch_execz .LBB4_1625
; %bb.1622:                             ;   in Loop: Header=BB4_124 Depth=2
	v_and_b32_e32 v14, 0x7f, v1
	v_cmp_ne_u32_e32 vcc, s51, v14
	v_mov_b32_e32 v10, 0x7f800001
	s_and_saveexec_b64 s[88:89], vcc
	s_cbranch_execz .LBB4_1624
; %bb.1623:                             ;   in Loop: Header=BB4_124 Depth=2
	v_and_b32_e32 v1, 7, v1
	v_ffbh_u32_e32 v1, v1
	v_min_u32_e32 v1, 32, v1
	v_lshrrev_b32_e32 v10, 3, v14
	v_cmp_gt_u32_e32 vcc, 8, v14
	v_subrev_u32_e32 v14, 28, v1
	v_sub_u32_e32 v1, 29, v1
	v_cndmask_b32_e32 v1, v10, v1, vcc
	v_cndmask_b32_e32 v10, 0, v14, vcc
	v_lshlrev_b64 v[14:15], v10, v[36:37]
	v_lshl_add_u32 v1, v1, 23, v58
	v_lshlrev_b32_e32 v10, 20, v14
	v_lshlrev_b32_e32 v14, 24, v36
	v_and_b32_e32 v10, 0x700000, v10
	v_and_b32_e32 v14, 0x80000000, v14
	v_or3_b32 v10, v14, v1, v10
.LBB4_1624:                             ;   in Loop: Header=BB4_124 Depth=2
	s_or_b64 exec, exec, s[88:89]
.LBB4_1625:                             ;   in Loop: Header=BB4_124 Depth=2
	s_or_b64 exec, exec, s[78:79]
.LBB4_1626:                             ;   in Loop: Header=BB4_124 Depth=2
	s_or_b64 exec, exec, s[20:21]
	v_cmp_ne_u16_sdwa s[78:79], v13, v37 src0_sel:BYTE_0 src1_sel:DWORD
	s_and_saveexec_b64 s[20:21], s[78:79]
	s_cbranch_execz .LBB4_1632
; %bb.1627:                             ;   in Loop: Header=BB4_124 Depth=2
	v_cmp_ne_u16_sdwa s[88:89], v13, s53 src0_sel:BYTE_0 src1_sel:DWORD
	v_bfrev_b32_e32 v11, 1
	s_and_saveexec_b64 s[78:79], s[88:89]
	s_cbranch_execz .LBB4_1631
; %bb.1628:                             ;   in Loop: Header=BB4_124 Depth=2
	v_and_b32_e32 v1, 0x7f, v13
	v_cmp_ne_u32_e32 vcc, s51, v1
	v_mov_b32_e32 v11, 0x7f800001
	s_and_saveexec_b64 s[88:89], vcc
	s_cbranch_execz .LBB4_1630
; %bb.1629:                             ;   in Loop: Header=BB4_124 Depth=2
	v_and_b32_e32 v11, 7, v13
	v_lshrrev_b32_e32 v18, 3, v1
	v_cmp_gt_u32_e32 vcc, 8, v1
	v_ffbh_u32_e32 v1, v11
	v_min_u32_e32 v1, 32, v1
	v_subrev_u32_e32 v11, 28, v1
	v_mov_b32_e32 v14, v13
	v_mov_b32_e32 v15, v37
	v_cndmask_b32_e32 v11, 0, v11, vcc
	v_lshlrev_b64 v[28:29], v11, v[14:15]
	v_sub_u32_e32 v1, 29, v1
	v_cndmask_b32_e32 v1, v18, v1, vcc
	v_lshlrev_b32_e32 v11, 20, v28
	v_lshlrev_b32_e32 v14, 24, v14
	v_and_b32_e32 v11, 0x700000, v11
	v_and_b32_e32 v14, 0x80000000, v14
	v_lshl_add_u32 v1, v1, 23, v58
	v_or3_b32 v11, v14, v1, v11
.LBB4_1630:                             ;   in Loop: Header=BB4_124 Depth=2
	s_or_b64 exec, exec, s[88:89]
.LBB4_1631:                             ;   in Loop: Header=BB4_124 Depth=2
	s_or_b64 exec, exec, s[78:79]
.LBB4_1632:                             ;   in Loop: Header=BB4_124 Depth=2
	s_or_b64 exec, exec, s[20:21]
	v_add_f32_e32 v10, v10, v11
	v_and_b32_e32 v14, 0x7f800000, v10
	v_mov_b32_e32 v15, v37
	v_cmp_ne_u64_e32 vcc, s[56:57], v[14:15]
                                        ; implicit-def: $vgpr1
	s_and_saveexec_b64 s[20:21], vcc
	s_xor_b64 s[78:79], exec, s[20:21]
	s_cbranch_execz .LBB4_1646
; %bb.1633:                             ;   in Loop: Header=BB4_124 Depth=2
	v_and_b32_e32 v14, 0x7fffffff, v10
	v_mov_b32_e32 v15, v37
	v_cmp_gt_u64_e32 vcc, s[58:59], v[14:15]
	v_and_b32_sdwa v18, v10, s53 dst_sel:DWORD dst_unused:UNUSED_PAD src0_sel:BYTE_3 src1_sel:DWORD
                                        ; implicit-def: $vgpr1
	s_and_saveexec_b64 s[20:21], vcc
	s_xor_b64 s[88:89], exec, s[20:21]
	s_cbranch_execz .LBB4_1643
; %bb.1634:                             ;   in Loop: Header=BB4_124 Depth=2
	v_mov_b32_e32 v1, 0
	v_cmp_ne_u32_e32 vcc, 0, v10
	s_and_saveexec_b64 s[90:91], vcc
	s_cbranch_execz .LBB4_1642
; %bb.1635:                             ;   in Loop: Header=BB4_124 Depth=2
	v_bfe_u32 v1, v10, 23, 8
	v_and_b32_e32 v11, 0x7fffff, v10
	v_cmp_gt_u32_e64 s[20:21], s54, v1
	v_sub_u32_e32 v10, 0x79, v1
	v_cmp_eq_u32_e32 vcc, 0, v1
	v_cndmask_b32_e64 v10, 0, v10, s[20:21]
	v_or_b32_e32 v14, 0x800000, v11
	v_cndmask_b32_e32 v26, v10, v31, vcc
	v_cndmask_b32_e32 v10, v14, v11, vcc
	v_add_u32_e32 v14, 20, v26
	v_lshlrev_b64 v[14:15], v14, -1
	v_mov_b32_e32 v11, v37
	v_add_u32_e32 v28, 19, v26
	v_bfi_b32 v14, v14, 0, v10
	v_lshlrev_b64 v[28:29], v28, 1
	v_lshrrev_b64 v[10:11], v26, v[10:11]
	v_bfi_b32 v15, v15, 0, 0
	v_cmp_eq_u64_e64 s[20:21], v[14:15], v[28:29]
	v_mov_b32_e32 v15, v11
	v_mov_b32_e32 v14, v10
	s_and_saveexec_b64 s[92:93], s[20:21]
; %bb.1636:                             ;   in Loop: Header=BB4_124 Depth=2
	v_bfe_u32 v11, v10, 20, 1
	v_add_co_u32_e64 v11, s[20:21], v10, v11
	v_add_co_u32_e64 v14, s[20:21], -1, v11
; %bb.1637:                             ;   in Loop: Header=BB4_124 Depth=2
	s_or_b64 exec, exec, s[92:93]
	v_add_u32_e32 v1, 0xffffff81, v1
	v_cndmask_b32_e32 v1, v1, v62, vcc
	v_lshrrev_b32_e32 v11, 23, v10
	v_add3_u32 v26, v26, v1, v11
	v_add_u32_e32 v15, 6, v26
	v_and_b32_e32 v1, 0xfffff, v14
	v_add_u32_e32 v10, v1, v10
	v_mov_b32_e32 v11, v37
	v_cmp_ne_u32_e32 vcc, 0, v15
                                        ; implicit-def: $vgpr1
	s_and_saveexec_b64 s[20:21], vcc
	s_xor_b64 s[20:21], exec, s[20:21]
; %bb.1638:                             ;   in Loop: Header=BB4_124 Depth=2
	v_cmp_lt_u64_e32 vcc, s[60:61], v[10:11]
	v_add_u32_e32 v1, 7, v26
	v_cndmask_b32_e64 v14, 0, 1, vcc
	v_lshrrev_b64 v[10:11], v14, v[10:11]
	v_cndmask_b32_e32 v1, v15, v1, vcc
; %bb.1639:                             ;   in Loop: Header=BB4_124 Depth=2
	s_andn2_saveexec_b64 s[20:21], s[20:21]
; %bb.1640:                             ;   in Loop: Header=BB4_124 Depth=2
	v_bfe_u32 v1, v10, 23, 1
; %bb.1641:                             ;   in Loop: Header=BB4_124 Depth=2
	s_or_b64 exec, exec, s[20:21]
	v_lshrrev_b64 v[10:11], 20, v[10:11]
	v_cmp_gt_i32_e32 vcc, 16, v1
	v_cndmask_b32_e32 v11, 0, v11, vcc
	v_cndmask_b32_e32 v10, 7, v10, vcc
	v_cmp_eq_u32_e32 vcc, 0, v1
	v_min_i32_e32 v1, 15, v1
	v_cmp_eq_u64_e64 s[20:21], 0, v[10:11]
	v_lshlrev_b32_e32 v1, 3, v1
	v_and_b32_e32 v1, 0xf8, v1
	v_and_or_b32 v1, v10, 7, v1
	s_and_b64 s[20:21], vcc, s[20:21]
	v_cndmask_b32_e64 v1, v1, 0, s[20:21]
	v_or_b32_e32 v1, v1, v18
.LBB4_1642:                             ;   in Loop: Header=BB4_124 Depth=2
	s_or_b64 exec, exec, s[90:91]
                                        ; implicit-def: $vgpr18
.LBB4_1643:                             ;   in Loop: Header=BB4_124 Depth=2
	s_andn2_saveexec_b64 s[20:21], s[88:89]
; %bb.1644:                             ;   in Loop: Header=BB4_124 Depth=2
	v_or_b32_e32 v1, 0x7e, v18
; %bb.1645:                             ;   in Loop: Header=BB4_124 Depth=2
	s_or_b64 exec, exec, s[20:21]
                                        ; implicit-def: $vgpr10
.LBB4_1646:                             ;   in Loop: Header=BB4_124 Depth=2
	s_andn2_saveexec_b64 s[20:21], s[78:79]
; %bb.1647:                             ;   in Loop: Header=BB4_124 Depth=2
	v_or_b32_sdwa v1, v10, s51 dst_sel:DWORD dst_unused:UNUSED_PAD src0_sel:BYTE_3 src1_sel:DWORD
; %bb.1648:                             ;   in Loop: Header=BB4_124 Depth=2
	s_or_b64 exec, exec, s[20:21]
	v_lshrrev_b16_e32 v10, 8, v6
	v_cmp_ne_u16_e32 vcc, 0, v10
	v_mov_b32_e32 v11, 0
	v_mov_b32_e32 v14, 0
	s_and_saveexec_b64 s[20:21], vcc
	s_cbranch_execz .LBB4_1654
; %bb.1649:                             ;   in Loop: Header=BB4_124 Depth=2
	v_cmp_ne_u16_e32 vcc, s53, v10
	v_bfrev_b32_e32 v14, 1
	s_and_saveexec_b64 s[78:79], vcc
	s_cbranch_execz .LBB4_1653
; %bb.1650:                             ;   in Loop: Header=BB4_124 Depth=2
	v_and_b32_e32 v15, 0x7f, v10
	v_cmp_ne_u32_e32 vcc, s51, v15
	v_mov_b32_e32 v14, 0x7f800001
	s_and_saveexec_b64 s[88:89], vcc
	s_cbranch_execz .LBB4_1652
; %bb.1651:                             ;   in Loop: Header=BB4_124 Depth=2
	v_and_b32_e32 v18, 7, v10
	v_ffbh_u32_e32 v14, v18
	v_min_u32_e32 v28, 32, v14
	v_subrev_u32_e32 v14, 28, v28
	v_lshrrev_b32_e32 v26, 3, v15
	v_cmp_gt_u32_e32 vcc, 8, v15
	v_lshlrev_b64 v[14:15], v14, v[10:11]
	v_sub_u32_e32 v10, 29, v28
	v_and_b32_e32 v14, 7, v14
	v_cndmask_b32_e32 v10, v26, v10, vcc
	v_cndmask_b32_e32 v14, v18, v14, vcc
	v_lshlrev_b32_e32 v6, 16, v6
	v_lshlrev_b32_e32 v14, 20, v14
	v_and_b32_e32 v6, 0x80000000, v6
	v_lshl_add_u32 v10, v10, 23, v58
	v_or3_b32 v14, v6, v10, v14
.LBB4_1652:                             ;   in Loop: Header=BB4_124 Depth=2
	s_or_b64 exec, exec, s[88:89]
.LBB4_1653:                             ;   in Loop: Header=BB4_124 Depth=2
	s_or_b64 exec, exec, s[78:79]
.LBB4_1654:                             ;   in Loop: Header=BB4_124 Depth=2
	s_or_b64 exec, exec, s[20:21]
	v_lshrrev_b16_e32 v10, 8, v13
	v_cmp_ne_u16_e32 vcc, 0, v10
	s_and_saveexec_b64 s[20:21], vcc
	s_cbranch_execz .LBB4_1660
; %bb.1655:                             ;   in Loop: Header=BB4_124 Depth=2
	v_cmp_ne_u16_e32 vcc, s53, v10
	v_bfrev_b32_e32 v11, 1
	s_and_saveexec_b64 s[78:79], vcc
	s_cbranch_execz .LBB4_1659
; %bb.1656:                             ;   in Loop: Header=BB4_124 Depth=2
	v_and_b32_e32 v6, 0x7f, v10
	v_cmp_ne_u32_e32 vcc, s51, v6
	v_mov_b32_e32 v11, 0x7f800001
	s_and_saveexec_b64 s[88:89], vcc
	s_cbranch_execz .LBB4_1658
; %bb.1657:                             ;   in Loop: Header=BB4_124 Depth=2
	v_and_b32_e32 v15, 7, v10
	v_lshrrev_b32_e32 v18, 3, v6
	v_cmp_gt_u32_e32 vcc, 8, v6
	v_ffbh_u32_e32 v6, v15
	v_min_u32_e32 v6, 32, v6
	v_subrev_u32_e32 v11, 28, v6
	v_lshlrev_b64 v[10:11], v11, v[10:11]
	v_sub_u32_e32 v6, 29, v6
	v_and_b32_e32 v10, 7, v10
	v_cndmask_b32_e32 v6, v18, v6, vcc
	v_cndmask_b32_e32 v10, v15, v10, vcc
	v_lshlrev_b32_e32 v11, 16, v13
	v_lshlrev_b32_e32 v10, 20, v10
	v_and_b32_e32 v11, 0x80000000, v11
	v_lshl_add_u32 v6, v6, 23, v58
	v_or3_b32 v11, v11, v6, v10
.LBB4_1658:                             ;   in Loop: Header=BB4_124 Depth=2
	s_or_b64 exec, exec, s[88:89]
.LBB4_1659:                             ;   in Loop: Header=BB4_124 Depth=2
	s_or_b64 exec, exec, s[78:79]
.LBB4_1660:                             ;   in Loop: Header=BB4_124 Depth=2
	s_or_b64 exec, exec, s[20:21]
	v_add_f32_e32 v10, v14, v11
	v_and_b32_e32 v14, 0x7f800000, v10
	v_mov_b32_e32 v15, v37
	v_cmp_ne_u64_e32 vcc, s[56:57], v[14:15]
                                        ; implicit-def: $vgpr6
	s_and_saveexec_b64 s[20:21], vcc
	s_xor_b64 s[78:79], exec, s[20:21]
	s_cbranch_execz .LBB4_1674
; %bb.1661:                             ;   in Loop: Header=BB4_124 Depth=2
	v_and_b32_e32 v14, 0x7fffffff, v10
	v_mov_b32_e32 v15, v37
	v_cmp_gt_u64_e32 vcc, s[58:59], v[14:15]
	v_and_b32_sdwa v18, v10, s53 dst_sel:DWORD dst_unused:UNUSED_PAD src0_sel:BYTE_3 src1_sel:DWORD
                                        ; implicit-def: $vgpr6
	s_and_saveexec_b64 s[20:21], vcc
	s_xor_b64 s[88:89], exec, s[20:21]
	s_cbranch_execz .LBB4_1671
; %bb.1662:                             ;   in Loop: Header=BB4_124 Depth=2
	v_mov_b32_e32 v6, 0
	v_cmp_ne_u32_e32 vcc, 0, v10
	s_and_saveexec_b64 s[90:91], vcc
	s_cbranch_execz .LBB4_1670
; %bb.1663:                             ;   in Loop: Header=BB4_124 Depth=2
	v_bfe_u32 v6, v10, 23, 8
	v_and_b32_e32 v11, 0x7fffff, v10
	v_cmp_gt_u32_e64 s[20:21], s54, v6
	v_sub_u32_e32 v10, 0x79, v6
	v_cmp_eq_u32_e32 vcc, 0, v6
	v_cndmask_b32_e64 v10, 0, v10, s[20:21]
	v_or_b32_e32 v14, 0x800000, v11
	v_cndmask_b32_e32 v26, v10, v31, vcc
	v_cndmask_b32_e32 v10, v14, v11, vcc
	v_add_u32_e32 v14, 20, v26
	v_lshlrev_b64 v[14:15], v14, -1
	v_mov_b32_e32 v11, v37
	v_add_u32_e32 v28, 19, v26
	v_bfi_b32 v14, v14, 0, v10
	v_lshlrev_b64 v[28:29], v28, 1
	v_lshrrev_b64 v[10:11], v26, v[10:11]
	v_bfi_b32 v15, v15, 0, 0
	v_cmp_eq_u64_e64 s[20:21], v[14:15], v[28:29]
	v_mov_b32_e32 v15, v11
	v_mov_b32_e32 v14, v10
	s_and_saveexec_b64 s[92:93], s[20:21]
; %bb.1664:                             ;   in Loop: Header=BB4_124 Depth=2
	v_bfe_u32 v11, v10, 20, 1
	v_add_co_u32_e64 v11, s[20:21], v10, v11
	v_add_co_u32_e64 v14, s[20:21], -1, v11
; %bb.1665:                             ;   in Loop: Header=BB4_124 Depth=2
	s_or_b64 exec, exec, s[92:93]
	v_add_u32_e32 v6, 0xffffff81, v6
	v_cndmask_b32_e32 v6, v6, v62, vcc
	v_lshrrev_b32_e32 v11, 23, v10
	v_add3_u32 v26, v26, v6, v11
	v_add_u32_e32 v15, 6, v26
	v_and_b32_e32 v6, 0xfffff, v14
	v_add_u32_e32 v10, v6, v10
	v_mov_b32_e32 v11, v37
	v_cmp_ne_u32_e32 vcc, 0, v15
                                        ; implicit-def: $vgpr6
	s_and_saveexec_b64 s[20:21], vcc
	s_xor_b64 s[20:21], exec, s[20:21]
; %bb.1666:                             ;   in Loop: Header=BB4_124 Depth=2
	v_cmp_lt_u64_e32 vcc, s[60:61], v[10:11]
	v_add_u32_e32 v6, 7, v26
	v_cndmask_b32_e64 v14, 0, 1, vcc
	v_lshrrev_b64 v[10:11], v14, v[10:11]
	v_cndmask_b32_e32 v6, v15, v6, vcc
; %bb.1667:                             ;   in Loop: Header=BB4_124 Depth=2
	s_andn2_saveexec_b64 s[20:21], s[20:21]
; %bb.1668:                             ;   in Loop: Header=BB4_124 Depth=2
	v_bfe_u32 v6, v10, 23, 1
; %bb.1669:                             ;   in Loop: Header=BB4_124 Depth=2
	s_or_b64 exec, exec, s[20:21]
	v_lshrrev_b64 v[10:11], 20, v[10:11]
	v_cmp_gt_i32_e32 vcc, 16, v6
	v_cndmask_b32_e32 v11, 0, v11, vcc
	v_cndmask_b32_e32 v10, 7, v10, vcc
	v_cmp_eq_u32_e32 vcc, 0, v6
	v_min_i32_e32 v6, 15, v6
	v_cmp_eq_u64_e64 s[20:21], 0, v[10:11]
	v_lshlrev_b32_e32 v6, 3, v6
	v_and_b32_e32 v6, 0xf8, v6
	v_and_or_b32 v6, v10, 7, v6
	s_and_b64 s[20:21], vcc, s[20:21]
	v_cndmask_b32_e64 v6, v6, 0, s[20:21]
	v_or_b32_e32 v6, v6, v18
.LBB4_1670:                             ;   in Loop: Header=BB4_124 Depth=2
	s_or_b64 exec, exec, s[90:91]
                                        ; implicit-def: $vgpr18
.LBB4_1671:                             ;   in Loop: Header=BB4_124 Depth=2
	s_andn2_saveexec_b64 s[20:21], s[88:89]
; %bb.1672:                             ;   in Loop: Header=BB4_124 Depth=2
	v_or_b32_e32 v6, 0x7e, v18
; %bb.1673:                             ;   in Loop: Header=BB4_124 Depth=2
	s_or_b64 exec, exec, s[20:21]
                                        ; implicit-def: $vgpr10
.LBB4_1674:                             ;   in Loop: Header=BB4_124 Depth=2
	s_andn2_saveexec_b64 s[20:21], s[78:79]
; %bb.1675:                             ;   in Loop: Header=BB4_124 Depth=2
	v_or_b32_sdwa v6, v10, s51 dst_sel:DWORD dst_unused:UNUSED_PAD src0_sel:BYTE_3 src1_sel:DWORD
; %bb.1676:                             ;   in Loop: Header=BB4_124 Depth=2
	s_or_b64 exec, exec, s[20:21]
	v_lshrrev_b32_e32 v10, 16, v36
	v_cmp_ne_u16_sdwa s[78:79], v10, v37 src0_sel:BYTE_0 src1_sel:DWORD
	v_mov_b32_e32 v11, 0
	v_mov_b32_e32 v14, 0
	s_and_saveexec_b64 s[20:21], s[78:79]
	s_cbranch_execz .LBB4_1682
; %bb.1677:                             ;   in Loop: Header=BB4_124 Depth=2
	v_cmp_ne_u16_sdwa s[88:89], v10, s53 src0_sel:BYTE_0 src1_sel:DWORD
	v_bfrev_b32_e32 v14, 1
	s_and_saveexec_b64 s[78:79], s[88:89]
	s_cbranch_execz .LBB4_1681
; %bb.1678:                             ;   in Loop: Header=BB4_124 Depth=2
	v_bfe_u32 v15, v36, 16, 7
	v_cmp_ne_u32_e32 vcc, s51, v15
	v_mov_b32_e32 v14, 0x7f800001
	s_and_saveexec_b64 s[88:89], vcc
	s_cbranch_execz .LBB4_1680
; %bb.1679:                             ;   in Loop: Header=BB4_124 Depth=2
	v_and_b32_e32 v18, 7, v10
	v_ffbh_u32_e32 v14, v18
	v_min_u32_e32 v28, 32, v14
	v_subrev_u32_e32 v14, 28, v28
	v_lshrrev_b32_e32 v26, 3, v15
	v_cmp_gt_u32_e32 vcc, 8, v15
	v_lshlrev_b64 v[14:15], v14, v[10:11]
	v_sub_u32_e32 v15, 29, v28
	v_and_b32_e32 v14, 7, v14
	v_cndmask_b32_e32 v15, v26, v15, vcc
	v_cndmask_b32_e32 v14, v18, v14, vcc
	v_lshlrev_b32_e32 v10, 24, v10
	v_lshlrev_b32_e32 v14, 20, v14
	v_and_b32_e32 v10, 0x80000000, v10
	v_lshl_add_u32 v15, v15, 23, v58
	v_or3_b32 v14, v10, v15, v14
.LBB4_1680:                             ;   in Loop: Header=BB4_124 Depth=2
	s_or_b64 exec, exec, s[88:89]
.LBB4_1681:                             ;   in Loop: Header=BB4_124 Depth=2
	s_or_b64 exec, exec, s[78:79]
.LBB4_1682:                             ;   in Loop: Header=BB4_124 Depth=2
	s_or_b64 exec, exec, s[20:21]
	v_lshrrev_b32_e32 v10, 16, v13
	v_cmp_ne_u16_sdwa s[78:79], v10, v37 src0_sel:BYTE_0 src1_sel:DWORD
	s_and_saveexec_b64 s[20:21], s[78:79]
	s_cbranch_execz .LBB4_1688
; %bb.1683:                             ;   in Loop: Header=BB4_124 Depth=2
	v_cmp_ne_u16_sdwa s[88:89], v10, s53 src0_sel:BYTE_0 src1_sel:DWORD
	v_bfrev_b32_e32 v11, 1
	s_and_saveexec_b64 s[78:79], s[88:89]
	s_cbranch_execz .LBB4_1687
; %bb.1684:                             ;   in Loop: Header=BB4_124 Depth=2
	v_bfe_u32 v15, v13, 16, 7
	v_cmp_ne_u32_e32 vcc, s51, v15
	v_mov_b32_e32 v11, 0x7f800001
	s_and_saveexec_b64 s[88:89], vcc
	s_cbranch_execz .LBB4_1686
; %bb.1685:                             ;   in Loop: Header=BB4_124 Depth=2
	v_and_b32_e32 v18, 7, v10
	v_ffbh_u32_e32 v11, v18
	v_lshrrev_b32_e32 v26, 3, v15
	v_cmp_gt_u32_e32 vcc, 8, v15
	v_min_u32_e32 v15, 32, v11
	v_subrev_u32_e32 v11, 28, v15
	v_lshlrev_b64 v[10:11], v11, v[10:11]
	v_sub_u32_e32 v11, 29, v15
	v_and_b32_e32 v10, 7, v10
	v_cndmask_b32_e32 v11, v26, v11, vcc
	v_cndmask_b32_e32 v10, v18, v10, vcc
	v_lshlrev_b32_e32 v15, 8, v13
	v_lshlrev_b32_e32 v10, 20, v10
	v_and_b32_e32 v15, 0x80000000, v15
	v_lshl_add_u32 v11, v11, 23, v58
	v_or3_b32 v11, v15, v11, v10
.LBB4_1686:                             ;   in Loop: Header=BB4_124 Depth=2
	s_or_b64 exec, exec, s[88:89]
.LBB4_1687:                             ;   in Loop: Header=BB4_124 Depth=2
	s_or_b64 exec, exec, s[78:79]
.LBB4_1688:                             ;   in Loop: Header=BB4_124 Depth=2
	s_or_b64 exec, exec, s[20:21]
	v_add_f32_e32 v10, v14, v11
	v_and_b32_e32 v14, 0x7f800000, v10
	v_mov_b32_e32 v15, v37
	v_cmp_ne_u64_e32 vcc, s[56:57], v[14:15]
                                        ; implicit-def: $vgpr14
	s_and_saveexec_b64 s[20:21], vcc
	s_xor_b64 s[78:79], exec, s[20:21]
	s_cbranch_execz .LBB4_1702
; %bb.1689:                             ;   in Loop: Header=BB4_124 Depth=2
	v_and_b32_e32 v14, 0x7fffffff, v10
	v_mov_b32_e32 v15, v37
	v_cmp_gt_u64_e32 vcc, s[58:59], v[14:15]
	v_and_b32_sdwa v18, v10, s53 dst_sel:DWORD dst_unused:UNUSED_PAD src0_sel:BYTE_3 src1_sel:DWORD
                                        ; implicit-def: $vgpr14
	s_and_saveexec_b64 s[20:21], vcc
	s_xor_b64 s[88:89], exec, s[20:21]
	s_cbranch_execz .LBB4_1699
; %bb.1690:                             ;   in Loop: Header=BB4_124 Depth=2
	v_mov_b32_e32 v14, 0
	v_cmp_ne_u32_e32 vcc, 0, v10
	s_and_saveexec_b64 s[90:91], vcc
	s_cbranch_execz .LBB4_1698
; %bb.1691:                             ;   in Loop: Header=BB4_124 Depth=2
	v_bfe_u32 v26, v10, 23, 8
	v_and_b32_e32 v11, 0x7fffff, v10
	v_cmp_gt_u32_e64 s[20:21], s54, v26
	v_sub_u32_e32 v10, 0x79, v26
	v_cmp_eq_u32_e32 vcc, 0, v26
	v_cndmask_b32_e64 v10, 0, v10, s[20:21]
	v_or_b32_e32 v14, 0x800000, v11
	v_cndmask_b32_e32 v28, v10, v31, vcc
	v_cndmask_b32_e32 v10, v14, v11, vcc
	v_add_u32_e32 v14, 20, v28
	v_lshlrev_b64 v[14:15], v14, -1
	v_mov_b32_e32 v11, v37
	v_add_u32_e32 v29, 19, v28
	v_bfi_b32 v14, v14, 0, v10
	v_lshlrev_b64 v[48:49], v29, 1
	v_lshrrev_b64 v[10:11], v28, v[10:11]
	v_bfi_b32 v15, v15, 0, 0
	v_cmp_eq_u64_e64 s[20:21], v[14:15], v[48:49]
	v_mov_b32_e32 v15, v11
	v_mov_b32_e32 v14, v10
	s_and_saveexec_b64 s[92:93], s[20:21]
; %bb.1692:                             ;   in Loop: Header=BB4_124 Depth=2
	v_bfe_u32 v11, v10, 20, 1
	v_add_co_u32_e64 v11, s[20:21], v10, v11
	v_add_co_u32_e64 v14, s[20:21], -1, v11
; %bb.1693:                             ;   in Loop: Header=BB4_124 Depth=2
	s_or_b64 exec, exec, s[92:93]
	v_add_u32_e32 v11, 0xffffff81, v26
	v_cndmask_b32_e32 v11, v11, v62, vcc
	v_lshrrev_b32_e32 v15, 23, v10
	v_add3_u32 v26, v28, v11, v15
	v_add_u32_e32 v15, 6, v26
	v_and_b32_e32 v11, 0xfffff, v14
	v_add_u32_e32 v10, v11, v10
	v_mov_b32_e32 v11, v37
	v_cmp_ne_u32_e32 vcc, 0, v15
                                        ; implicit-def: $vgpr14
	s_and_saveexec_b64 s[20:21], vcc
	s_xor_b64 s[20:21], exec, s[20:21]
; %bb.1694:                             ;   in Loop: Header=BB4_124 Depth=2
	v_cmp_lt_u64_e32 vcc, s[60:61], v[10:11]
	v_add_u32_e32 v14, 7, v26
	v_cndmask_b32_e32 v14, v15, v14, vcc
	v_cndmask_b32_e64 v15, 0, 1, vcc
	v_lshrrev_b64 v[10:11], v15, v[10:11]
; %bb.1695:                             ;   in Loop: Header=BB4_124 Depth=2
	s_andn2_saveexec_b64 s[20:21], s[20:21]
; %bb.1696:                             ;   in Loop: Header=BB4_124 Depth=2
	v_bfe_u32 v14, v10, 23, 1
; %bb.1697:                             ;   in Loop: Header=BB4_124 Depth=2
	s_or_b64 exec, exec, s[20:21]
	v_lshrrev_b64 v[10:11], 20, v[10:11]
	v_cmp_gt_i32_e32 vcc, 16, v14
	v_cndmask_b32_e32 v11, 0, v11, vcc
	v_cndmask_b32_e32 v10, 7, v10, vcc
	v_cmp_eq_u64_e64 s[20:21], 0, v[10:11]
	v_min_i32_e32 v11, 15, v14
	v_lshlrev_b32_e32 v11, 3, v11
	v_cmp_eq_u32_e32 vcc, 0, v14
	v_and_b32_e32 v11, 0xf8, v11
	v_and_or_b32 v10, v10, 7, v11
	s_and_b64 s[20:21], vcc, s[20:21]
	v_cndmask_b32_e64 v10, v10, 0, s[20:21]
	v_or_b32_e32 v14, v10, v18
.LBB4_1698:                             ;   in Loop: Header=BB4_124 Depth=2
	s_or_b64 exec, exec, s[90:91]
                                        ; implicit-def: $vgpr18
.LBB4_1699:                             ;   in Loop: Header=BB4_124 Depth=2
	s_andn2_saveexec_b64 s[20:21], s[88:89]
; %bb.1700:                             ;   in Loop: Header=BB4_124 Depth=2
	v_or_b32_e32 v14, 0x7e, v18
; %bb.1701:                             ;   in Loop: Header=BB4_124 Depth=2
	s_or_b64 exec, exec, s[20:21]
                                        ; implicit-def: $vgpr10
.LBB4_1702:                             ;   in Loop: Header=BB4_124 Depth=2
	s_andn2_saveexec_b64 s[20:21], s[78:79]
; %bb.1703:                             ;   in Loop: Header=BB4_124 Depth=2
	v_or_b32_sdwa v14, v10, s51 dst_sel:DWORD dst_unused:UNUSED_PAD src0_sel:BYTE_3 src1_sel:DWORD
; %bb.1704:                             ;   in Loop: Header=BB4_124 Depth=2
	s_or_b64 exec, exec, s[20:21]
	v_cmp_lt_u32_e32 vcc, s63, v36
	v_mov_b32_e32 v11, 0
	v_mov_b32_e32 v15, 0
	s_and_saveexec_b64 s[20:21], vcc
	s_cbranch_execz .LBB4_1710
; %bb.1705:                             ;   in Loop: Header=BB4_124 Depth=2
	v_lshrrev_b32_e32 v10, 24, v36
	v_cmp_ne_u32_sdwa s[88:89], v36, s53 src0_sel:BYTE_3 src1_sel:DWORD
	v_bfrev_b32_e32 v15, 1
	s_and_saveexec_b64 s[78:79], s[88:89]
	s_cbranch_execz .LBB4_1709
; %bb.1706:                             ;   in Loop: Header=BB4_124 Depth=2
	v_bfe_u32 v18, v36, 24, 7
	v_cmp_ne_u32_e32 vcc, s51, v18
	v_mov_b32_e32 v15, 0x7f800001
	s_and_saveexec_b64 s[88:89], vcc
	s_cbranch_execz .LBB4_1708
; %bb.1707:                             ;   in Loop: Header=BB4_124 Depth=2
	v_and_b32_e32 v15, 7, v10
	v_lshrrev_b32_e32 v26, 3, v18
	v_cmp_gt_u32_e32 vcc, 8, v18
	v_ffbh_u32_e32 v18, v15
	v_min_u32_e32 v18, 32, v18
	v_subrev_u32_e32 v28, 28, v18
	v_lshlrev_b64 v[28:29], v28, v[10:11]
	v_sub_u32_e32 v10, 29, v18
	v_and_b32_e32 v18, 7, v28
	v_cndmask_b32_e32 v15, v15, v18, vcc
	v_mov_b32_e32 v18, 24
	v_cndmask_b32_e32 v10, v26, v10, vcc
	v_lshlrev_b32_sdwa v18, v18, v36 dst_sel:DWORD dst_unused:UNUSED_PAD src0_sel:DWORD src1_sel:BYTE_3
	v_lshlrev_b32_e32 v15, 20, v15
	v_and_b32_e32 v18, 0x80000000, v18
	v_lshl_add_u32 v10, v10, 23, v58
	v_or3_b32 v15, v18, v10, v15
.LBB4_1708:                             ;   in Loop: Header=BB4_124 Depth=2
	s_or_b64 exec, exec, s[88:89]
.LBB4_1709:                             ;   in Loop: Header=BB4_124 Depth=2
	s_or_b64 exec, exec, s[78:79]
.LBB4_1710:                             ;   in Loop: Header=BB4_124 Depth=2
	s_or_b64 exec, exec, s[20:21]
	v_cmp_lt_u64_e32 vcc, s[62:63], v[12:13]
	s_and_saveexec_b64 s[20:21], vcc
	s_cbranch_execz .LBB4_1716
; %bb.1711:                             ;   in Loop: Header=BB4_124 Depth=2
	v_lshrrev_b32_e32 v10, 24, v13
	v_cmp_ne_u32_e32 vcc, s53, v10
	v_bfrev_b32_e32 v11, 1
	s_and_saveexec_b64 s[78:79], vcc
	s_cbranch_execz .LBB4_1715
; %bb.1712:                             ;   in Loop: Header=BB4_124 Depth=2
	v_bfe_u32 v12, v13, 24, 7
	v_cmp_ne_u32_e32 vcc, s51, v12
	v_mov_b32_e32 v11, 0x7f800001
	s_and_saveexec_b64 s[88:89], vcc
	s_cbranch_execz .LBB4_1714
; %bb.1713:                             ;   in Loop: Header=BB4_124 Depth=2
	v_and_b32_e32 v13, 7, v10
	v_ffbh_u32_e32 v11, v13
	v_min_u32_e32 v26, 32, v11
	v_subrev_u32_e32 v11, 28, v26
	v_lshrrev_b32_e32 v18, 3, v12
	v_cmp_gt_u32_e32 vcc, 8, v12
	v_lshlrev_b64 v[11:12], v11, v[10:11]
	v_sub_u32_e32 v12, 29, v26
	v_and_b32_e32 v11, 7, v11
	v_cndmask_b32_e32 v12, v18, v12, vcc
	v_cndmask_b32_e32 v11, v13, v11, vcc
	v_lshlrev_b32_e32 v10, 24, v10
	v_lshlrev_b32_e32 v11, 20, v11
	v_and_b32_e32 v10, 0x80000000, v10
	v_lshl_add_u32 v12, v12, 23, v58
	v_or3_b32 v11, v10, v12, v11
.LBB4_1714:                             ;   in Loop: Header=BB4_124 Depth=2
	s_or_b64 exec, exec, s[88:89]
.LBB4_1715:                             ;   in Loop: Header=BB4_124 Depth=2
	s_or_b64 exec, exec, s[78:79]
.LBB4_1716:                             ;   in Loop: Header=BB4_124 Depth=2
	s_or_b64 exec, exec, s[20:21]
	v_add_f32_e32 v11, v15, v11
	v_and_b32_e32 v36, 0x7f800000, v11
	v_cmp_ne_u64_e32 vcc, s[56:57], v[36:37]
                                        ; implicit-def: $vgpr10
	s_and_saveexec_b64 s[20:21], vcc
	s_xor_b64 s[78:79], exec, s[20:21]
	s_cbranch_execz .LBB4_1730
; %bb.1717:                             ;   in Loop: Header=BB4_124 Depth=2
	v_and_b32_e32 v36, 0x7fffffff, v11
	v_cmp_gt_u64_e32 vcc, s[58:59], v[36:37]
	v_and_b32_sdwa v13, v11, s53 dst_sel:DWORD dst_unused:UNUSED_PAD src0_sel:BYTE_3 src1_sel:DWORD
                                        ; implicit-def: $vgpr10
	s_and_saveexec_b64 s[20:21], vcc
	s_xor_b64 s[88:89], exec, s[20:21]
	s_cbranch_execz .LBB4_1727
; %bb.1718:                             ;   in Loop: Header=BB4_124 Depth=2
	v_mov_b32_e32 v10, 0
	v_cmp_ne_u32_e32 vcc, 0, v11
	s_and_saveexec_b64 s[90:91], vcc
	s_cbranch_execz .LBB4_1726
; %bb.1719:                             ;   in Loop: Header=BB4_124 Depth=2
	v_bfe_u32 v15, v11, 23, 8
	v_and_b32_e32 v10, 0x7fffff, v11
	v_cmp_gt_u32_e64 s[20:21], s54, v15
	v_sub_u32_e32 v11, 0x79, v15
	v_cmp_eq_u32_e32 vcc, 0, v15
	v_cndmask_b32_e64 v11, 0, v11, s[20:21]
	v_or_b32_e32 v12, 0x800000, v10
	v_cndmask_b32_e32 v18, v11, v31, vcc
	v_cndmask_b32_e32 v36, v12, v10, vcc
	v_add_u32_e32 v10, 20, v18
	v_lshlrev_b64 v[10:11], v10, -1
	v_add_u32_e32 v12, 19, v18
	v_lshlrev_b64 v[28:29], v12, 1
	v_bfi_b32 v11, v11, 0, 0
	v_bfi_b32 v10, v10, 0, v36
	v_cmp_eq_u64_e64 s[20:21], v[10:11], v[28:29]
	v_lshrrev_b64 v[10:11], v18, v[36:37]
	v_mov_b32_e32 v12, v11
	v_mov_b32_e32 v11, v10
	s_and_saveexec_b64 s[92:93], s[20:21]
; %bb.1720:                             ;   in Loop: Header=BB4_124 Depth=2
	v_bfe_u32 v11, v10, 20, 1
	v_add_co_u32_e64 v11, s[20:21], v10, v11
	v_add_co_u32_e64 v11, s[20:21], -1, v11
; %bb.1721:                             ;   in Loop: Header=BB4_124 Depth=2
	s_or_b64 exec, exec, s[92:93]
	v_add_u32_e32 v12, 0xffffff81, v15
	v_cndmask_b32_e32 v12, v12, v62, vcc
	v_lshrrev_b32_e32 v15, 23, v10
	v_add3_u32 v18, v18, v12, v15
	v_add_u32_e32 v15, 6, v18
	v_and_b32_e32 v11, 0xfffff, v11
	v_add_u32_e32 v36, v11, v10
	v_cmp_ne_u32_e32 vcc, 0, v15
                                        ; implicit-def: $vgpr10_vgpr11
                                        ; implicit-def: $vgpr12
	s_and_saveexec_b64 s[20:21], vcc
	s_xor_b64 s[20:21], exec, s[20:21]
; %bb.1722:                             ;   in Loop: Header=BB4_124 Depth=2
	v_cmp_lt_u64_e32 vcc, s[60:61], v[36:37]
	v_add_u32_e32 v10, 7, v18
	v_cndmask_b32_e32 v12, v15, v10, vcc
	v_cndmask_b32_e64 v10, 0, 1, vcc
	v_lshrrev_b64 v[10:11], v10, v[36:37]
; %bb.1723:                             ;   in Loop: Header=BB4_124 Depth=2
	s_andn2_saveexec_b64 s[20:21], s[20:21]
; %bb.1724:                             ;   in Loop: Header=BB4_124 Depth=2
	v_mov_b32_e32 v10, v36
	v_bfe_u32 v12, v36, 23, 1
	v_mov_b32_e32 v11, v37
; %bb.1725:                             ;   in Loop: Header=BB4_124 Depth=2
	s_or_b64 exec, exec, s[20:21]
	v_lshrrev_b64 v[10:11], 20, v[10:11]
	v_cmp_gt_i32_e32 vcc, 16, v12
	v_cndmask_b32_e32 v11, 0, v11, vcc
	v_cndmask_b32_e32 v10, 7, v10, vcc
	v_cmp_eq_u64_e64 s[20:21], 0, v[10:11]
	v_min_i32_e32 v11, 15, v12
	v_lshlrev_b32_e32 v11, 3, v11
	v_cmp_eq_u32_e32 vcc, 0, v12
	v_and_b32_e32 v11, 0xf8, v11
	v_and_or_b32 v10, v10, 7, v11
	s_and_b64 s[20:21], vcc, s[20:21]
	v_cndmask_b32_e64 v10, v10, 0, s[20:21]
	v_or_b32_e32 v10, v10, v13
.LBB4_1726:                             ;   in Loop: Header=BB4_124 Depth=2
	s_or_b64 exec, exec, s[90:91]
                                        ; implicit-def: $vgpr13
.LBB4_1727:                             ;   in Loop: Header=BB4_124 Depth=2
	s_andn2_saveexec_b64 s[20:21], s[88:89]
; %bb.1728:                             ;   in Loop: Header=BB4_124 Depth=2
	v_or_b32_e32 v10, 0x7e, v13
; %bb.1729:                             ;   in Loop: Header=BB4_124 Depth=2
	s_or_b64 exec, exec, s[20:21]
                                        ; implicit-def: $vgpr11
.LBB4_1730:                             ;   in Loop: Header=BB4_124 Depth=2
	s_andn2_saveexec_b64 s[20:21], s[78:79]
	s_cbranch_execz .LBB4_123
; %bb.1731:                             ;   in Loop: Header=BB4_124 Depth=2
	v_or_b32_sdwa v10, v11, s51 dst_sel:DWORD dst_unused:UNUSED_PAD src0_sel:BYTE_3 src1_sel:DWORD
	s_branch .LBB4_123
.LBB4_1732:                             ;   in Loop: Header=BB4_49 Depth=1
	s_mov_b64 s[20:21], 0
	s_and_saveexec_b64 s[22:23], s[10:11]
	s_cbranch_execnz .LBB4_3555
	s_branch .LBB4_3573
.LBB4_1733:                             ;   in Loop: Header=BB4_49 Depth=1
	s_or_b64 exec, exec, s[76:77]
	buffer_load_dword v44, off, s[0:3], s33 offset:176 ; 4-byte Folded Reload
	buffer_load_dword v45, off, s[0:3], s33 offset:180 ; 4-byte Folded Reload
	;; [unrolled: 1-line block ×4, first 2 shown]
.LBB4_1734:                             ;   in Loop: Header=BB4_49 Depth=1
	s_or_b64 exec, exec, s[22:23]
	buffer_load_dword v0, off, s[0:3], s33 offset:152 ; 4-byte Folded Reload
	s_mov_b64 s[20:21], 0
                                        ; implicit-def: $vgpr1
                                        ; implicit-def: $vgpr4
	s_waitcnt vmcnt(0)
	v_and_b32_e32 v2, 0x3ffff800, v0
	v_cmp_ne_u32_e32 vcc, v0, v2
	v_mov_b32_e32 v0, 0
	s_and_saveexec_b64 s[76:77], vcc
	s_cbranch_execz .LBB4_2548
; %bb.1735:                             ;   in Loop: Header=BB4_49 Depth=1
	buffer_load_dword v7, off, s[0:3], s33 offset:152 ; 4-byte Folded Reload
	buffer_load_dword v3, off, s[0:3], s33 offset:192 ; 4-byte Folded Reload
	v_lshlrev_b32_e32 v1, 6, v57
	s_waitcnt vmcnt(1)
	v_bfe_u32 v6, v7, 10, 1
	s_waitcnt vmcnt(0)
	v_sub_u32_e32 v1, v3, v1
	v_ashrrev_i32_e32 v3, 31, v1
	v_lshrrev_b32_e32 v3, 26, v3
	v_add_u32_e32 v3, v1, v3
	v_ashrrev_i32_e32 v5, 6, v3
	v_and_b32_e32 v3, 0xffffffc0, v3
	v_sub_u32_e32 v4, v1, v3
	v_lshlrev_b32_e32 v1, 4, v4
	v_lshl_add_u32 v3, v5, 10, v1
	v_and_b32_e32 v1, 0x3ff, v7
	v_cmp_lt_u32_e64 s[20:21], 15, v1
	v_and_b32_e32 v0, 0x7ff, v7
	v_addc_co_u32_e64 v6, vcc, 0, v6, s[20:21]
	v_sub_u32_e32 v0, v0, v3
	v_sub_u32_e32 v5, v6, v5
	v_cmp_lt_i32_e32 vcc, 15, v0
	s_mov_b64 s[78:79], exec
	buffer_load_dword v50, off, s[0:3], s33 offset:136 ; 4-byte Folded Reload
	s_and_b64 s[22:23], s[78:79], vcc
	s_mov_b64 exec, s[22:23]
	s_cbranch_execz .LBB4_2547
; %bb.1736:                             ;   in Loop: Header=BB4_49 Depth=1
	s_trap 2
	buffer_load_dword v51, off, s[0:3], s33 offset:156 ; 4-byte Folded Reload
	v_add_u32_e32 v6, v3, v2
	ds_read_b64 v[2:3], v0
	v_ashrrev_i32_e32 v7, 31, v6
	v_add_co_u32_e32 v14, vcc, v6, v8
	v_addc_co_u32_e32 v15, vcc, v7, v9, vcc
	s_waitcnt lgkmcnt(0)
	v_readfirstlane_b32 s22, v2
	s_and_b32 s23, s22, 7
	s_flbit_i32_b32 s23, s23
	s_min_u32 s23, s23, 32
	s_and_b32 s88, s22, 0x7f
	s_bfe_u32 s89, s22, 0x40003
	s_sub_i32 s90, s23, 28
	s_sub_i32 s23, 29, s23
	s_cmp_lt_u32 s88, 8
	v_add_co_u32_e32 v16, vcc, v2, v6
	s_cselect_b32 s90, s90, 0
	s_cselect_b32 s23, s23, s89
	v_mov_b32_e32 v47, v9
	v_addc_co_u32_e32 v17, vcc, v3, v7, vcc
	v_lshlrev_b64 v[2:3], s90, v[2:3]
	s_lshl_b32 s89, s22, 24
	s_lshl_b32 s23, s23, 23
	v_mov_b32_e32 v46, v8
	v_mov_b32_e32 v8, v44
	s_and_b32 s89, s89, 0x80000000
	s_add_i32 s23, s23, 0x3c000000
	v_mov_b32_e32 v9, v45
	v_add_co_u32_e32 v54, vcc, v6, v8
	v_lshlrev_b32_e32 v2, 20, v2
	s_or_b32 s23, s89, s23
	v_addc_co_u32_e32 v55, vcc, v7, v9, vcc
	v_and_b32_e32 v2, 0x700000, v2
	s_cmpk_lg_i32 s88, 0x7f
	v_or_b32_e32 v2, s23, v2
	s_cselect_b64 vcc, -1, 0
	v_mov_b32_e32 v52, 0x7f800001
	v_cndmask_b32_e32 v6, v52, v2, vcc
	s_mov_b64 s[88:89], 0
	s_and_b32 s34, s22, 0xff
	v_bfrev_b32_e32 v53, 1
	s_branch .LBB4_1738
.LBB4_1737:                             ;   in Loop: Header=BB4_1738 Depth=2
	s_or_b64 exec, exec, s[22:23]
	v_lshl_or_b32 v11, v25, 8, v20
	v_lshlrev_b32_e32 v12, 16, v27
	v_lshlrev_b32_e32 v13, 24, v30
	v_or3_b32 v28, v11, v12, v13
	v_lshl_or_b32 v2, v7, 8, v2
	v_lshlrev_b32_e32 v7, 16, v18
	v_lshlrev_b32_e32 v11, 24, v23
	v_add_co_u32_e32 v14, vcc, v14, v51
	v_or3_b32 v27, v2, v7, v11
	v_lshl_or_b32 v2, v21, 8, v8
	v_lshlrev_b32_e32 v7, 16, v24
	v_lshlrev_b32_e32 v8, 24, v26
	v_addc_co_u32_e32 v15, vcc, 0, v15, vcc
	v_or3_b32 v29, v2, v7, v8
	v_lshlrev_b32_e32 v2, 24, v10
	v_lshlrev_b32_e32 v7, 16, v19
	v_lshl_or_b32 v3, v9, 8, v3
	v_add_co_u32_e32 v16, vcc, v16, v51
	v_or3_b32 v30, v3, v7, v2
	v_addc_co_u32_e32 v17, vcc, 0, v17, vcc
	global_store_dwordx4 v[54:55], v[27:30], off glc slc
	v_add_co_u32_e32 v54, vcc, v54, v51
	v_addc_co_u32_e32 v55, vcc, 0, v55, vcc
	v_sub_u32_e32 v0, v0, v51
	v_cmp_gt_i32_e32 vcc, 16, v0
	s_or_b64 s[88:89], vcc, s[88:89]
	v_sub_u32_e32 v5, v5, v50
	s_andn2_b64 exec, exec, s[88:89]
	s_cbranch_execz .LBB4_2546
.LBB4_1738:                             ;   Parent Loop BB4_49 Depth=1
                                        ; =>  This Inner Loop Header: Depth=2
	s_cmpk_lt_i32 s34, 0x80
	s_cbranch_scc1 .LBB4_1742
; %bb.1739:                             ;   in Loop: Header=BB4_1738 Depth=2
	s_and_b32 s90, 0xffff, s34
	s_mov_b64 s[22:23], -1
	s_cmpk_eq_i32 s90, 0x80
	s_cbranch_scc0 .LBB4_1741
; %bb.1740:                             ;   in Loop: Header=BB4_1738 Depth=2
	s_mov_b64 s[22:23], 0
.LBB4_1741:                             ;   in Loop: Header=BB4_1738 Depth=2
	s_brev_b32 s92, 1
	s_branch .LBB4_1744
.LBB4_1742:                             ;   in Loop: Header=BB4_1738 Depth=2
	s_mov_b64 s[22:23], 0
	s_brev_b32 s92, 1
	s_cbranch_execz .LBB4_1744
; %bb.1743:                             ;   in Loop: Header=BB4_1738 Depth=2
	s_and_b32 s22, 0xffff, s34
	s_cmp_lg_u32 s22, 0
	s_mov_b32 s92, 0
	s_cselect_b64 s[22:23], -1, 0
.LBB4_1744:                             ;   in Loop: Header=BB4_1738 Depth=2
	s_andn2_b64 vcc, exec, s[22:23]
	v_mov_b32_e32 v7, s92
	s_cbranch_vccnz .LBB4_1746
; %bb.1745:                             ;   in Loop: Header=BB4_1738 Depth=2
	v_mov_b32_e32 v7, v6
.LBB4_1746:                             ;   in Loop: Header=BB4_1738 Depth=2
	global_load_dwordx4 v[10:13], v[14:15], off glc slc
	v_mov_b32_e32 v2, 0
	s_waitcnt vmcnt(0)
	v_cmp_ne_u16_sdwa s[90:91], v10, v37 src0_sel:BYTE_0 src1_sel:DWORD
	s_and_saveexec_b64 s[22:23], s[90:91]
	s_cbranch_execz .LBB4_1752
; %bb.1747:                             ;   in Loop: Header=BB4_1738 Depth=2
	v_cmp_ne_u16_sdwa s[92:93], v10, s53 src0_sel:BYTE_0 src1_sel:DWORD
	v_bfrev_b32_e32 v2, 1
	s_and_saveexec_b64 s[90:91], s[92:93]
	s_cbranch_execz .LBB4_1751
; %bb.1748:                             ;   in Loop: Header=BB4_1738 Depth=2
	v_and_b32_e32 v3, 0x7f, v10
	v_cmp_ne_u32_e32 vcc, s51, v3
	v_mov_b32_e32 v2, 0x7f800001
	s_and_saveexec_b64 s[92:93], vcc
	s_cbranch_execz .LBB4_1750
; %bb.1749:                             ;   in Loop: Header=BB4_1738 Depth=2
	v_and_b32_e32 v2, 7, v10
	v_ffbh_u32_e32 v2, v2
	v_min_u32_e32 v2, 32, v2
	v_lshrrev_b32_e32 v8, 3, v3
	v_cmp_gt_u32_e32 vcc, 8, v3
	v_subrev_u32_e32 v3, 28, v2
	v_sub_u32_e32 v2, 29, v2
	v_cndmask_b32_e32 v8, v8, v2, vcc
	v_cndmask_b32_e32 v2, 0, v3, vcc
	v_lshlrev_b64 v[2:3], v2, v[10:11]
	v_lshlrev_b32_e32 v3, 24, v10
	v_lshlrev_b32_e32 v2, 20, v2
	v_and_b32_e32 v2, 0x700000, v2
	v_and_b32_e32 v3, 0x80000000, v3
	v_lshl_add_u32 v8, v8, 23, v58
	v_or3_b32 v2, v3, v8, v2
.LBB4_1750:                             ;   in Loop: Header=BB4_1738 Depth=2
	s_or_b64 exec, exec, s[92:93]
.LBB4_1751:                             ;   in Loop: Header=BB4_1738 Depth=2
	s_or_b64 exec, exec, s[90:91]
.LBB4_1752:                             ;   in Loop: Header=BB4_1738 Depth=2
	s_or_b64 exec, exec, s[22:23]
	v_mul_f32_e32 v8, v7, v2
	v_and_b32_e32 v36, 0x7f800000, v8
	v_cmp_ne_u64_e32 vcc, s[56:57], v[36:37]
                                        ; implicit-def: $vgpr2
	s_and_saveexec_b64 s[22:23], vcc
	s_xor_b64 s[90:91], exec, s[22:23]
	s_cbranch_execz .LBB4_1766
; %bb.1753:                             ;   in Loop: Header=BB4_1738 Depth=2
	v_and_b32_e32 v36, 0x7fffffff, v8
	v_cmp_gt_u64_e32 vcc, s[58:59], v[36:37]
	v_and_b32_sdwa v3, v8, s53 dst_sel:DWORD dst_unused:UNUSED_PAD src0_sel:BYTE_3 src1_sel:DWORD
                                        ; implicit-def: $vgpr2
	s_and_saveexec_b64 s[22:23], vcc
	s_xor_b64 s[92:93], exec, s[22:23]
	s_cbranch_execz .LBB4_1763
; %bb.1754:                             ;   in Loop: Header=BB4_1738 Depth=2
	v_mov_b32_e32 v2, 0
	v_cmp_ne_u32_e32 vcc, 0, v8
	s_and_saveexec_b64 s[94:95], vcc
	s_cbranch_execz .LBB4_1762
; %bb.1755:                             ;   in Loop: Header=BB4_1738 Depth=2
	v_bfe_u32 v2, v8, 23, 8
	v_and_b32_e32 v9, 0x7fffff, v8
	v_cmp_gt_u32_e64 s[22:23], s54, v2
	v_sub_u32_e32 v8, 0x79, v2
	v_cmp_eq_u32_e32 vcc, 0, v2
	v_cndmask_b32_e64 v8, 0, v8, s[22:23]
	v_or_b32_e32 v18, 0x800000, v9
	v_cndmask_b32_e32 v8, v8, v31, vcc
	v_cndmask_b32_e32 v36, v18, v9, vcc
	v_add_u32_e32 v9, 20, v8
	v_lshlrev_b64 v[18:19], v9, -1
	v_add_u32_e32 v9, 19, v8
	v_lshlrev_b64 v[20:21], v9, 1
	v_lshrrev_b64 v[40:41], v8, v[36:37]
	v_bfi_b32 v19, v19, 0, 0
	v_bfi_b32 v18, v18, 0, v36
	v_cmp_eq_u64_e64 s[22:23], v[18:19], v[20:21]
	v_mov_b32_e32 v42, v41
	v_mov_b32_e32 v41, v40
	s_and_saveexec_b64 s[30:31], s[22:23]
; %bb.1756:                             ;   in Loop: Header=BB4_1738 Depth=2
	v_bfe_u32 v9, v40, 20, 1
	v_add_co_u32_e64 v9, s[22:23], v40, v9
	v_add_co_u32_e64 v41, s[22:23], -1, v9
; %bb.1757:                             ;   in Loop: Header=BB4_1738 Depth=2
	s_or_b64 exec, exec, s[30:31]
	v_add_u32_e32 v2, 0xffffff81, v2
	v_cndmask_b32_e32 v2, v2, v62, vcc
	v_lshrrev_b32_e32 v9, 23, v40
	v_add3_u32 v9, v8, v2, v9
	v_add_u32_e32 v8, 6, v9
	v_and_b32_e32 v2, 0xfffff, v41
	v_add_u32_e32 v36, v2, v40
	v_cmp_ne_u32_e32 vcc, 0, v8
                                        ; implicit-def: $vgpr40_vgpr41
                                        ; implicit-def: $vgpr2
	s_and_saveexec_b64 s[22:23], vcc
	s_xor_b64 s[22:23], exec, s[22:23]
; %bb.1758:                             ;   in Loop: Header=BB4_1738 Depth=2
	v_cmp_lt_u64_e32 vcc, s[60:61], v[36:37]
	v_add_u32_e32 v2, 7, v9
	v_cndmask_b32_e32 v2, v8, v2, vcc
	v_cndmask_b32_e64 v8, 0, 1, vcc
	v_lshrrev_b64 v[40:41], v8, v[36:37]
; %bb.1759:                             ;   in Loop: Header=BB4_1738 Depth=2
	s_andn2_saveexec_b64 s[22:23], s[22:23]
; %bb.1760:                             ;   in Loop: Header=BB4_1738 Depth=2
	v_mov_b32_e32 v41, v37
	v_bfe_u32 v2, v36, 23, 1
	v_mov_b32_e32 v40, v36
; %bb.1761:                             ;   in Loop: Header=BB4_1738 Depth=2
	s_or_b64 exec, exec, s[22:23]
	v_lshrrev_b64 v[8:9], 20, v[40:41]
	v_cmp_gt_i32_e32 vcc, 16, v2
	v_cndmask_b32_e32 v9, 0, v9, vcc
	v_cndmask_b32_e32 v8, 7, v8, vcc
	v_cmp_eq_u32_e32 vcc, 0, v2
	v_min_i32_e32 v2, 15, v2
	v_cmp_eq_u64_e64 s[22:23], 0, v[8:9]
	v_lshlrev_b32_e32 v2, 3, v2
	v_and_b32_e32 v2, 0xf8, v2
	v_and_or_b32 v2, v8, 7, v2
	s_and_b64 s[22:23], vcc, s[22:23]
	v_cndmask_b32_e64 v2, v2, 0, s[22:23]
	v_or_b32_e32 v2, v2, v3
.LBB4_1762:                             ;   in Loop: Header=BB4_1738 Depth=2
	s_or_b64 exec, exec, s[94:95]
                                        ; implicit-def: $vgpr3
.LBB4_1763:                             ;   in Loop: Header=BB4_1738 Depth=2
	s_andn2_saveexec_b64 s[22:23], s[92:93]
; %bb.1764:                             ;   in Loop: Header=BB4_1738 Depth=2
	v_or_b32_e32 v2, 0x7e, v3
; %bb.1765:                             ;   in Loop: Header=BB4_1738 Depth=2
	s_or_b64 exec, exec, s[22:23]
                                        ; implicit-def: $vgpr8
.LBB4_1766:                             ;   in Loop: Header=BB4_1738 Depth=2
	s_andn2_saveexec_b64 s[22:23], s[90:91]
; %bb.1767:                             ;   in Loop: Header=BB4_1738 Depth=2
	v_or_b32_sdwa v2, v8, s51 dst_sel:DWORD dst_unused:UNUSED_PAD src0_sel:BYTE_3 src1_sel:DWORD
; %bb.1768:                             ;   in Loop: Header=BB4_1738 Depth=2
	s_or_b64 exec, exec, s[22:23]
	v_lshrrev_b16_e32 v30, 8, v10
	v_cmp_ne_u16_e32 vcc, 0, v30
	v_mov_b32_e32 v3, 0
	s_and_saveexec_b64 s[22:23], vcc
	s_cbranch_execz .LBB4_1774
; %bb.1769:                             ;   in Loop: Header=BB4_1738 Depth=2
	v_cmp_ne_u16_e32 vcc, s53, v30
	v_bfrev_b32_e32 v3, 1
	s_and_saveexec_b64 s[90:91], vcc
	s_cbranch_execz .LBB4_1773
; %bb.1770:                             ;   in Loop: Header=BB4_1738 Depth=2
	v_and_b32_e32 v8, 0x7f, v30
	v_cmp_ne_u32_e32 vcc, s51, v8
	v_mov_b32_e32 v3, 0x7f800001
	s_and_saveexec_b64 s[92:93], vcc
	s_cbranch_execz .LBB4_1772
; %bb.1771:                             ;   in Loop: Header=BB4_1738 Depth=2
	v_and_b32_e32 v3, 7, v30
	v_lshrrev_b32_e32 v18, 3, v8
	v_cmp_gt_u32_e32 vcc, 8, v8
	v_ffbh_u32_e32 v8, v3
	v_min_u32_e32 v19, 32, v8
	v_subrev_u32_e32 v8, 28, v19
	v_lshlrev_b64 v[8:9], v8, v[30:31]
	v_sub_u32_e32 v9, 29, v19
	v_and_b32_e32 v8, 7, v8
	v_cndmask_b32_e32 v9, v18, v9, vcc
	v_cndmask_b32_e32 v3, v3, v8, vcc
	v_lshlrev_b32_e32 v8, 16, v10
	v_lshlrev_b32_e32 v3, 20, v3
	v_and_b32_e32 v8, 0x80000000, v8
	v_lshl_add_u32 v9, v9, 23, v58
	v_or3_b32 v3, v8, v9, v3
.LBB4_1772:                             ;   in Loop: Header=BB4_1738 Depth=2
	s_or_b64 exec, exec, s[92:93]
.LBB4_1773:                             ;   in Loop: Header=BB4_1738 Depth=2
	s_or_b64 exec, exec, s[90:91]
.LBB4_1774:                             ;   in Loop: Header=BB4_1738 Depth=2
	s_or_b64 exec, exec, s[22:23]
	v_mul_f32_e32 v8, v7, v3
	v_and_b32_e32 v36, 0x7f800000, v8
	v_cmp_ne_u64_e32 vcc, s[56:57], v[36:37]
                                        ; implicit-def: $vgpr18
	s_and_saveexec_b64 s[22:23], vcc
	s_xor_b64 s[90:91], exec, s[22:23]
	s_cbranch_execz .LBB4_1788
; %bb.1775:                             ;   in Loop: Header=BB4_1738 Depth=2
	v_and_b32_e32 v36, 0x7fffffff, v8
	v_cmp_gt_u64_e32 vcc, s[58:59], v[36:37]
	v_and_b32_sdwa v3, v8, s53 dst_sel:DWORD dst_unused:UNUSED_PAD src0_sel:BYTE_3 src1_sel:DWORD
                                        ; implicit-def: $vgpr18
	s_and_saveexec_b64 s[22:23], vcc
	s_xor_b64 s[92:93], exec, s[22:23]
	s_cbranch_execz .LBB4_1785
; %bb.1776:                             ;   in Loop: Header=BB4_1738 Depth=2
	v_mov_b32_e32 v18, 0
	v_cmp_ne_u32_e32 vcc, 0, v8
	s_and_saveexec_b64 s[94:95], vcc
	s_cbranch_execz .LBB4_1784
; %bb.1777:                             ;   in Loop: Header=BB4_1738 Depth=2
	v_and_b32_e32 v18, 0x7fffff, v8
	v_bfe_u32 v8, v8, 23, 8
	v_cmp_gt_u32_e64 s[22:23], s54, v8
	v_sub_u32_e32 v9, 0x79, v8
	v_cmp_eq_u32_e32 vcc, 0, v8
	v_cndmask_b32_e64 v9, 0, v9, s[22:23]
	v_or_b32_e32 v19, 0x800000, v18
	v_cndmask_b32_e32 v9, v9, v31, vcc
	v_cndmask_b32_e32 v36, v19, v18, vcc
	v_add_u32_e32 v18, 20, v9
	v_lshlrev_b64 v[18:19], v18, -1
	v_add_u32_e32 v20, 19, v9
	v_lshlrev_b64 v[20:21], v20, 1
	v_lshrrev_b64 v[40:41], v9, v[36:37]
	v_bfi_b32 v19, v19, 0, 0
	v_bfi_b32 v18, v18, 0, v36
	v_cmp_eq_u64_e64 s[22:23], v[18:19], v[20:21]
	v_mov_b32_e32 v42, v41
	v_mov_b32_e32 v41, v40
	s_and_saveexec_b64 s[30:31], s[22:23]
; %bb.1778:                             ;   in Loop: Header=BB4_1738 Depth=2
	v_bfe_u32 v18, v40, 20, 1
	v_add_co_u32_e64 v18, s[22:23], v40, v18
	v_add_co_u32_e64 v41, s[22:23], -1, v18
; %bb.1779:                             ;   in Loop: Header=BB4_1738 Depth=2
	s_or_b64 exec, exec, s[30:31]
	v_add_u32_e32 v8, 0xffffff81, v8
	v_cndmask_b32_e32 v8, v8, v62, vcc
	v_lshrrev_b32_e32 v18, 23, v40
	v_add3_u32 v18, v9, v8, v18
	v_add_u32_e32 v9, 6, v18
	v_and_b32_e32 v8, 0xfffff, v41
	v_add_u32_e32 v36, v8, v40
	v_cmp_ne_u32_e32 vcc, 0, v9
                                        ; implicit-def: $vgpr40_vgpr41
                                        ; implicit-def: $vgpr8
	s_and_saveexec_b64 s[22:23], vcc
	s_xor_b64 s[22:23], exec, s[22:23]
; %bb.1780:                             ;   in Loop: Header=BB4_1738 Depth=2
	v_cmp_lt_u64_e32 vcc, s[60:61], v[36:37]
	v_add_u32_e32 v8, 7, v18
	v_cndmask_b32_e32 v8, v9, v8, vcc
	v_cndmask_b32_e64 v9, 0, 1, vcc
	v_lshrrev_b64 v[40:41], v9, v[36:37]
; %bb.1781:                             ;   in Loop: Header=BB4_1738 Depth=2
	s_andn2_saveexec_b64 s[22:23], s[22:23]
; %bb.1782:                             ;   in Loop: Header=BB4_1738 Depth=2
	v_mov_b32_e32 v41, v37
	v_bfe_u32 v8, v36, 23, 1
	v_mov_b32_e32 v40, v36
; %bb.1783:                             ;   in Loop: Header=BB4_1738 Depth=2
	s_or_b64 exec, exec, s[22:23]
	v_lshrrev_b64 v[18:19], 20, v[40:41]
	v_cmp_gt_i32_e32 vcc, 16, v8
	v_cndmask_b32_e32 v19, 0, v19, vcc
	v_cndmask_b32_e32 v18, 7, v18, vcc
	v_cmp_eq_u32_e32 vcc, 0, v8
	v_min_i32_e32 v8, 15, v8
	v_cmp_eq_u64_e64 s[22:23], 0, v[18:19]
	v_lshlrev_b32_e32 v8, 3, v8
	v_and_b32_e32 v8, 0xf8, v8
	v_and_or_b32 v8, v18, 7, v8
	s_and_b64 s[22:23], vcc, s[22:23]
	v_cndmask_b32_e64 v8, v8, 0, s[22:23]
	v_or_b32_e32 v18, v8, v3
.LBB4_1784:                             ;   in Loop: Header=BB4_1738 Depth=2
	s_or_b64 exec, exec, s[94:95]
                                        ; implicit-def: $vgpr3
.LBB4_1785:                             ;   in Loop: Header=BB4_1738 Depth=2
	s_andn2_saveexec_b64 s[22:23], s[92:93]
; %bb.1786:                             ;   in Loop: Header=BB4_1738 Depth=2
	v_or_b32_e32 v18, 0x7e, v3
; %bb.1787:                             ;   in Loop: Header=BB4_1738 Depth=2
	s_or_b64 exec, exec, s[22:23]
                                        ; implicit-def: $vgpr8
.LBB4_1788:                             ;   in Loop: Header=BB4_1738 Depth=2
	s_andn2_saveexec_b64 s[22:23], s[90:91]
; %bb.1789:                             ;   in Loop: Header=BB4_1738 Depth=2
	v_or_b32_sdwa v18, v8, s51 dst_sel:DWORD dst_unused:UNUSED_PAD src0_sel:BYTE_3 src1_sel:DWORD
; %bb.1790:                             ;   in Loop: Header=BB4_1738 Depth=2
	s_or_b64 exec, exec, s[22:23]
	v_lshrrev_b32_e32 v30, 16, v10
	v_cmp_ne_u16_sdwa s[90:91], v30, v37 src0_sel:BYTE_0 src1_sel:DWORD
	v_mov_b32_e32 v3, 0
	s_and_saveexec_b64 s[22:23], s[90:91]
	s_cbranch_execz .LBB4_1796
; %bb.1791:                             ;   in Loop: Header=BB4_1738 Depth=2
	v_cmp_ne_u16_sdwa s[92:93], v30, s53 src0_sel:BYTE_0 src1_sel:DWORD
	v_bfrev_b32_e32 v3, 1
	s_and_saveexec_b64 s[90:91], s[92:93]
	s_cbranch_execz .LBB4_1795
; %bb.1792:                             ;   in Loop: Header=BB4_1738 Depth=2
	v_bfe_u32 v8, v10, 16, 7
	v_cmp_ne_u32_e32 vcc, s51, v8
	v_mov_b32_e32 v3, 0x7f800001
	s_and_saveexec_b64 s[92:93], vcc
	s_cbranch_execz .LBB4_1794
; %bb.1793:                             ;   in Loop: Header=BB4_1738 Depth=2
	v_and_b32_e32 v3, 7, v30
	v_lshrrev_b32_e32 v19, 3, v8
	v_cmp_gt_u32_e32 vcc, 8, v8
	v_ffbh_u32_e32 v8, v3
	v_min_u32_e32 v20, 32, v8
	v_subrev_u32_e32 v8, 28, v20
	v_lshlrev_b64 v[8:9], v8, v[30:31]
	v_sub_u32_e32 v9, 29, v20
	v_and_b32_e32 v8, 7, v8
	v_cndmask_b32_e32 v9, v19, v9, vcc
	v_cndmask_b32_e32 v3, v3, v8, vcc
	v_lshlrev_b32_e32 v8, 24, v30
	v_lshlrev_b32_e32 v3, 20, v3
	v_and_b32_e32 v8, 0x80000000, v8
	v_lshl_add_u32 v9, v9, 23, v58
	v_or3_b32 v3, v8, v9, v3
.LBB4_1794:                             ;   in Loop: Header=BB4_1738 Depth=2
	s_or_b64 exec, exec, s[92:93]
.LBB4_1795:                             ;   in Loop: Header=BB4_1738 Depth=2
	s_or_b64 exec, exec, s[90:91]
.LBB4_1796:                             ;   in Loop: Header=BB4_1738 Depth=2
	s_or_b64 exec, exec, s[22:23]
	v_mul_f32_e32 v8, v7, v3
	v_and_b32_e32 v36, 0x7f800000, v8
	v_cmp_ne_u64_e32 vcc, s[56:57], v[36:37]
                                        ; implicit-def: $vgpr23
	s_and_saveexec_b64 s[22:23], vcc
	s_xor_b64 s[90:91], exec, s[22:23]
	s_cbranch_execz .LBB4_1810
; %bb.1797:                             ;   in Loop: Header=BB4_1738 Depth=2
	v_and_b32_e32 v36, 0x7fffffff, v8
	v_cmp_gt_u64_e32 vcc, s[58:59], v[36:37]
	v_and_b32_sdwa v3, v8, s53 dst_sel:DWORD dst_unused:UNUSED_PAD src0_sel:BYTE_3 src1_sel:DWORD
                                        ; implicit-def: $vgpr23
	s_and_saveexec_b64 s[22:23], vcc
	s_xor_b64 s[92:93], exec, s[22:23]
	s_cbranch_execz .LBB4_1807
; %bb.1798:                             ;   in Loop: Header=BB4_1738 Depth=2
	v_mov_b32_e32 v23, 0
	v_cmp_ne_u32_e32 vcc, 0, v8
	s_and_saveexec_b64 s[94:95], vcc
	s_cbranch_execz .LBB4_1806
; %bb.1799:                             ;   in Loop: Header=BB4_1738 Depth=2
	v_and_b32_e32 v19, 0x7fffff, v8
	v_bfe_u32 v8, v8, 23, 8
	v_cmp_gt_u32_e64 s[22:23], s54, v8
	v_sub_u32_e32 v9, 0x79, v8
	v_cmp_eq_u32_e32 vcc, 0, v8
	v_cndmask_b32_e64 v9, 0, v9, s[22:23]
	v_or_b32_e32 v20, 0x800000, v19
	v_cndmask_b32_e32 v9, v9, v31, vcc
	v_cndmask_b32_e32 v36, v20, v19, vcc
	v_add_u32_e32 v19, 20, v9
	v_lshlrev_b64 v[19:20], v19, -1
	v_add_u32_e32 v21, 19, v9
	v_lshlrev_b64 v[21:22], v21, 1
	v_lshrrev_b64 v[40:41], v9, v[36:37]
	v_bfi_b32 v20, v20, 0, 0
	v_bfi_b32 v19, v19, 0, v36
	v_cmp_eq_u64_e64 s[22:23], v[19:20], v[21:22]
	v_mov_b32_e32 v42, v41
	v_mov_b32_e32 v41, v40
	s_and_saveexec_b64 s[30:31], s[22:23]
; %bb.1800:                             ;   in Loop: Header=BB4_1738 Depth=2
	v_bfe_u32 v19, v40, 20, 1
	v_add_co_u32_e64 v19, s[22:23], v40, v19
	v_add_co_u32_e64 v41, s[22:23], -1, v19
; %bb.1801:                             ;   in Loop: Header=BB4_1738 Depth=2
	s_or_b64 exec, exec, s[30:31]
	v_add_u32_e32 v8, 0xffffff81, v8
	v_cndmask_b32_e32 v8, v8, v62, vcc
	v_lshrrev_b32_e32 v19, 23, v40
	v_add3_u32 v19, v9, v8, v19
	v_add_u32_e32 v9, 6, v19
	v_and_b32_e32 v8, 0xfffff, v41
	v_add_u32_e32 v36, v8, v40
	v_cmp_ne_u32_e32 vcc, 0, v9
                                        ; implicit-def: $vgpr40_vgpr41
                                        ; implicit-def: $vgpr8
	s_and_saveexec_b64 s[22:23], vcc
	s_xor_b64 s[22:23], exec, s[22:23]
; %bb.1802:                             ;   in Loop: Header=BB4_1738 Depth=2
	v_cmp_lt_u64_e32 vcc, s[60:61], v[36:37]
	v_add_u32_e32 v8, 7, v19
	v_cndmask_b32_e32 v8, v9, v8, vcc
	v_cndmask_b32_e64 v9, 0, 1, vcc
	v_lshrrev_b64 v[40:41], v9, v[36:37]
; %bb.1803:                             ;   in Loop: Header=BB4_1738 Depth=2
	s_andn2_saveexec_b64 s[22:23], s[22:23]
; %bb.1804:                             ;   in Loop: Header=BB4_1738 Depth=2
	v_mov_b32_e32 v41, v37
	v_bfe_u32 v8, v36, 23, 1
	v_mov_b32_e32 v40, v36
; %bb.1805:                             ;   in Loop: Header=BB4_1738 Depth=2
	s_or_b64 exec, exec, s[22:23]
	v_lshrrev_b64 v[19:20], 20, v[40:41]
	v_cmp_gt_i32_e32 vcc, 16, v8
	v_cndmask_b32_e32 v20, 0, v20, vcc
	v_cndmask_b32_e32 v19, 7, v19, vcc
	v_cmp_eq_u32_e32 vcc, 0, v8
	v_min_i32_e32 v8, 15, v8
	v_cmp_eq_u64_e64 s[22:23], 0, v[19:20]
	v_lshlrev_b32_e32 v8, 3, v8
	v_and_b32_e32 v8, 0xf8, v8
	v_and_or_b32 v8, v19, 7, v8
	s_and_b64 s[22:23], vcc, s[22:23]
	v_cndmask_b32_e64 v8, v8, 0, s[22:23]
	v_or_b32_e32 v23, v8, v3
.LBB4_1806:                             ;   in Loop: Header=BB4_1738 Depth=2
	s_or_b64 exec, exec, s[94:95]
                                        ; implicit-def: $vgpr3
.LBB4_1807:                             ;   in Loop: Header=BB4_1738 Depth=2
	s_andn2_saveexec_b64 s[22:23], s[92:93]
; %bb.1808:                             ;   in Loop: Header=BB4_1738 Depth=2
	v_or_b32_e32 v23, 0x7e, v3
; %bb.1809:                             ;   in Loop: Header=BB4_1738 Depth=2
	s_or_b64 exec, exec, s[22:23]
                                        ; implicit-def: $vgpr8
.LBB4_1810:                             ;   in Loop: Header=BB4_1738 Depth=2
	s_andn2_saveexec_b64 s[22:23], s[90:91]
; %bb.1811:                             ;   in Loop: Header=BB4_1738 Depth=2
	v_or_b32_sdwa v23, v8, s51 dst_sel:DWORD dst_unused:UNUSED_PAD src0_sel:BYTE_3 src1_sel:DWORD
; %bb.1812:                             ;   in Loop: Header=BB4_1738 Depth=2
	s_or_b64 exec, exec, s[22:23]
	v_cmp_lt_u32_e32 vcc, s63, v10
	v_mov_b32_e32 v3, 0
	s_and_saveexec_b64 s[22:23], vcc
	s_cbranch_execz .LBB4_1818
; %bb.1813:                             ;   in Loop: Header=BB4_1738 Depth=2
	v_lshrrev_b32_e32 v30, 24, v10
	v_cmp_ne_u32_e32 vcc, s53, v30
	v_bfrev_b32_e32 v3, 1
	s_and_saveexec_b64 s[90:91], vcc
	s_cbranch_execz .LBB4_1817
; %bb.1814:                             ;   in Loop: Header=BB4_1738 Depth=2
	v_bfe_u32 v8, v10, 24, 7
	v_cmp_ne_u32_e32 vcc, s51, v8
	v_mov_b32_e32 v3, 0x7f800001
	s_and_saveexec_b64 s[92:93], vcc
	s_cbranch_execz .LBB4_1816
; %bb.1815:                             ;   in Loop: Header=BB4_1738 Depth=2
	v_and_b32_e32 v3, 7, v30
	v_lshrrev_b32_e32 v19, 3, v8
	v_cmp_gt_u32_e32 vcc, 8, v8
	v_ffbh_u32_e32 v8, v3
	v_min_u32_e32 v20, 32, v8
	v_subrev_u32_e32 v8, 28, v20
	v_lshlrev_b64 v[8:9], v8, v[30:31]
	v_sub_u32_e32 v9, 29, v20
	v_and_b32_e32 v8, 7, v8
	v_cndmask_b32_e32 v9, v19, v9, vcc
	v_cndmask_b32_e32 v3, v3, v8, vcc
	v_lshlrev_b32_e32 v8, 24, v30
	v_lshlrev_b32_e32 v3, 20, v3
	v_and_b32_e32 v8, 0x80000000, v8
	v_lshl_add_u32 v9, v9, 23, v58
	v_or3_b32 v3, v8, v9, v3
.LBB4_1816:                             ;   in Loop: Header=BB4_1738 Depth=2
	s_or_b64 exec, exec, s[92:93]
.LBB4_1817:                             ;   in Loop: Header=BB4_1738 Depth=2
	s_or_b64 exec, exec, s[90:91]
.LBB4_1818:                             ;   in Loop: Header=BB4_1738 Depth=2
	s_or_b64 exec, exec, s[22:23]
	v_mul_f32_e32 v8, v7, v3
	v_and_b32_e32 v36, 0x7f800000, v8
	v_cmp_ne_u64_e32 vcc, s[56:57], v[36:37]
                                        ; implicit-def: $vgpr33
	s_and_saveexec_b64 s[22:23], vcc
	s_xor_b64 s[90:91], exec, s[22:23]
	s_cbranch_execz .LBB4_1832
; %bb.1819:                             ;   in Loop: Header=BB4_1738 Depth=2
	v_and_b32_e32 v36, 0x7fffffff, v8
	v_cmp_gt_u64_e32 vcc, s[58:59], v[36:37]
	v_and_b32_sdwa v3, v8, s53 dst_sel:DWORD dst_unused:UNUSED_PAD src0_sel:BYTE_3 src1_sel:DWORD
                                        ; implicit-def: $vgpr33
	s_and_saveexec_b64 s[22:23], vcc
	s_xor_b64 s[92:93], exec, s[22:23]
	s_cbranch_execz .LBB4_1829
; %bb.1820:                             ;   in Loop: Header=BB4_1738 Depth=2
	v_mov_b32_e32 v33, 0
	v_cmp_ne_u32_e32 vcc, 0, v8
	s_and_saveexec_b64 s[94:95], vcc
	s_cbranch_execz .LBB4_1828
; %bb.1821:                             ;   in Loop: Header=BB4_1738 Depth=2
	v_and_b32_e32 v19, 0x7fffff, v8
	v_bfe_u32 v8, v8, 23, 8
	v_cmp_gt_u32_e64 s[22:23], s54, v8
	v_sub_u32_e32 v9, 0x79, v8
	v_cmp_eq_u32_e32 vcc, 0, v8
	v_cndmask_b32_e64 v9, 0, v9, s[22:23]
	v_or_b32_e32 v20, 0x800000, v19
	v_cndmask_b32_e32 v9, v9, v31, vcc
	v_cndmask_b32_e32 v36, v20, v19, vcc
	v_add_u32_e32 v19, 20, v9
	v_lshlrev_b64 v[19:20], v19, -1
	v_add_u32_e32 v21, 19, v9
	v_lshlrev_b64 v[21:22], v21, 1
	v_lshrrev_b64 v[40:41], v9, v[36:37]
	v_bfi_b32 v20, v20, 0, 0
	v_bfi_b32 v19, v19, 0, v36
	v_cmp_eq_u64_e64 s[22:23], v[19:20], v[21:22]
	v_mov_b32_e32 v42, v41
	v_mov_b32_e32 v41, v40
	s_and_saveexec_b64 s[30:31], s[22:23]
; %bb.1822:                             ;   in Loop: Header=BB4_1738 Depth=2
	v_bfe_u32 v19, v40, 20, 1
	v_add_co_u32_e64 v19, s[22:23], v40, v19
	v_add_co_u32_e64 v41, s[22:23], -1, v19
; %bb.1823:                             ;   in Loop: Header=BB4_1738 Depth=2
	s_or_b64 exec, exec, s[30:31]
	v_add_u32_e32 v8, 0xffffff81, v8
	v_cndmask_b32_e32 v8, v8, v62, vcc
	v_lshrrev_b32_e32 v19, 23, v40
	v_add3_u32 v19, v9, v8, v19
	v_add_u32_e32 v9, 6, v19
	v_and_b32_e32 v8, 0xfffff, v41
	v_add_u32_e32 v36, v8, v40
	v_cmp_ne_u32_e32 vcc, 0, v9
                                        ; implicit-def: $vgpr40_vgpr41
                                        ; implicit-def: $vgpr8
	s_and_saveexec_b64 s[22:23], vcc
	s_xor_b64 s[22:23], exec, s[22:23]
; %bb.1824:                             ;   in Loop: Header=BB4_1738 Depth=2
	v_cmp_lt_u64_e32 vcc, s[60:61], v[36:37]
	v_add_u32_e32 v8, 7, v19
	v_cndmask_b32_e32 v8, v9, v8, vcc
	v_cndmask_b32_e64 v9, 0, 1, vcc
	v_lshrrev_b64 v[40:41], v9, v[36:37]
; %bb.1825:                             ;   in Loop: Header=BB4_1738 Depth=2
	s_andn2_saveexec_b64 s[22:23], s[22:23]
; %bb.1826:                             ;   in Loop: Header=BB4_1738 Depth=2
	v_mov_b32_e32 v41, v37
	v_bfe_u32 v8, v36, 23, 1
	v_mov_b32_e32 v40, v36
; %bb.1827:                             ;   in Loop: Header=BB4_1738 Depth=2
	s_or_b64 exec, exec, s[22:23]
	v_lshrrev_b64 v[19:20], 20, v[40:41]
	v_cmp_gt_i32_e32 vcc, 16, v8
	v_cndmask_b32_e32 v20, 0, v20, vcc
	v_cndmask_b32_e32 v19, 7, v19, vcc
	v_cmp_eq_u32_e32 vcc, 0, v8
	v_min_i32_e32 v8, 15, v8
	v_cmp_eq_u64_e64 s[22:23], 0, v[19:20]
	v_lshlrev_b32_e32 v8, 3, v8
	v_and_b32_e32 v8, 0xf8, v8
	v_and_or_b32 v8, v19, 7, v8
	s_and_b64 s[22:23], vcc, s[22:23]
	v_cndmask_b32_e64 v8, v8, 0, s[22:23]
	v_or_b32_e32 v33, v8, v3
.LBB4_1828:                             ;   in Loop: Header=BB4_1738 Depth=2
	s_or_b64 exec, exec, s[94:95]
                                        ; implicit-def: $vgpr3
.LBB4_1829:                             ;   in Loop: Header=BB4_1738 Depth=2
	s_andn2_saveexec_b64 s[22:23], s[92:93]
; %bb.1830:                             ;   in Loop: Header=BB4_1738 Depth=2
	v_or_b32_e32 v33, 0x7e, v3
; %bb.1831:                             ;   in Loop: Header=BB4_1738 Depth=2
	s_or_b64 exec, exec, s[22:23]
                                        ; implicit-def: $vgpr8
.LBB4_1832:                             ;   in Loop: Header=BB4_1738 Depth=2
	s_andn2_saveexec_b64 s[22:23], s[90:91]
; %bb.1833:                             ;   in Loop: Header=BB4_1738 Depth=2
	v_or_b32_sdwa v33, v8, s51 dst_sel:DWORD dst_unused:UNUSED_PAD src0_sel:BYTE_3 src1_sel:DWORD
; %bb.1834:                             ;   in Loop: Header=BB4_1738 Depth=2
	s_or_b64 exec, exec, s[22:23]
	v_mov_b32_e32 v36, v11
	v_cmp_ne_u16_sdwa s[90:91], v11, v37 src0_sel:BYTE_0 src1_sel:DWORD
	v_mov_b32_e32 v3, 0
	s_and_saveexec_b64 s[22:23], s[90:91]
	s_cbranch_execz .LBB4_1840
; %bb.1835:                             ;   in Loop: Header=BB4_1738 Depth=2
	v_cmp_ne_u16_sdwa s[92:93], v11, s53 src0_sel:BYTE_0 src1_sel:DWORD
	v_bfrev_b32_e32 v3, 1
	s_and_saveexec_b64 s[90:91], s[92:93]
	s_cbranch_execz .LBB4_1839
; %bb.1836:                             ;   in Loop: Header=BB4_1738 Depth=2
	v_and_b32_e32 v8, 0x7f, v11
	v_cmp_ne_u32_e32 vcc, s51, v8
	v_mov_b32_e32 v3, 0x7f800001
	s_and_saveexec_b64 s[92:93], vcc
	s_cbranch_execz .LBB4_1838
; %bb.1837:                             ;   in Loop: Header=BB4_1738 Depth=2
	v_and_b32_e32 v3, 7, v11
	v_ffbh_u32_e32 v3, v3
	v_min_u32_e32 v3, 32, v3
	v_lshrrev_b32_e32 v9, 3, v8
	v_cmp_gt_u32_e32 vcc, 8, v8
	v_subrev_u32_e32 v8, 28, v3
	v_sub_u32_e32 v3, 29, v3
	v_cndmask_b32_e32 v8, 0, v8, vcc
	v_cndmask_b32_e32 v3, v9, v3, vcc
	v_lshlrev_b64 v[8:9], v8, v[36:37]
	v_lshlrev_b32_e32 v9, 24, v36
	v_lshlrev_b32_e32 v8, 20, v8
	v_and_b32_e32 v8, 0x700000, v8
	v_and_b32_e32 v9, 0x80000000, v9
	v_lshl_add_u32 v3, v3, 23, v58
	v_or3_b32 v3, v9, v3, v8
.LBB4_1838:                             ;   in Loop: Header=BB4_1738 Depth=2
	s_or_b64 exec, exec, s[92:93]
.LBB4_1839:                             ;   in Loop: Header=BB4_1738 Depth=2
	s_or_b64 exec, exec, s[90:91]
.LBB4_1840:                             ;   in Loop: Header=BB4_1738 Depth=2
	s_or_b64 exec, exec, s[22:23]
	v_mul_f32_e32 v8, v7, v3
	v_and_b32_e32 v19, 0x7f800000, v8
	v_mov_b32_e32 v20, v37
	v_cmp_ne_u64_e32 vcc, s[56:57], v[19:20]
                                        ; implicit-def: $vgpr20
	s_and_saveexec_b64 s[22:23], vcc
	s_xor_b64 s[90:91], exec, s[22:23]
	s_cbranch_execz .LBB4_1854
; %bb.1841:                             ;   in Loop: Header=BB4_1738 Depth=2
	v_and_b32_e32 v19, 0x7fffffff, v8
	v_mov_b32_e32 v20, v37
	v_cmp_gt_u64_e32 vcc, s[58:59], v[19:20]
	v_and_b32_sdwa v3, v8, s53 dst_sel:DWORD dst_unused:UNUSED_PAD src0_sel:BYTE_3 src1_sel:DWORD
                                        ; implicit-def: $vgpr20
	s_and_saveexec_b64 s[22:23], vcc
	s_xor_b64 s[92:93], exec, s[22:23]
	s_cbranch_execz .LBB4_1851
; %bb.1842:                             ;   in Loop: Header=BB4_1738 Depth=2
	v_mov_b32_e32 v20, 0
	v_cmp_ne_u32_e32 vcc, 0, v8
	s_and_saveexec_b64 s[94:95], vcc
	s_cbranch_execz .LBB4_1850
; %bb.1843:                             ;   in Loop: Header=BB4_1738 Depth=2
	v_and_b32_e32 v19, 0x7fffff, v8
	v_bfe_u32 v8, v8, 23, 8
	v_cmp_gt_u32_e64 s[22:23], s54, v8
	v_sub_u32_e32 v9, 0x79, v8
	v_cmp_eq_u32_e32 vcc, 0, v8
	v_cndmask_b32_e64 v9, 0, v9, s[22:23]
	v_cndmask_b32_e32 v9, v9, v31, vcc
	v_or_b32_e32 v20, 0x800000, v19
	v_add_u32_e32 v21, 20, v9
	v_cndmask_b32_e32 v19, v20, v19, vcc
	v_mov_b32_e32 v20, v37
	v_lshlrev_b64 v[21:22], v21, -1
	v_add_u32_e32 v24, 19, v9
	v_lshlrev_b64 v[24:25], v24, 1
	v_lshrrev_b64 v[40:41], v9, v[19:20]
	v_bfi_b32 v22, v22, 0, 0
	v_bfi_b32 v21, v21, 0, v19
	v_cmp_eq_u64_e64 s[22:23], v[21:22], v[24:25]
	v_mov_b32_e32 v42, v41
	v_mov_b32_e32 v41, v40
	s_and_saveexec_b64 s[30:31], s[22:23]
; %bb.1844:                             ;   in Loop: Header=BB4_1738 Depth=2
	v_bfe_u32 v19, v40, 20, 1
	v_add_co_u32_e64 v19, s[22:23], v40, v19
	v_add_co_u32_e64 v41, s[22:23], -1, v19
; %bb.1845:                             ;   in Loop: Header=BB4_1738 Depth=2
	s_or_b64 exec, exec, s[30:31]
	v_add_u32_e32 v8, 0xffffff81, v8
	v_cndmask_b32_e32 v8, v8, v62, vcc
	v_lshrrev_b32_e32 v19, 23, v40
	v_add3_u32 v19, v9, v8, v19
	v_add_u32_e32 v9, 6, v19
	v_and_b32_e32 v8, 0xfffff, v41
	v_add_u32_e32 v40, v8, v40
	v_mov_b32_e32 v41, v37
	v_cmp_ne_u32_e32 vcc, 0, v9
                                        ; implicit-def: $vgpr8
	s_and_saveexec_b64 s[22:23], vcc
	s_xor_b64 s[22:23], exec, s[22:23]
; %bb.1846:                             ;   in Loop: Header=BB4_1738 Depth=2
	v_cmp_lt_u64_e32 vcc, s[60:61], v[40:41]
	v_add_u32_e32 v8, 7, v19
	v_cndmask_b32_e32 v8, v9, v8, vcc
	v_cndmask_b32_e64 v9, 0, 1, vcc
	v_lshrrev_b64 v[40:41], v9, v[40:41]
; %bb.1847:                             ;   in Loop: Header=BB4_1738 Depth=2
	s_andn2_saveexec_b64 s[22:23], s[22:23]
; %bb.1848:                             ;   in Loop: Header=BB4_1738 Depth=2
	v_bfe_u32 v8, v40, 23, 1
; %bb.1849:                             ;   in Loop: Header=BB4_1738 Depth=2
	s_or_b64 exec, exec, s[22:23]
	v_lshrrev_b64 v[19:20], 20, v[40:41]
	v_cmp_gt_i32_e32 vcc, 16, v8
	v_cndmask_b32_e32 v20, 0, v20, vcc
	v_cndmask_b32_e32 v19, 7, v19, vcc
	v_cmp_eq_u32_e32 vcc, 0, v8
	v_min_i32_e32 v8, 15, v8
	v_cmp_eq_u64_e64 s[22:23], 0, v[19:20]
	v_lshlrev_b32_e32 v8, 3, v8
	v_and_b32_e32 v8, 0xf8, v8
	v_and_or_b32 v8, v19, 7, v8
	s_and_b64 s[22:23], vcc, s[22:23]
	v_cndmask_b32_e64 v8, v8, 0, s[22:23]
	v_or_b32_e32 v20, v8, v3
.LBB4_1850:                             ;   in Loop: Header=BB4_1738 Depth=2
	s_or_b64 exec, exec, s[94:95]
                                        ; implicit-def: $vgpr3
.LBB4_1851:                             ;   in Loop: Header=BB4_1738 Depth=2
	s_andn2_saveexec_b64 s[22:23], s[92:93]
; %bb.1852:                             ;   in Loop: Header=BB4_1738 Depth=2
	v_or_b32_e32 v20, 0x7e, v3
; %bb.1853:                             ;   in Loop: Header=BB4_1738 Depth=2
	s_or_b64 exec, exec, s[22:23]
                                        ; implicit-def: $vgpr8
.LBB4_1854:                             ;   in Loop: Header=BB4_1738 Depth=2
	s_andn2_saveexec_b64 s[22:23], s[90:91]
; %bb.1855:                             ;   in Loop: Header=BB4_1738 Depth=2
	v_or_b32_sdwa v20, v8, s51 dst_sel:DWORD dst_unused:UNUSED_PAD src0_sel:BYTE_3 src1_sel:DWORD
; %bb.1856:                             ;   in Loop: Header=BB4_1738 Depth=2
	s_or_b64 exec, exec, s[22:23]
	v_lshrrev_b16_e32 v30, 8, v36
	v_cmp_ne_u16_e32 vcc, 0, v30
	v_mov_b32_e32 v3, 0
	s_and_saveexec_b64 s[22:23], vcc
	s_cbranch_execz .LBB4_1862
; %bb.1857:                             ;   in Loop: Header=BB4_1738 Depth=2
	v_cmp_ne_u16_e32 vcc, s53, v30
	v_bfrev_b32_e32 v3, 1
	s_and_saveexec_b64 s[90:91], vcc
	s_cbranch_execz .LBB4_1861
; %bb.1858:                             ;   in Loop: Header=BB4_1738 Depth=2
	v_and_b32_e32 v8, 0x7f, v30
	v_cmp_ne_u32_e32 vcc, s51, v8
	v_mov_b32_e32 v3, 0x7f800001
	s_and_saveexec_b64 s[92:93], vcc
	s_cbranch_execz .LBB4_1860
; %bb.1859:                             ;   in Loop: Header=BB4_1738 Depth=2
	v_and_b32_e32 v3, 7, v30
	v_lshrrev_b32_e32 v19, 3, v8
	v_cmp_gt_u32_e32 vcc, 8, v8
	v_ffbh_u32_e32 v8, v3
	v_min_u32_e32 v21, 32, v8
	v_subrev_u32_e32 v8, 28, v21
	v_lshlrev_b64 v[8:9], v8, v[30:31]
	v_sub_u32_e32 v9, 29, v21
	v_and_b32_e32 v8, 7, v8
	v_cndmask_b32_e32 v9, v19, v9, vcc
	v_cndmask_b32_e32 v3, v3, v8, vcc
	v_lshlrev_b32_e32 v8, 16, v36
	v_lshlrev_b32_e32 v3, 20, v3
	v_and_b32_e32 v8, 0x80000000, v8
	v_lshl_add_u32 v9, v9, 23, v58
	v_or3_b32 v3, v8, v9, v3
.LBB4_1860:                             ;   in Loop: Header=BB4_1738 Depth=2
	s_or_b64 exec, exec, s[92:93]
.LBB4_1861:                             ;   in Loop: Header=BB4_1738 Depth=2
	s_or_b64 exec, exec, s[90:91]
.LBB4_1862:                             ;   in Loop: Header=BB4_1738 Depth=2
	s_or_b64 exec, exec, s[22:23]
	v_mul_f32_e32 v8, v7, v3
	v_and_b32_e32 v36, 0x7f800000, v8
	v_cmp_ne_u64_e32 vcc, s[56:57], v[36:37]
                                        ; implicit-def: $vgpr25
	s_and_saveexec_b64 s[22:23], vcc
	s_xor_b64 s[90:91], exec, s[22:23]
	s_cbranch_execz .LBB4_1876
; %bb.1863:                             ;   in Loop: Header=BB4_1738 Depth=2
	v_and_b32_e32 v36, 0x7fffffff, v8
	v_cmp_gt_u64_e32 vcc, s[58:59], v[36:37]
	v_and_b32_sdwa v3, v8, s53 dst_sel:DWORD dst_unused:UNUSED_PAD src0_sel:BYTE_3 src1_sel:DWORD
                                        ; implicit-def: $vgpr25
	s_and_saveexec_b64 s[22:23], vcc
	s_xor_b64 s[92:93], exec, s[22:23]
	s_cbranch_execz .LBB4_1873
; %bb.1864:                             ;   in Loop: Header=BB4_1738 Depth=2
	v_mov_b32_e32 v25, 0
	v_cmp_ne_u32_e32 vcc, 0, v8
	s_and_saveexec_b64 s[94:95], vcc
	s_cbranch_execz .LBB4_1872
; %bb.1865:                             ;   in Loop: Header=BB4_1738 Depth=2
	v_and_b32_e32 v19, 0x7fffff, v8
	v_bfe_u32 v8, v8, 23, 8
	v_cmp_gt_u32_e64 s[22:23], s54, v8
	v_sub_u32_e32 v9, 0x79, v8
	v_cmp_eq_u32_e32 vcc, 0, v8
	v_cndmask_b32_e64 v9, 0, v9, s[22:23]
	v_or_b32_e32 v21, 0x800000, v19
	v_cndmask_b32_e32 v9, v9, v31, vcc
	v_cndmask_b32_e32 v36, v21, v19, vcc
	v_add_u32_e32 v19, 20, v9
	v_lshlrev_b64 v[21:22], v19, -1
	v_add_u32_e32 v19, 19, v9
	v_lshlrev_b64 v[24:25], v19, 1
	v_lshrrev_b64 v[40:41], v9, v[36:37]
	v_bfi_b32 v22, v22, 0, 0
	v_bfi_b32 v21, v21, 0, v36
	v_cmp_eq_u64_e64 s[22:23], v[21:22], v[24:25]
	v_mov_b32_e32 v42, v41
	v_mov_b32_e32 v41, v40
	s_and_saveexec_b64 s[30:31], s[22:23]
; %bb.1866:                             ;   in Loop: Header=BB4_1738 Depth=2
	v_bfe_u32 v19, v40, 20, 1
	v_add_co_u32_e64 v19, s[22:23], v40, v19
	v_add_co_u32_e64 v41, s[22:23], -1, v19
; %bb.1867:                             ;   in Loop: Header=BB4_1738 Depth=2
	s_or_b64 exec, exec, s[30:31]
	v_add_u32_e32 v8, 0xffffff81, v8
	v_cndmask_b32_e32 v8, v8, v62, vcc
	v_lshrrev_b32_e32 v19, 23, v40
	v_add3_u32 v19, v9, v8, v19
	v_add_u32_e32 v9, 6, v19
	v_and_b32_e32 v8, 0xfffff, v41
	v_add_u32_e32 v36, v8, v40
	v_cmp_ne_u32_e32 vcc, 0, v9
                                        ; implicit-def: $vgpr40_vgpr41
                                        ; implicit-def: $vgpr8
	s_and_saveexec_b64 s[22:23], vcc
	s_xor_b64 s[22:23], exec, s[22:23]
; %bb.1868:                             ;   in Loop: Header=BB4_1738 Depth=2
	v_cmp_lt_u64_e32 vcc, s[60:61], v[36:37]
	v_add_u32_e32 v8, 7, v19
	v_cndmask_b32_e32 v8, v9, v8, vcc
	v_cndmask_b32_e64 v9, 0, 1, vcc
	v_lshrrev_b64 v[40:41], v9, v[36:37]
; %bb.1869:                             ;   in Loop: Header=BB4_1738 Depth=2
	s_andn2_saveexec_b64 s[22:23], s[22:23]
; %bb.1870:                             ;   in Loop: Header=BB4_1738 Depth=2
	v_mov_b32_e32 v41, v37
	v_bfe_u32 v8, v36, 23, 1
	v_mov_b32_e32 v40, v36
; %bb.1871:                             ;   in Loop: Header=BB4_1738 Depth=2
	s_or_b64 exec, exec, s[22:23]
	v_lshrrev_b64 v[21:22], 20, v[40:41]
	v_cmp_gt_i32_e32 vcc, 16, v8
	v_cndmask_b32_e32 v22, 0, v22, vcc
	v_cndmask_b32_e32 v21, 7, v21, vcc
	v_cmp_eq_u32_e32 vcc, 0, v8
	v_min_i32_e32 v8, 15, v8
	v_cmp_eq_u64_e64 s[22:23], 0, v[21:22]
	v_lshlrev_b32_e32 v8, 3, v8
	v_and_b32_e32 v8, 0xf8, v8
	v_and_or_b32 v8, v21, 7, v8
	s_and_b64 s[22:23], vcc, s[22:23]
	v_cndmask_b32_e64 v8, v8, 0, s[22:23]
	v_or_b32_e32 v25, v8, v3
.LBB4_1872:                             ;   in Loop: Header=BB4_1738 Depth=2
	s_or_b64 exec, exec, s[94:95]
                                        ; implicit-def: $vgpr3
.LBB4_1873:                             ;   in Loop: Header=BB4_1738 Depth=2
	s_andn2_saveexec_b64 s[22:23], s[92:93]
; %bb.1874:                             ;   in Loop: Header=BB4_1738 Depth=2
	v_or_b32_e32 v25, 0x7e, v3
; %bb.1875:                             ;   in Loop: Header=BB4_1738 Depth=2
	s_or_b64 exec, exec, s[22:23]
                                        ; implicit-def: $vgpr8
.LBB4_1876:                             ;   in Loop: Header=BB4_1738 Depth=2
	s_andn2_saveexec_b64 s[22:23], s[90:91]
; %bb.1877:                             ;   in Loop: Header=BB4_1738 Depth=2
	v_or_b32_sdwa v25, v8, s51 dst_sel:DWORD dst_unused:UNUSED_PAD src0_sel:BYTE_3 src1_sel:DWORD
; %bb.1878:                             ;   in Loop: Header=BB4_1738 Depth=2
	s_or_b64 exec, exec, s[22:23]
	v_lshrrev_b32_e32 v30, 16, v11
	v_cmp_ne_u16_sdwa s[90:91], v30, v37 src0_sel:BYTE_0 src1_sel:DWORD
	v_mov_b32_e32 v3, 0
	s_and_saveexec_b64 s[22:23], s[90:91]
	s_cbranch_execz .LBB4_1884
; %bb.1879:                             ;   in Loop: Header=BB4_1738 Depth=2
	v_cmp_ne_u16_sdwa s[92:93], v30, s53 src0_sel:BYTE_0 src1_sel:DWORD
	v_bfrev_b32_e32 v3, 1
	s_and_saveexec_b64 s[90:91], s[92:93]
	s_cbranch_execz .LBB4_1883
; %bb.1880:                             ;   in Loop: Header=BB4_1738 Depth=2
	v_bfe_u32 v8, v11, 16, 7
	v_cmp_ne_u32_e32 vcc, s51, v8
	v_mov_b32_e32 v3, 0x7f800001
	s_and_saveexec_b64 s[92:93], vcc
	s_cbranch_execz .LBB4_1882
; %bb.1881:                             ;   in Loop: Header=BB4_1738 Depth=2
	v_and_b32_e32 v3, 7, v30
	v_lshrrev_b32_e32 v19, 3, v8
	v_cmp_gt_u32_e32 vcc, 8, v8
	v_ffbh_u32_e32 v8, v3
	v_min_u32_e32 v21, 32, v8
	v_subrev_u32_e32 v8, 28, v21
	v_lshlrev_b64 v[8:9], v8, v[30:31]
	v_sub_u32_e32 v9, 29, v21
	v_and_b32_e32 v8, 7, v8
	v_cndmask_b32_e32 v9, v19, v9, vcc
	v_cndmask_b32_e32 v3, v3, v8, vcc
	v_lshlrev_b32_e32 v8, 24, v30
	v_lshlrev_b32_e32 v3, 20, v3
	v_and_b32_e32 v8, 0x80000000, v8
	v_lshl_add_u32 v9, v9, 23, v58
	v_or3_b32 v3, v8, v9, v3
.LBB4_1882:                             ;   in Loop: Header=BB4_1738 Depth=2
	s_or_b64 exec, exec, s[92:93]
.LBB4_1883:                             ;   in Loop: Header=BB4_1738 Depth=2
	s_or_b64 exec, exec, s[90:91]
.LBB4_1884:                             ;   in Loop: Header=BB4_1738 Depth=2
	s_or_b64 exec, exec, s[22:23]
	v_mul_f32_e32 v8, v7, v3
	v_and_b32_e32 v36, 0x7f800000, v8
	v_cmp_ne_u64_e32 vcc, s[56:57], v[36:37]
                                        ; implicit-def: $vgpr27
	s_and_saveexec_b64 s[22:23], vcc
	s_xor_b64 s[90:91], exec, s[22:23]
	s_cbranch_execz .LBB4_1898
; %bb.1885:                             ;   in Loop: Header=BB4_1738 Depth=2
	v_and_b32_e32 v36, 0x7fffffff, v8
	v_cmp_gt_u64_e32 vcc, s[58:59], v[36:37]
	v_and_b32_sdwa v3, v8, s53 dst_sel:DWORD dst_unused:UNUSED_PAD src0_sel:BYTE_3 src1_sel:DWORD
                                        ; implicit-def: $vgpr27
	s_and_saveexec_b64 s[22:23], vcc
	s_xor_b64 s[92:93], exec, s[22:23]
	s_cbranch_execz .LBB4_1895
; %bb.1886:                             ;   in Loop: Header=BB4_1738 Depth=2
	v_mov_b32_e32 v27, 0
	v_cmp_ne_u32_e32 vcc, 0, v8
	s_and_saveexec_b64 s[94:95], vcc
	s_cbranch_execz .LBB4_1894
; %bb.1887:                             ;   in Loop: Header=BB4_1738 Depth=2
	v_and_b32_e32 v19, 0x7fffff, v8
	v_bfe_u32 v8, v8, 23, 8
	v_cmp_gt_u32_e64 s[22:23], s54, v8
	v_sub_u32_e32 v9, 0x79, v8
	v_cmp_eq_u32_e32 vcc, 0, v8
	v_cndmask_b32_e64 v9, 0, v9, s[22:23]
	v_or_b32_e32 v21, 0x800000, v19
	v_cndmask_b32_e32 v9, v9, v31, vcc
	v_cndmask_b32_e32 v36, v21, v19, vcc
	v_add_u32_e32 v19, 20, v9
	v_lshlrev_b64 v[21:22], v19, -1
	v_add_u32_e32 v19, 19, v9
	v_lshlrev_b64 v[26:27], v19, 1
	v_lshrrev_b64 v[40:41], v9, v[36:37]
	v_bfi_b32 v22, v22, 0, 0
	v_bfi_b32 v21, v21, 0, v36
	v_cmp_eq_u64_e64 s[22:23], v[21:22], v[26:27]
	v_mov_b32_e32 v42, v41
	v_mov_b32_e32 v41, v40
	s_and_saveexec_b64 s[30:31], s[22:23]
; %bb.1888:                             ;   in Loop: Header=BB4_1738 Depth=2
	v_bfe_u32 v19, v40, 20, 1
	v_add_co_u32_e64 v19, s[22:23], v40, v19
	v_add_co_u32_e64 v41, s[22:23], -1, v19
; %bb.1889:                             ;   in Loop: Header=BB4_1738 Depth=2
	s_or_b64 exec, exec, s[30:31]
	v_add_u32_e32 v8, 0xffffff81, v8
	v_cndmask_b32_e32 v8, v8, v62, vcc
	v_lshrrev_b32_e32 v19, 23, v40
	v_add3_u32 v19, v9, v8, v19
	v_add_u32_e32 v9, 6, v19
	v_and_b32_e32 v8, 0xfffff, v41
	v_add_u32_e32 v36, v8, v40
	v_cmp_ne_u32_e32 vcc, 0, v9
                                        ; implicit-def: $vgpr40_vgpr41
                                        ; implicit-def: $vgpr8
	s_and_saveexec_b64 s[22:23], vcc
	s_xor_b64 s[22:23], exec, s[22:23]
; %bb.1890:                             ;   in Loop: Header=BB4_1738 Depth=2
	v_cmp_lt_u64_e32 vcc, s[60:61], v[36:37]
	v_add_u32_e32 v8, 7, v19
	v_cndmask_b32_e32 v8, v9, v8, vcc
	v_cndmask_b32_e64 v9, 0, 1, vcc
	v_lshrrev_b64 v[40:41], v9, v[36:37]
; %bb.1891:                             ;   in Loop: Header=BB4_1738 Depth=2
	s_andn2_saveexec_b64 s[22:23], s[22:23]
; %bb.1892:                             ;   in Loop: Header=BB4_1738 Depth=2
	v_mov_b32_e32 v41, v37
	v_bfe_u32 v8, v36, 23, 1
	v_mov_b32_e32 v40, v36
; %bb.1893:                             ;   in Loop: Header=BB4_1738 Depth=2
	s_or_b64 exec, exec, s[22:23]
	v_lshrrev_b64 v[21:22], 20, v[40:41]
	v_cmp_gt_i32_e32 vcc, 16, v8
	v_cndmask_b32_e32 v22, 0, v22, vcc
	v_cndmask_b32_e32 v21, 7, v21, vcc
	v_cmp_eq_u32_e32 vcc, 0, v8
	v_min_i32_e32 v8, 15, v8
	v_cmp_eq_u64_e64 s[22:23], 0, v[21:22]
	v_lshlrev_b32_e32 v8, 3, v8
	v_and_b32_e32 v8, 0xf8, v8
	v_and_or_b32 v8, v21, 7, v8
	s_and_b64 s[22:23], vcc, s[22:23]
	v_cndmask_b32_e64 v8, v8, 0, s[22:23]
	v_or_b32_e32 v27, v8, v3
.LBB4_1894:                             ;   in Loop: Header=BB4_1738 Depth=2
	s_or_b64 exec, exec, s[94:95]
                                        ; implicit-def: $vgpr3
.LBB4_1895:                             ;   in Loop: Header=BB4_1738 Depth=2
	s_andn2_saveexec_b64 s[22:23], s[92:93]
; %bb.1896:                             ;   in Loop: Header=BB4_1738 Depth=2
	v_or_b32_e32 v27, 0x7e, v3
; %bb.1897:                             ;   in Loop: Header=BB4_1738 Depth=2
	s_or_b64 exec, exec, s[22:23]
                                        ; implicit-def: $vgpr8
.LBB4_1898:                             ;   in Loop: Header=BB4_1738 Depth=2
	s_andn2_saveexec_b64 s[22:23], s[90:91]
; %bb.1899:                             ;   in Loop: Header=BB4_1738 Depth=2
	v_or_b32_sdwa v27, v8, s51 dst_sel:DWORD dst_unused:UNUSED_PAD src0_sel:BYTE_3 src1_sel:DWORD
; %bb.1900:                             ;   in Loop: Header=BB4_1738 Depth=2
	s_or_b64 exec, exec, s[22:23]
	v_cmp_lt_u64_e32 vcc, s[62:63], v[10:11]
	v_mov_b32_e32 v3, 0
	s_and_saveexec_b64 s[22:23], vcc
	s_cbranch_execz .LBB4_1906
; %bb.1901:                             ;   in Loop: Header=BB4_1738 Depth=2
	v_lshrrev_b32_e32 v10, 24, v11
	v_cmp_ne_u32_e32 vcc, s53, v10
	v_bfrev_b32_e32 v3, 1
	s_and_saveexec_b64 s[90:91], vcc
	s_cbranch_execz .LBB4_1905
; %bb.1902:                             ;   in Loop: Header=BB4_1738 Depth=2
	v_bfe_u32 v8, v11, 24, 7
	v_cmp_ne_u32_e32 vcc, s51, v8
	v_mov_b32_e32 v3, 0x7f800001
	s_and_saveexec_b64 s[92:93], vcc
	s_cbranch_execz .LBB4_1904
; %bb.1903:                             ;   in Loop: Header=BB4_1738 Depth=2
	v_and_b32_e32 v3, 7, v10
	v_lshrrev_b32_e32 v11, 3, v8
	v_cmp_gt_u32_e32 vcc, 8, v8
	v_ffbh_u32_e32 v8, v3
	v_min_u32_e32 v19, 32, v8
	v_subrev_u32_e32 v8, 28, v19
	v_lshlrev_b64 v[8:9], v8, v[10:11]
	v_sub_u32_e32 v9, 29, v19
	v_and_b32_e32 v8, 7, v8
	v_cndmask_b32_e32 v9, v11, v9, vcc
	v_cndmask_b32_e32 v3, v3, v8, vcc
	v_lshlrev_b32_e32 v8, 24, v10
	v_lshlrev_b32_e32 v3, 20, v3
	v_and_b32_e32 v8, 0x80000000, v8
	v_lshl_add_u32 v9, v9, 23, v58
	v_or3_b32 v3, v8, v9, v3
.LBB4_1904:                             ;   in Loop: Header=BB4_1738 Depth=2
	s_or_b64 exec, exec, s[92:93]
.LBB4_1905:                             ;   in Loop: Header=BB4_1738 Depth=2
	s_or_b64 exec, exec, s[90:91]
.LBB4_1906:                             ;   in Loop: Header=BB4_1738 Depth=2
	s_or_b64 exec, exec, s[22:23]
	v_mul_f32_e32 v8, v7, v3
	v_and_b32_e32 v36, 0x7f800000, v8
	v_cmp_ne_u64_e32 vcc, s[56:57], v[36:37]
                                        ; implicit-def: $vgpr32
	s_and_saveexec_b64 s[22:23], vcc
	s_xor_b64 s[90:91], exec, s[22:23]
	s_cbranch_execz .LBB4_1920
; %bb.1907:                             ;   in Loop: Header=BB4_1738 Depth=2
	v_and_b32_e32 v36, 0x7fffffff, v8
	v_cmp_gt_u64_e32 vcc, s[58:59], v[36:37]
	v_and_b32_sdwa v3, v8, s53 dst_sel:DWORD dst_unused:UNUSED_PAD src0_sel:BYTE_3 src1_sel:DWORD
                                        ; implicit-def: $vgpr32
	s_and_saveexec_b64 s[22:23], vcc
	s_xor_b64 s[92:93], exec, s[22:23]
	s_cbranch_execz .LBB4_1917
; %bb.1908:                             ;   in Loop: Header=BB4_1738 Depth=2
	v_mov_b32_e32 v32, 0
	v_cmp_ne_u32_e32 vcc, 0, v8
	s_and_saveexec_b64 s[94:95], vcc
	s_cbranch_execz .LBB4_1916
; %bb.1909:                             ;   in Loop: Header=BB4_1738 Depth=2
	v_and_b32_e32 v10, 0x7fffff, v8
	v_bfe_u32 v8, v8, 23, 8
	v_cmp_gt_u32_e64 s[22:23], s54, v8
	v_sub_u32_e32 v9, 0x79, v8
	v_cmp_eq_u32_e32 vcc, 0, v8
	v_cndmask_b32_e64 v9, 0, v9, s[22:23]
	v_or_b32_e32 v11, 0x800000, v10
	v_cndmask_b32_e32 v9, v9, v31, vcc
	v_cndmask_b32_e32 v36, v11, v10, vcc
	v_add_u32_e32 v10, 20, v9
	v_lshlrev_b64 v[10:11], v10, -1
	v_add_u32_e32 v19, 19, v9
	v_lshlrev_b64 v[21:22], v19, 1
	v_bfi_b32 v11, v11, 0, 0
	v_bfi_b32 v10, v10, 0, v36
	v_cmp_eq_u64_e64 s[22:23], v[10:11], v[21:22]
	v_lshrrev_b64 v[10:11], v9, v[36:37]
	v_mov_b32_e32 v41, v11
	v_mov_b32_e32 v40, v10
	s_and_saveexec_b64 s[30:31], s[22:23]
; %bb.1910:                             ;   in Loop: Header=BB4_1738 Depth=2
	v_bfe_u32 v11, v10, 20, 1
	v_add_co_u32_e64 v11, s[22:23], v10, v11
	v_add_co_u32_e64 v40, s[22:23], -1, v11
; %bb.1911:                             ;   in Loop: Header=BB4_1738 Depth=2
	s_or_b64 exec, exec, s[30:31]
	v_add_u32_e32 v8, 0xffffff81, v8
	v_cndmask_b32_e32 v8, v8, v62, vcc
	v_lshrrev_b32_e32 v11, 23, v10
	v_add3_u32 v19, v9, v8, v11
	v_add_u32_e32 v9, 6, v19
	v_and_b32_e32 v8, 0xfffff, v40
	v_add_u32_e32 v36, v8, v10
	v_cmp_ne_u32_e32 vcc, 0, v9
                                        ; implicit-def: $vgpr10_vgpr11
                                        ; implicit-def: $vgpr8
	s_and_saveexec_b64 s[22:23], vcc
	s_xor_b64 s[22:23], exec, s[22:23]
; %bb.1912:                             ;   in Loop: Header=BB4_1738 Depth=2
	v_cmp_lt_u64_e32 vcc, s[60:61], v[36:37]
	v_add_u32_e32 v8, 7, v19
	v_cndmask_b32_e32 v8, v9, v8, vcc
	v_cndmask_b32_e64 v9, 0, 1, vcc
	v_lshrrev_b64 v[10:11], v9, v[36:37]
; %bb.1913:                             ;   in Loop: Header=BB4_1738 Depth=2
	s_andn2_saveexec_b64 s[22:23], s[22:23]
; %bb.1914:                             ;   in Loop: Header=BB4_1738 Depth=2
	v_mov_b32_e32 v10, v36
	v_bfe_u32 v8, v36, 23, 1
	v_mov_b32_e32 v11, v37
; %bb.1915:                             ;   in Loop: Header=BB4_1738 Depth=2
	s_or_b64 exec, exec, s[22:23]
	v_lshrrev_b64 v[9:10], 20, v[10:11]
	v_cmp_gt_i32_e32 vcc, 16, v8
	v_cndmask_b32_e32 v10, 0, v10, vcc
	v_cndmask_b32_e32 v9, 7, v9, vcc
	v_cmp_eq_u32_e32 vcc, 0, v8
	v_min_i32_e32 v8, 15, v8
	v_cmp_eq_u64_e64 s[22:23], 0, v[9:10]
	v_lshlrev_b32_e32 v8, 3, v8
	v_and_b32_e32 v8, 0xf8, v8
	v_and_or_b32 v8, v9, 7, v8
	s_and_b64 s[22:23], vcc, s[22:23]
	v_cndmask_b32_e64 v8, v8, 0, s[22:23]
	v_or_b32_e32 v32, v8, v3
.LBB4_1916:                             ;   in Loop: Header=BB4_1738 Depth=2
	s_or_b64 exec, exec, s[94:95]
                                        ; implicit-def: $vgpr3
.LBB4_1917:                             ;   in Loop: Header=BB4_1738 Depth=2
	s_andn2_saveexec_b64 s[22:23], s[92:93]
; %bb.1918:                             ;   in Loop: Header=BB4_1738 Depth=2
	v_or_b32_e32 v32, 0x7e, v3
; %bb.1919:                             ;   in Loop: Header=BB4_1738 Depth=2
	s_or_b64 exec, exec, s[22:23]
                                        ; implicit-def: $vgpr8
.LBB4_1920:                             ;   in Loop: Header=BB4_1738 Depth=2
	s_andn2_saveexec_b64 s[22:23], s[90:91]
; %bb.1921:                             ;   in Loop: Header=BB4_1738 Depth=2
	v_or_b32_sdwa v32, v8, s51 dst_sel:DWORD dst_unused:UNUSED_PAD src0_sel:BYTE_3 src1_sel:DWORD
; %bb.1922:                             ;   in Loop: Header=BB4_1738 Depth=2
	s_or_b64 exec, exec, s[22:23]
	v_cmp_ne_u16_sdwa s[90:91], v12, v37 src0_sel:BYTE_0 src1_sel:DWORD
	v_mov_b32_e32 v3, 0
	s_and_saveexec_b64 s[22:23], s[90:91]
	s_cbranch_execz .LBB4_1928
; %bb.1923:                             ;   in Loop: Header=BB4_1738 Depth=2
	v_cmp_ne_u16_sdwa s[92:93], v12, s53 src0_sel:BYTE_0 src1_sel:DWORD
	v_bfrev_b32_e32 v3, 1
	s_and_saveexec_b64 s[90:91], s[92:93]
	s_cbranch_execz .LBB4_1927
; %bb.1924:                             ;   in Loop: Header=BB4_1738 Depth=2
	v_and_b32_e32 v8, 0x7f, v12
	v_cmp_ne_u32_e32 vcc, s51, v8
	v_mov_b32_e32 v3, 0x7f800001
	s_and_saveexec_b64 s[92:93], vcc
	s_cbranch_execz .LBB4_1926
; %bb.1925:                             ;   in Loop: Header=BB4_1738 Depth=2
	v_and_b32_e32 v3, 7, v12
	v_ffbh_u32_e32 v3, v3
	v_min_u32_e32 v3, 32, v3
	v_lshrrev_b32_e32 v9, 3, v8
	v_cmp_gt_u32_e32 vcc, 8, v8
	v_subrev_u32_e32 v8, 28, v3
	v_sub_u32_e32 v3, 29, v3
	v_cndmask_b32_e32 v8, 0, v8, vcc
	v_cndmask_b32_e32 v3, v9, v3, vcc
	v_lshlrev_b64 v[8:9], v8, v[12:13]
	v_lshlrev_b32_e32 v9, 24, v12
	v_lshlrev_b32_e32 v8, 20, v8
	v_and_b32_e32 v8, 0x700000, v8
	v_and_b32_e32 v9, 0x80000000, v9
	v_lshl_add_u32 v3, v3, 23, v58
	v_or3_b32 v3, v9, v3, v8
.LBB4_1926:                             ;   in Loop: Header=BB4_1738 Depth=2
	s_or_b64 exec, exec, s[92:93]
.LBB4_1927:                             ;   in Loop: Header=BB4_1738 Depth=2
	s_or_b64 exec, exec, s[90:91]
.LBB4_1928:                             ;   in Loop: Header=BB4_1738 Depth=2
	s_or_b64 exec, exec, s[22:23]
	v_mul_f32_e32 v9, v7, v3
	v_and_b32_e32 v36, 0x7f800000, v9
	v_cmp_ne_u64_e32 vcc, s[56:57], v[36:37]
                                        ; implicit-def: $vgpr8
	s_and_saveexec_b64 s[22:23], vcc
	s_xor_b64 s[90:91], exec, s[22:23]
	s_cbranch_execz .LBB4_1942
; %bb.1929:                             ;   in Loop: Header=BB4_1738 Depth=2
	v_and_b32_e32 v36, 0x7fffffff, v9
	v_cmp_gt_u64_e32 vcc, s[58:59], v[36:37]
	v_and_b32_sdwa v3, v9, s53 dst_sel:DWORD dst_unused:UNUSED_PAD src0_sel:BYTE_3 src1_sel:DWORD
                                        ; implicit-def: $vgpr8
	s_and_saveexec_b64 s[22:23], vcc
	s_xor_b64 s[92:93], exec, s[22:23]
	s_cbranch_execz .LBB4_1939
; %bb.1930:                             ;   in Loop: Header=BB4_1738 Depth=2
	v_mov_b32_e32 v8, 0
	v_cmp_ne_u32_e32 vcc, 0, v9
	s_and_saveexec_b64 s[94:95], vcc
	s_cbranch_execz .LBB4_1938
; %bb.1931:                             ;   in Loop: Header=BB4_1738 Depth=2
	v_bfe_u32 v8, v9, 23, 8
	v_and_b32_e32 v10, 0x7fffff, v9
	v_cmp_gt_u32_e64 s[22:23], s54, v8
	v_sub_u32_e32 v9, 0x79, v8
	v_cmp_eq_u32_e32 vcc, 0, v8
	v_cndmask_b32_e64 v9, 0, v9, s[22:23]
	v_or_b32_e32 v11, 0x800000, v10
	v_cndmask_b32_e32 v9, v9, v31, vcc
	v_cndmask_b32_e32 v36, v11, v10, vcc
	v_add_u32_e32 v10, 20, v9
	v_lshlrev_b64 v[10:11], v10, -1
	v_add_u32_e32 v19, 19, v9
	v_lshlrev_b64 v[21:22], v19, 1
	v_bfi_b32 v11, v11, 0, 0
	v_bfi_b32 v10, v10, 0, v36
	v_cmp_eq_u64_e64 s[22:23], v[10:11], v[21:22]
	v_lshrrev_b64 v[10:11], v9, v[36:37]
	v_mov_b32_e32 v41, v11
	v_mov_b32_e32 v40, v10
	s_and_saveexec_b64 s[30:31], s[22:23]
; %bb.1932:                             ;   in Loop: Header=BB4_1738 Depth=2
	v_bfe_u32 v11, v10, 20, 1
	v_add_co_u32_e64 v11, s[22:23], v10, v11
	v_add_co_u32_e64 v40, s[22:23], -1, v11
; %bb.1933:                             ;   in Loop: Header=BB4_1738 Depth=2
	s_or_b64 exec, exec, s[30:31]
	v_add_u32_e32 v8, 0xffffff81, v8
	v_cndmask_b32_e32 v8, v8, v62, vcc
	v_lshrrev_b32_e32 v11, 23, v10
	v_add3_u32 v19, v9, v8, v11
	v_add_u32_e32 v9, 6, v19
	v_and_b32_e32 v8, 0xfffff, v40
	v_add_u32_e32 v36, v8, v10
	v_cmp_ne_u32_e32 vcc, 0, v9
                                        ; implicit-def: $vgpr10_vgpr11
                                        ; implicit-def: $vgpr8
	s_and_saveexec_b64 s[22:23], vcc
	s_xor_b64 s[22:23], exec, s[22:23]
; %bb.1934:                             ;   in Loop: Header=BB4_1738 Depth=2
	v_cmp_lt_u64_e32 vcc, s[60:61], v[36:37]
	v_add_u32_e32 v8, 7, v19
	v_cndmask_b32_e32 v8, v9, v8, vcc
	v_cndmask_b32_e64 v9, 0, 1, vcc
	v_lshrrev_b64 v[10:11], v9, v[36:37]
; %bb.1935:                             ;   in Loop: Header=BB4_1738 Depth=2
	s_andn2_saveexec_b64 s[22:23], s[22:23]
; %bb.1936:                             ;   in Loop: Header=BB4_1738 Depth=2
	v_mov_b32_e32 v10, v36
	v_bfe_u32 v8, v36, 23, 1
	v_mov_b32_e32 v11, v37
; %bb.1937:                             ;   in Loop: Header=BB4_1738 Depth=2
	s_or_b64 exec, exec, s[22:23]
	v_lshrrev_b64 v[9:10], 20, v[10:11]
	v_cmp_gt_i32_e32 vcc, 16, v8
	v_cndmask_b32_e32 v10, 0, v10, vcc
	v_cndmask_b32_e32 v9, 7, v9, vcc
	v_cmp_eq_u32_e32 vcc, 0, v8
	v_min_i32_e32 v8, 15, v8
	v_cmp_eq_u64_e64 s[22:23], 0, v[9:10]
	v_lshlrev_b32_e32 v8, 3, v8
	v_and_b32_e32 v8, 0xf8, v8
	v_and_or_b32 v8, v9, 7, v8
	s_and_b64 s[22:23], vcc, s[22:23]
	v_cndmask_b32_e64 v8, v8, 0, s[22:23]
	v_or_b32_e32 v8, v8, v3
.LBB4_1938:                             ;   in Loop: Header=BB4_1738 Depth=2
	s_or_b64 exec, exec, s[94:95]
                                        ; implicit-def: $vgpr3
.LBB4_1939:                             ;   in Loop: Header=BB4_1738 Depth=2
	s_andn2_saveexec_b64 s[22:23], s[92:93]
; %bb.1940:                             ;   in Loop: Header=BB4_1738 Depth=2
	v_or_b32_e32 v8, 0x7e, v3
; %bb.1941:                             ;   in Loop: Header=BB4_1738 Depth=2
	s_or_b64 exec, exec, s[22:23]
                                        ; implicit-def: $vgpr9
.LBB4_1942:                             ;   in Loop: Header=BB4_1738 Depth=2
	s_andn2_saveexec_b64 s[22:23], s[90:91]
; %bb.1943:                             ;   in Loop: Header=BB4_1738 Depth=2
	v_or_b32_sdwa v8, v9, s51 dst_sel:DWORD dst_unused:UNUSED_PAD src0_sel:BYTE_3 src1_sel:DWORD
; %bb.1944:                             ;   in Loop: Header=BB4_1738 Depth=2
	s_or_b64 exec, exec, s[22:23]
	v_lshrrev_b16_e32 v10, 8, v12
	v_cmp_ne_u16_e32 vcc, 0, v10
	v_mov_b32_e32 v3, 0
	s_and_saveexec_b64 s[22:23], vcc
	s_cbranch_execz .LBB4_1950
; %bb.1945:                             ;   in Loop: Header=BB4_1738 Depth=2
	v_cmp_ne_u16_e32 vcc, s53, v10
	v_bfrev_b32_e32 v3, 1
	s_and_saveexec_b64 s[90:91], vcc
	s_cbranch_execz .LBB4_1949
; %bb.1946:                             ;   in Loop: Header=BB4_1738 Depth=2
	v_and_b32_e32 v9, 0x7f, v10
	v_cmp_ne_u32_e32 vcc, s51, v9
	v_mov_b32_e32 v3, 0x7f800001
	s_and_saveexec_b64 s[92:93], vcc
	s_cbranch_execz .LBB4_1948
; %bb.1947:                             ;   in Loop: Header=BB4_1738 Depth=2
	v_and_b32_e32 v3, 7, v10
	v_lshrrev_b32_e32 v11, 3, v9
	v_cmp_gt_u32_e32 vcc, 8, v9
	v_ffbh_u32_e32 v9, v3
	v_min_u32_e32 v19, 32, v9
	v_subrev_u32_e32 v9, 28, v19
	v_lshlrev_b64 v[9:10], v9, v[10:11]
	v_sub_u32_e32 v10, 29, v19
	v_and_b32_e32 v9, 7, v9
	v_cndmask_b32_e32 v10, v11, v10, vcc
	v_cndmask_b32_e32 v3, v3, v9, vcc
	v_lshlrev_b32_e32 v9, 16, v12
	v_lshlrev_b32_e32 v3, 20, v3
	v_and_b32_e32 v9, 0x80000000, v9
	v_lshl_add_u32 v10, v10, 23, v58
	v_or3_b32 v3, v9, v10, v3
.LBB4_1948:                             ;   in Loop: Header=BB4_1738 Depth=2
	s_or_b64 exec, exec, s[92:93]
.LBB4_1949:                             ;   in Loop: Header=BB4_1738 Depth=2
	s_or_b64 exec, exec, s[90:91]
.LBB4_1950:                             ;   in Loop: Header=BB4_1738 Depth=2
	s_or_b64 exec, exec, s[22:23]
	v_mul_f32_e32 v9, v7, v3
	v_and_b32_e32 v36, 0x7f800000, v9
	v_cmp_ne_u64_e32 vcc, s[56:57], v[36:37]
                                        ; implicit-def: $vgpr21
	s_and_saveexec_b64 s[22:23], vcc
	s_xor_b64 s[90:91], exec, s[22:23]
	s_cbranch_execz .LBB4_1964
; %bb.1951:                             ;   in Loop: Header=BB4_1738 Depth=2
	v_and_b32_e32 v36, 0x7fffffff, v9
	v_cmp_gt_u64_e32 vcc, s[58:59], v[36:37]
	v_and_b32_sdwa v3, v9, s53 dst_sel:DWORD dst_unused:UNUSED_PAD src0_sel:BYTE_3 src1_sel:DWORD
                                        ; implicit-def: $vgpr21
	s_and_saveexec_b64 s[22:23], vcc
	s_xor_b64 s[92:93], exec, s[22:23]
	s_cbranch_execz .LBB4_1961
; %bb.1952:                             ;   in Loop: Header=BB4_1738 Depth=2
	v_mov_b32_e32 v21, 0
	v_cmp_ne_u32_e32 vcc, 0, v9
	s_and_saveexec_b64 s[94:95], vcc
	s_cbranch_execz .LBB4_1960
; %bb.1953:                             ;   in Loop: Header=BB4_1738 Depth=2
	v_and_b32_e32 v10, 0x7fffff, v9
	v_bfe_u32 v9, v9, 23, 8
	v_cmp_gt_u32_e64 s[22:23], s54, v9
	v_sub_u32_e32 v11, 0x79, v9
	v_cmp_eq_u32_e32 vcc, 0, v9
	v_cndmask_b32_e64 v11, 0, v11, s[22:23]
	v_or_b32_e32 v21, 0x800000, v10
	v_cndmask_b32_e32 v19, v11, v31, vcc
	v_cndmask_b32_e32 v36, v21, v10, vcc
	v_add_u32_e32 v10, 20, v19
	v_lshlrev_b64 v[10:11], v10, -1
	v_add_u32_e32 v21, 19, v19
	v_lshlrev_b64 v[21:22], v21, 1
	v_bfi_b32 v11, v11, 0, 0
	v_bfi_b32 v10, v10, 0, v36
	v_cmp_eq_u64_e64 s[22:23], v[10:11], v[21:22]
	v_lshrrev_b64 v[10:11], v19, v[36:37]
	v_mov_b32_e32 v41, v11
	v_mov_b32_e32 v40, v10
	s_and_saveexec_b64 s[30:31], s[22:23]
; %bb.1954:                             ;   in Loop: Header=BB4_1738 Depth=2
	v_bfe_u32 v11, v10, 20, 1
	v_add_co_u32_e64 v11, s[22:23], v10, v11
	v_add_co_u32_e64 v40, s[22:23], -1, v11
; %bb.1955:                             ;   in Loop: Header=BB4_1738 Depth=2
	s_or_b64 exec, exec, s[30:31]
	v_add_u32_e32 v9, 0xffffff81, v9
	v_cndmask_b32_e32 v9, v9, v62, vcc
	v_lshrrev_b32_e32 v11, 23, v10
	v_add3_u32 v21, v19, v9, v11
	v_add_u32_e32 v19, 6, v21
	v_and_b32_e32 v9, 0xfffff, v40
	v_add_u32_e32 v36, v9, v10
	v_cmp_ne_u32_e32 vcc, 0, v19
                                        ; implicit-def: $vgpr10_vgpr11
                                        ; implicit-def: $vgpr9
	s_and_saveexec_b64 s[22:23], vcc
	s_xor_b64 s[22:23], exec, s[22:23]
; %bb.1956:                             ;   in Loop: Header=BB4_1738 Depth=2
	v_cmp_lt_u64_e32 vcc, s[60:61], v[36:37]
	v_add_u32_e32 v9, 7, v21
	v_cndmask_b32_e64 v10, 0, 1, vcc
	v_cndmask_b32_e32 v9, v19, v9, vcc
	v_lshrrev_b64 v[10:11], v10, v[36:37]
; %bb.1957:                             ;   in Loop: Header=BB4_1738 Depth=2
	s_andn2_saveexec_b64 s[22:23], s[22:23]
; %bb.1958:                             ;   in Loop: Header=BB4_1738 Depth=2
	v_mov_b32_e32 v10, v36
	v_bfe_u32 v9, v36, 23, 1
	v_mov_b32_e32 v11, v37
; %bb.1959:                             ;   in Loop: Header=BB4_1738 Depth=2
	s_or_b64 exec, exec, s[22:23]
	v_lshrrev_b64 v[10:11], 20, v[10:11]
	v_cmp_gt_i32_e32 vcc, 16, v9
	v_cndmask_b32_e32 v11, 0, v11, vcc
	v_cndmask_b32_e32 v10, 7, v10, vcc
	v_cmp_eq_u32_e32 vcc, 0, v9
	v_min_i32_e32 v9, 15, v9
	v_cmp_eq_u64_e64 s[22:23], 0, v[10:11]
	v_lshlrev_b32_e32 v9, 3, v9
	v_and_b32_e32 v9, 0xf8, v9
	v_and_or_b32 v9, v10, 7, v9
	s_and_b64 s[22:23], vcc, s[22:23]
	v_cndmask_b32_e64 v9, v9, 0, s[22:23]
	v_or_b32_e32 v21, v9, v3
.LBB4_1960:                             ;   in Loop: Header=BB4_1738 Depth=2
	s_or_b64 exec, exec, s[94:95]
                                        ; implicit-def: $vgpr3
.LBB4_1961:                             ;   in Loop: Header=BB4_1738 Depth=2
	s_andn2_saveexec_b64 s[22:23], s[92:93]
; %bb.1962:                             ;   in Loop: Header=BB4_1738 Depth=2
	v_or_b32_e32 v21, 0x7e, v3
; %bb.1963:                             ;   in Loop: Header=BB4_1738 Depth=2
	s_or_b64 exec, exec, s[22:23]
                                        ; implicit-def: $vgpr9
.LBB4_1964:                             ;   in Loop: Header=BB4_1738 Depth=2
	s_andn2_saveexec_b64 s[22:23], s[90:91]
; %bb.1965:                             ;   in Loop: Header=BB4_1738 Depth=2
	v_or_b32_sdwa v21, v9, s51 dst_sel:DWORD dst_unused:UNUSED_PAD src0_sel:BYTE_3 src1_sel:DWORD
; %bb.1966:                             ;   in Loop: Header=BB4_1738 Depth=2
	s_or_b64 exec, exec, s[22:23]
	v_lshrrev_b32_e32 v10, 16, v12
	v_cmp_ne_u16_sdwa s[90:91], v10, v37 src0_sel:BYTE_0 src1_sel:DWORD
	v_mov_b32_e32 v3, 0
	s_and_saveexec_b64 s[22:23], s[90:91]
	s_cbranch_execz .LBB4_1972
; %bb.1967:                             ;   in Loop: Header=BB4_1738 Depth=2
	v_cmp_ne_u16_sdwa s[92:93], v10, s53 src0_sel:BYTE_0 src1_sel:DWORD
	v_bfrev_b32_e32 v3, 1
	s_and_saveexec_b64 s[90:91], s[92:93]
	s_cbranch_execz .LBB4_1971
; %bb.1968:                             ;   in Loop: Header=BB4_1738 Depth=2
	v_bfe_u32 v9, v12, 16, 7
	v_cmp_ne_u32_e32 vcc, s51, v9
	v_mov_b32_e32 v3, 0x7f800001
	s_and_saveexec_b64 s[92:93], vcc
	s_cbranch_execz .LBB4_1970
; %bb.1969:                             ;   in Loop: Header=BB4_1738 Depth=2
	v_and_b32_e32 v3, 7, v10
	v_lshrrev_b32_e32 v11, 3, v9
	v_cmp_gt_u32_e32 vcc, 8, v9
	v_ffbh_u32_e32 v9, v3
	v_min_u32_e32 v9, 32, v9
	v_subrev_u32_e32 v19, 28, v9
	v_lshlrev_b64 v[28:29], v19, v[10:11]
	v_sub_u32_e32 v9, 29, v9
	v_and_b32_e32 v19, 7, v28
	v_cndmask_b32_e32 v9, v11, v9, vcc
	v_cndmask_b32_e32 v3, v3, v19, vcc
	v_lshlrev_b32_e32 v10, 24, v10
	v_lshlrev_b32_e32 v3, 20, v3
	v_and_b32_e32 v10, 0x80000000, v10
	v_lshl_add_u32 v9, v9, 23, v58
	v_or3_b32 v3, v10, v9, v3
.LBB4_1970:                             ;   in Loop: Header=BB4_1738 Depth=2
	s_or_b64 exec, exec, s[92:93]
.LBB4_1971:                             ;   in Loop: Header=BB4_1738 Depth=2
	s_or_b64 exec, exec, s[90:91]
.LBB4_1972:                             ;   in Loop: Header=BB4_1738 Depth=2
	s_or_b64 exec, exec, s[22:23]
	v_mul_f32_e32 v9, v7, v3
	v_and_b32_e32 v36, 0x7f800000, v9
	v_cmp_ne_u64_e32 vcc, s[56:57], v[36:37]
                                        ; implicit-def: $vgpr24
	s_and_saveexec_b64 s[22:23], vcc
	s_xor_b64 s[90:91], exec, s[22:23]
	s_cbranch_execz .LBB4_1986
; %bb.1973:                             ;   in Loop: Header=BB4_1738 Depth=2
	v_and_b32_e32 v36, 0x7fffffff, v9
	v_cmp_gt_u64_e32 vcc, s[58:59], v[36:37]
	v_and_b32_sdwa v3, v9, s53 dst_sel:DWORD dst_unused:UNUSED_PAD src0_sel:BYTE_3 src1_sel:DWORD
                                        ; implicit-def: $vgpr24
	s_and_saveexec_b64 s[22:23], vcc
	s_xor_b64 s[92:93], exec, s[22:23]
	s_cbranch_execz .LBB4_1983
; %bb.1974:                             ;   in Loop: Header=BB4_1738 Depth=2
	v_mov_b32_e32 v24, 0
	v_cmp_ne_u32_e32 vcc, 0, v9
	s_and_saveexec_b64 s[94:95], vcc
	s_cbranch_execz .LBB4_1982
; %bb.1975:                             ;   in Loop: Header=BB4_1738 Depth=2
	v_and_b32_e32 v10, 0x7fffff, v9
	v_bfe_u32 v9, v9, 23, 8
	v_cmp_gt_u32_e64 s[22:23], s54, v9
	v_sub_u32_e32 v11, 0x79, v9
	v_cmp_eq_u32_e32 vcc, 0, v9
	v_cndmask_b32_e64 v11, 0, v11, s[22:23]
	v_or_b32_e32 v22, 0x800000, v10
	v_cndmask_b32_e32 v19, v11, v31, vcc
	v_cndmask_b32_e32 v36, v22, v10, vcc
	v_add_u32_e32 v10, 20, v19
	v_lshlrev_b64 v[10:11], v10, -1
	v_add_u32_e32 v22, 19, v19
	v_lshlrev_b64 v[28:29], v22, 1
	v_bfi_b32 v11, v11, 0, 0
	v_bfi_b32 v10, v10, 0, v36
	v_cmp_eq_u64_e64 s[22:23], v[10:11], v[28:29]
	v_lshrrev_b64 v[10:11], v19, v[36:37]
	v_mov_b32_e32 v41, v11
	v_mov_b32_e32 v40, v10
	s_and_saveexec_b64 s[30:31], s[22:23]
; %bb.1976:                             ;   in Loop: Header=BB4_1738 Depth=2
	v_bfe_u32 v11, v10, 20, 1
	v_add_co_u32_e64 v11, s[22:23], v10, v11
	v_add_co_u32_e64 v40, s[22:23], -1, v11
; %bb.1977:                             ;   in Loop: Header=BB4_1738 Depth=2
	s_or_b64 exec, exec, s[30:31]
	v_add_u32_e32 v9, 0xffffff81, v9
	v_cndmask_b32_e32 v9, v9, v62, vcc
	v_lshrrev_b32_e32 v11, 23, v10
	v_add3_u32 v22, v19, v9, v11
	v_add_u32_e32 v19, 6, v22
	v_and_b32_e32 v9, 0xfffff, v40
	v_add_u32_e32 v36, v9, v10
	v_cmp_ne_u32_e32 vcc, 0, v19
                                        ; implicit-def: $vgpr10_vgpr11
                                        ; implicit-def: $vgpr9
	s_and_saveexec_b64 s[22:23], vcc
	s_xor_b64 s[22:23], exec, s[22:23]
; %bb.1978:                             ;   in Loop: Header=BB4_1738 Depth=2
	v_cmp_lt_u64_e32 vcc, s[60:61], v[36:37]
	v_add_u32_e32 v9, 7, v22
	v_cndmask_b32_e64 v10, 0, 1, vcc
	v_cndmask_b32_e32 v9, v19, v9, vcc
	v_lshrrev_b64 v[10:11], v10, v[36:37]
; %bb.1979:                             ;   in Loop: Header=BB4_1738 Depth=2
	s_andn2_saveexec_b64 s[22:23], s[22:23]
; %bb.1980:                             ;   in Loop: Header=BB4_1738 Depth=2
	v_mov_b32_e32 v10, v36
	v_bfe_u32 v9, v36, 23, 1
	v_mov_b32_e32 v11, v37
; %bb.1981:                             ;   in Loop: Header=BB4_1738 Depth=2
	s_or_b64 exec, exec, s[22:23]
	v_lshrrev_b64 v[10:11], 20, v[10:11]
	v_cmp_gt_i32_e32 vcc, 16, v9
	v_cndmask_b32_e32 v11, 0, v11, vcc
	v_cndmask_b32_e32 v10, 7, v10, vcc
	v_cmp_eq_u32_e32 vcc, 0, v9
	v_min_i32_e32 v9, 15, v9
	v_cmp_eq_u64_e64 s[22:23], 0, v[10:11]
	v_lshlrev_b32_e32 v9, 3, v9
	v_and_b32_e32 v9, 0xf8, v9
	v_and_or_b32 v9, v10, 7, v9
	s_and_b64 s[22:23], vcc, s[22:23]
	v_cndmask_b32_e64 v9, v9, 0, s[22:23]
	v_or_b32_e32 v24, v9, v3
.LBB4_1982:                             ;   in Loop: Header=BB4_1738 Depth=2
	s_or_b64 exec, exec, s[94:95]
                                        ; implicit-def: $vgpr3
.LBB4_1983:                             ;   in Loop: Header=BB4_1738 Depth=2
	s_andn2_saveexec_b64 s[22:23], s[92:93]
; %bb.1984:                             ;   in Loop: Header=BB4_1738 Depth=2
	v_or_b32_e32 v24, 0x7e, v3
; %bb.1985:                             ;   in Loop: Header=BB4_1738 Depth=2
	s_or_b64 exec, exec, s[22:23]
                                        ; implicit-def: $vgpr9
.LBB4_1986:                             ;   in Loop: Header=BB4_1738 Depth=2
	s_andn2_saveexec_b64 s[22:23], s[90:91]
; %bb.1987:                             ;   in Loop: Header=BB4_1738 Depth=2
	v_or_b32_sdwa v24, v9, s51 dst_sel:DWORD dst_unused:UNUSED_PAD src0_sel:BYTE_3 src1_sel:DWORD
; %bb.1988:                             ;   in Loop: Header=BB4_1738 Depth=2
	s_or_b64 exec, exec, s[22:23]
	v_cmp_lt_u32_e32 vcc, s63, v12
	v_mov_b32_e32 v3, 0
	s_and_saveexec_b64 s[22:23], vcc
	s_cbranch_execz .LBB4_1994
; %bb.1989:                             ;   in Loop: Header=BB4_1738 Depth=2
	v_lshrrev_b32_e32 v10, 24, v12
	v_cmp_ne_u32_e32 vcc, s53, v10
	v_bfrev_b32_e32 v3, 1
	s_and_saveexec_b64 s[90:91], vcc
	s_cbranch_execz .LBB4_1993
; %bb.1990:                             ;   in Loop: Header=BB4_1738 Depth=2
	v_bfe_u32 v9, v12, 24, 7
	v_cmp_ne_u32_e32 vcc, s51, v9
	v_mov_b32_e32 v3, 0x7f800001
	s_and_saveexec_b64 s[92:93], vcc
	s_cbranch_execz .LBB4_1992
; %bb.1991:                             ;   in Loop: Header=BB4_1738 Depth=2
	v_and_b32_e32 v3, 7, v10
	v_lshrrev_b32_e32 v11, 3, v9
	v_cmp_gt_u32_e32 vcc, 8, v9
	v_ffbh_u32_e32 v9, v3
	v_min_u32_e32 v9, 32, v9
	v_subrev_u32_e32 v19, 28, v9
	v_lshlrev_b64 v[28:29], v19, v[10:11]
	v_sub_u32_e32 v9, 29, v9
	v_and_b32_e32 v19, 7, v28
	v_cndmask_b32_e32 v9, v11, v9, vcc
	v_cndmask_b32_e32 v3, v3, v19, vcc
	v_lshlrev_b32_e32 v10, 24, v10
	v_lshlrev_b32_e32 v3, 20, v3
	v_and_b32_e32 v10, 0x80000000, v10
	v_lshl_add_u32 v9, v9, 23, v58
	v_or3_b32 v3, v10, v9, v3
.LBB4_1992:                             ;   in Loop: Header=BB4_1738 Depth=2
	s_or_b64 exec, exec, s[92:93]
.LBB4_1993:                             ;   in Loop: Header=BB4_1738 Depth=2
	s_or_b64 exec, exec, s[90:91]
.LBB4_1994:                             ;   in Loop: Header=BB4_1738 Depth=2
	s_or_b64 exec, exec, s[22:23]
	v_mul_f32_e32 v9, v7, v3
	v_and_b32_e32 v36, 0x7f800000, v9
	v_cmp_ne_u64_e32 vcc, s[56:57], v[36:37]
                                        ; implicit-def: $vgpr26
	s_and_saveexec_b64 s[22:23], vcc
	s_xor_b64 s[90:91], exec, s[22:23]
	s_cbranch_execz .LBB4_2008
; %bb.1995:                             ;   in Loop: Header=BB4_1738 Depth=2
	v_and_b32_e32 v36, 0x7fffffff, v9
	v_cmp_gt_u64_e32 vcc, s[58:59], v[36:37]
	v_and_b32_sdwa v3, v9, s53 dst_sel:DWORD dst_unused:UNUSED_PAD src0_sel:BYTE_3 src1_sel:DWORD
                                        ; implicit-def: $vgpr26
	s_and_saveexec_b64 s[22:23], vcc
	s_xor_b64 s[92:93], exec, s[22:23]
	s_cbranch_execz .LBB4_2005
; %bb.1996:                             ;   in Loop: Header=BB4_1738 Depth=2
	v_mov_b32_e32 v26, 0
	v_cmp_ne_u32_e32 vcc, 0, v9
	s_and_saveexec_b64 s[94:95], vcc
	s_cbranch_execz .LBB4_2004
; %bb.1997:                             ;   in Loop: Header=BB4_1738 Depth=2
	v_and_b32_e32 v10, 0x7fffff, v9
	v_bfe_u32 v9, v9, 23, 8
	v_cmp_gt_u32_e64 s[22:23], s54, v9
	v_sub_u32_e32 v11, 0x79, v9
	v_cmp_eq_u32_e32 vcc, 0, v9
	v_cndmask_b32_e64 v11, 0, v11, s[22:23]
	v_or_b32_e32 v22, 0x800000, v10
	v_cndmask_b32_e32 v19, v11, v31, vcc
	v_cndmask_b32_e32 v36, v22, v10, vcc
	v_add_u32_e32 v10, 20, v19
	v_lshlrev_b64 v[10:11], v10, -1
	v_add_u32_e32 v22, 19, v19
	v_lshlrev_b64 v[28:29], v22, 1
	v_bfi_b32 v11, v11, 0, 0
	v_bfi_b32 v10, v10, 0, v36
	v_cmp_eq_u64_e64 s[22:23], v[10:11], v[28:29]
	v_lshrrev_b64 v[10:11], v19, v[36:37]
	v_mov_b32_e32 v41, v11
	v_mov_b32_e32 v40, v10
	s_and_saveexec_b64 s[30:31], s[22:23]
; %bb.1998:                             ;   in Loop: Header=BB4_1738 Depth=2
	v_bfe_u32 v11, v10, 20, 1
	v_add_co_u32_e64 v11, s[22:23], v10, v11
	v_add_co_u32_e64 v40, s[22:23], -1, v11
; %bb.1999:                             ;   in Loop: Header=BB4_1738 Depth=2
	s_or_b64 exec, exec, s[30:31]
	v_add_u32_e32 v9, 0xffffff81, v9
	v_cndmask_b32_e32 v9, v9, v62, vcc
	v_lshrrev_b32_e32 v11, 23, v10
	v_add3_u32 v22, v19, v9, v11
	v_add_u32_e32 v19, 6, v22
	v_and_b32_e32 v9, 0xfffff, v40
	v_add_u32_e32 v36, v9, v10
	v_cmp_ne_u32_e32 vcc, 0, v19
                                        ; implicit-def: $vgpr10_vgpr11
                                        ; implicit-def: $vgpr9
	s_and_saveexec_b64 s[22:23], vcc
	s_xor_b64 s[22:23], exec, s[22:23]
; %bb.2000:                             ;   in Loop: Header=BB4_1738 Depth=2
	v_cmp_lt_u64_e32 vcc, s[60:61], v[36:37]
	v_add_u32_e32 v9, 7, v22
	v_cndmask_b32_e64 v10, 0, 1, vcc
	v_cndmask_b32_e32 v9, v19, v9, vcc
	v_lshrrev_b64 v[10:11], v10, v[36:37]
; %bb.2001:                             ;   in Loop: Header=BB4_1738 Depth=2
	s_andn2_saveexec_b64 s[22:23], s[22:23]
; %bb.2002:                             ;   in Loop: Header=BB4_1738 Depth=2
	v_mov_b32_e32 v10, v36
	v_bfe_u32 v9, v36, 23, 1
	v_mov_b32_e32 v11, v37
; %bb.2003:                             ;   in Loop: Header=BB4_1738 Depth=2
	s_or_b64 exec, exec, s[22:23]
	v_lshrrev_b64 v[10:11], 20, v[10:11]
	v_cmp_gt_i32_e32 vcc, 16, v9
	v_cndmask_b32_e32 v11, 0, v11, vcc
	v_cndmask_b32_e32 v10, 7, v10, vcc
	v_cmp_eq_u32_e32 vcc, 0, v9
	v_min_i32_e32 v9, 15, v9
	v_cmp_eq_u64_e64 s[22:23], 0, v[10:11]
	v_lshlrev_b32_e32 v9, 3, v9
	v_and_b32_e32 v9, 0xf8, v9
	v_and_or_b32 v9, v10, 7, v9
	s_and_b64 s[22:23], vcc, s[22:23]
	v_cndmask_b32_e64 v9, v9, 0, s[22:23]
	v_or_b32_e32 v26, v9, v3
.LBB4_2004:                             ;   in Loop: Header=BB4_1738 Depth=2
	s_or_b64 exec, exec, s[94:95]
                                        ; implicit-def: $vgpr3
.LBB4_2005:                             ;   in Loop: Header=BB4_1738 Depth=2
	s_andn2_saveexec_b64 s[22:23], s[92:93]
; %bb.2006:                             ;   in Loop: Header=BB4_1738 Depth=2
	v_or_b32_e32 v26, 0x7e, v3
; %bb.2007:                             ;   in Loop: Header=BB4_1738 Depth=2
	s_or_b64 exec, exec, s[22:23]
                                        ; implicit-def: $vgpr9
.LBB4_2008:                             ;   in Loop: Header=BB4_1738 Depth=2
	s_andn2_saveexec_b64 s[22:23], s[90:91]
; %bb.2009:                             ;   in Loop: Header=BB4_1738 Depth=2
	v_or_b32_sdwa v26, v9, s51 dst_sel:DWORD dst_unused:UNUSED_PAD src0_sel:BYTE_3 src1_sel:DWORD
; %bb.2010:                             ;   in Loop: Header=BB4_1738 Depth=2
	s_or_b64 exec, exec, s[22:23]
	v_mov_b32_e32 v36, v13
	v_cmp_ne_u16_sdwa s[90:91], v13, v37 src0_sel:BYTE_0 src1_sel:DWORD
	v_mov_b32_e32 v3, 0
	s_and_saveexec_b64 s[22:23], s[90:91]
	s_cbranch_execz .LBB4_2016
; %bb.2011:                             ;   in Loop: Header=BB4_1738 Depth=2
	v_cmp_ne_u16_sdwa s[92:93], v13, s53 src0_sel:BYTE_0 src1_sel:DWORD
	v_bfrev_b32_e32 v3, 1
	s_and_saveexec_b64 s[90:91], s[92:93]
	s_cbranch_execz .LBB4_2015
; %bb.2012:                             ;   in Loop: Header=BB4_1738 Depth=2
	v_and_b32_e32 v9, 0x7f, v13
	v_cmp_ne_u32_e32 vcc, s51, v9
	v_mov_b32_e32 v3, 0x7f800001
	s_and_saveexec_b64 s[92:93], vcc
	s_cbranch_execz .LBB4_2014
; %bb.2013:                             ;   in Loop: Header=BB4_1738 Depth=2
	v_and_b32_e32 v3, 7, v13
	v_ffbh_u32_e32 v3, v3
	v_min_u32_e32 v3, 32, v3
	v_lshrrev_b32_e32 v10, 3, v9
	v_cmp_gt_u32_e32 vcc, 8, v9
	v_subrev_u32_e32 v9, 28, v3
	v_sub_u32_e32 v3, 29, v3
	v_cndmask_b32_e32 v9, 0, v9, vcc
	v_cndmask_b32_e32 v3, v10, v3, vcc
	v_lshlrev_b64 v[9:10], v9, v[36:37]
	v_lshlrev_b32_e32 v10, 24, v36
	v_lshlrev_b32_e32 v9, 20, v9
	v_and_b32_e32 v9, 0x700000, v9
	v_and_b32_e32 v10, 0x80000000, v10
	v_lshl_add_u32 v3, v3, 23, v58
	v_or3_b32 v3, v10, v3, v9
.LBB4_2014:                             ;   in Loop: Header=BB4_1738 Depth=2
	s_or_b64 exec, exec, s[92:93]
.LBB4_2015:                             ;   in Loop: Header=BB4_1738 Depth=2
	s_or_b64 exec, exec, s[90:91]
.LBB4_2016:                             ;   in Loop: Header=BB4_1738 Depth=2
	s_or_b64 exec, exec, s[22:23]
	v_mul_f32_e32 v10, v7, v3
	v_and_b32_e32 v28, 0x7f800000, v10
	v_mov_b32_e32 v29, v37
	v_cmp_ne_u64_e32 vcc, s[56:57], v[28:29]
                                        ; implicit-def: $vgpr3
	s_and_saveexec_b64 s[22:23], vcc
	s_xor_b64 s[90:91], exec, s[22:23]
	s_cbranch_execz .LBB4_2030
; %bb.2017:                             ;   in Loop: Header=BB4_1738 Depth=2
	v_and_b32_e32 v28, 0x7fffffff, v10
	v_mov_b32_e32 v29, v37
	v_cmp_gt_u64_e32 vcc, s[58:59], v[28:29]
	v_and_b32_sdwa v9, v10, s53 dst_sel:DWORD dst_unused:UNUSED_PAD src0_sel:BYTE_3 src1_sel:DWORD
                                        ; implicit-def: $vgpr3
	s_and_saveexec_b64 s[22:23], vcc
	s_xor_b64 s[92:93], exec, s[22:23]
	s_cbranch_execz .LBB4_2027
; %bb.2018:                             ;   in Loop: Header=BB4_1738 Depth=2
	v_mov_b32_e32 v3, 0
	v_cmp_ne_u32_e32 vcc, 0, v10
	s_and_saveexec_b64 s[94:95], vcc
	s_cbranch_execz .LBB4_2026
; %bb.2019:                             ;   in Loop: Header=BB4_1738 Depth=2
	v_bfe_u32 v3, v10, 23, 8
	v_and_b32_e32 v11, 0x7fffff, v10
	v_cmp_gt_u32_e64 s[22:23], s54, v3
	v_sub_u32_e32 v10, 0x79, v3
	v_cmp_eq_u32_e32 vcc, 0, v3
	v_cndmask_b32_e64 v10, 0, v10, s[22:23]
	v_or_b32_e32 v22, 0x800000, v11
	v_cndmask_b32_e32 v19, v10, v31, vcc
	v_cndmask_b32_e32 v10, v22, v11, vcc
	v_add_u32_e32 v22, 20, v19
	v_lshlrev_b64 v[28:29], v22, -1
	v_mov_b32_e32 v11, v37
	v_add_u32_e32 v22, 19, v19
	v_bfi_b32 v28, v28, 0, v10
	v_lshlrev_b64 v[34:35], v22, 1
	v_lshrrev_b64 v[10:11], v19, v[10:11]
	v_bfi_b32 v29, v29, 0, 0
	v_cmp_eq_u64_e64 s[22:23], v[28:29], v[34:35]
	v_mov_b32_e32 v41, v11
	v_mov_b32_e32 v40, v10
	s_and_saveexec_b64 s[30:31], s[22:23]
; %bb.2020:                             ;   in Loop: Header=BB4_1738 Depth=2
	v_bfe_u32 v11, v10, 20, 1
	v_add_co_u32_e64 v11, s[22:23], v10, v11
	v_add_co_u32_e64 v40, s[22:23], -1, v11
; %bb.2021:                             ;   in Loop: Header=BB4_1738 Depth=2
	s_or_b64 exec, exec, s[30:31]
	v_add_u32_e32 v3, 0xffffff81, v3
	v_cndmask_b32_e32 v3, v3, v62, vcc
	v_lshrrev_b32_e32 v11, 23, v10
	v_add3_u32 v22, v19, v3, v11
	v_add_u32_e32 v19, 6, v22
	v_and_b32_e32 v3, 0xfffff, v40
	v_add_u32_e32 v10, v3, v10
	v_mov_b32_e32 v11, v37
	v_cmp_ne_u32_e32 vcc, 0, v19
                                        ; implicit-def: $vgpr3
	s_and_saveexec_b64 s[22:23], vcc
	s_xor_b64 s[22:23], exec, s[22:23]
; %bb.2022:                             ;   in Loop: Header=BB4_1738 Depth=2
	v_cmp_lt_u64_e32 vcc, s[60:61], v[10:11]
	v_add_u32_e32 v3, 7, v22
	v_cndmask_b32_e32 v3, v19, v3, vcc
	v_cndmask_b32_e64 v19, 0, 1, vcc
	v_lshrrev_b64 v[10:11], v19, v[10:11]
; %bb.2023:                             ;   in Loop: Header=BB4_1738 Depth=2
	s_andn2_saveexec_b64 s[22:23], s[22:23]
; %bb.2024:                             ;   in Loop: Header=BB4_1738 Depth=2
	v_bfe_u32 v3, v10, 23, 1
; %bb.2025:                             ;   in Loop: Header=BB4_1738 Depth=2
	s_or_b64 exec, exec, s[22:23]
	v_lshrrev_b64 v[10:11], 20, v[10:11]
	v_cmp_gt_i32_e32 vcc, 16, v3
	v_cndmask_b32_e32 v11, 0, v11, vcc
	v_cndmask_b32_e32 v10, 7, v10, vcc
	v_cmp_eq_u32_e32 vcc, 0, v3
	v_min_i32_e32 v3, 15, v3
	v_cmp_eq_u64_e64 s[22:23], 0, v[10:11]
	v_lshlrev_b32_e32 v3, 3, v3
	v_and_b32_e32 v3, 0xf8, v3
	v_and_or_b32 v3, v10, 7, v3
	s_and_b64 s[22:23], vcc, s[22:23]
	v_cndmask_b32_e64 v3, v3, 0, s[22:23]
	v_or_b32_e32 v3, v3, v9
.LBB4_2026:                             ;   in Loop: Header=BB4_1738 Depth=2
	s_or_b64 exec, exec, s[94:95]
                                        ; implicit-def: $vgpr9
.LBB4_2027:                             ;   in Loop: Header=BB4_1738 Depth=2
	s_andn2_saveexec_b64 s[22:23], s[92:93]
; %bb.2028:                             ;   in Loop: Header=BB4_1738 Depth=2
	v_or_b32_e32 v3, 0x7e, v9
; %bb.2029:                             ;   in Loop: Header=BB4_1738 Depth=2
	s_or_b64 exec, exec, s[22:23]
                                        ; implicit-def: $vgpr10
.LBB4_2030:                             ;   in Loop: Header=BB4_1738 Depth=2
	s_andn2_saveexec_b64 s[22:23], s[90:91]
; %bb.2031:                             ;   in Loop: Header=BB4_1738 Depth=2
	v_or_b32_sdwa v3, v10, s51 dst_sel:DWORD dst_unused:UNUSED_PAD src0_sel:BYTE_3 src1_sel:DWORD
; %bb.2032:                             ;   in Loop: Header=BB4_1738 Depth=2
	s_or_b64 exec, exec, s[22:23]
	v_lshrrev_b16_e32 v10, 8, v36
	v_cmp_ne_u16_e32 vcc, 0, v10
	v_mov_b32_e32 v9, 0
	s_and_saveexec_b64 s[22:23], vcc
	s_cbranch_execz .LBB4_2038
; %bb.2033:                             ;   in Loop: Header=BB4_1738 Depth=2
	v_cmp_ne_u16_e32 vcc, s53, v10
	v_bfrev_b32_e32 v9, 1
	s_and_saveexec_b64 s[90:91], vcc
	s_cbranch_execz .LBB4_2037
; %bb.2034:                             ;   in Loop: Header=BB4_1738 Depth=2
	v_and_b32_e32 v11, 0x7f, v10
	v_cmp_ne_u32_e32 vcc, s51, v11
	v_mov_b32_e32 v9, 0x7f800001
	s_and_saveexec_b64 s[92:93], vcc
	s_cbranch_execz .LBB4_2036
; %bb.2035:                             ;   in Loop: Header=BB4_1738 Depth=2
	v_and_b32_e32 v19, 7, v10
	v_ffbh_u32_e32 v9, v19
	v_lshrrev_b32_e32 v22, 3, v11
	v_cmp_gt_u32_e32 vcc, 8, v11
	v_min_u32_e32 v11, 32, v9
	v_subrev_u32_e32 v9, 28, v11
	v_lshlrev_b64 v[9:10], v9, v[10:11]
	v_sub_u32_e32 v10, 29, v11
	v_and_b32_e32 v9, 7, v9
	v_cndmask_b32_e32 v10, v22, v10, vcc
	v_cndmask_b32_e32 v9, v19, v9, vcc
	v_lshlrev_b32_e32 v11, 16, v36
	v_lshlrev_b32_e32 v9, 20, v9
	v_and_b32_e32 v11, 0x80000000, v11
	v_lshl_add_u32 v10, v10, 23, v58
	v_or3_b32 v9, v11, v10, v9
.LBB4_2036:                             ;   in Loop: Header=BB4_1738 Depth=2
	s_or_b64 exec, exec, s[92:93]
.LBB4_2037:                             ;   in Loop: Header=BB4_1738 Depth=2
	s_or_b64 exec, exec, s[90:91]
.LBB4_2038:                             ;   in Loop: Header=BB4_1738 Depth=2
	s_or_b64 exec, exec, s[22:23]
	v_mul_f32_e32 v10, v7, v9
	v_and_b32_e32 v36, 0x7f800000, v10
	v_cmp_ne_u64_e32 vcc, s[56:57], v[36:37]
                                        ; implicit-def: $vgpr9
	s_and_saveexec_b64 s[22:23], vcc
	s_xor_b64 s[90:91], exec, s[22:23]
	s_cbranch_execz .LBB4_2052
; %bb.2039:                             ;   in Loop: Header=BB4_1738 Depth=2
	v_and_b32_e32 v36, 0x7fffffff, v10
	v_cmp_gt_u64_e32 vcc, s[58:59], v[36:37]
	v_and_b32_sdwa v19, v10, s53 dst_sel:DWORD dst_unused:UNUSED_PAD src0_sel:BYTE_3 src1_sel:DWORD
                                        ; implicit-def: $vgpr9
	s_and_saveexec_b64 s[22:23], vcc
	s_xor_b64 s[92:93], exec, s[22:23]
	s_cbranch_execz .LBB4_2049
; %bb.2040:                             ;   in Loop: Header=BB4_1738 Depth=2
	v_mov_b32_e32 v9, 0
	v_cmp_ne_u32_e32 vcc, 0, v10
	s_and_saveexec_b64 s[94:95], vcc
	s_cbranch_execz .LBB4_2048
; %bb.2041:                             ;   in Loop: Header=BB4_1738 Depth=2
	v_bfe_u32 v9, v10, 23, 8
	v_and_b32_e32 v11, 0x7fffff, v10
	v_cmp_gt_u32_e64 s[22:23], s54, v9
	v_sub_u32_e32 v10, 0x79, v9
	v_cmp_eq_u32_e32 vcc, 0, v9
	v_cndmask_b32_e64 v10, 0, v10, s[22:23]
	v_cndmask_b32_e32 v22, v10, v31, vcc
	v_or_b32_e32 v28, 0x800000, v11
	v_add_u32_e32 v10, 20, v22
	v_cndmask_b32_e32 v36, v28, v11, vcc
	v_lshlrev_b64 v[10:11], v10, -1
	v_add_u32_e32 v28, 19, v22
	v_lshlrev_b64 v[28:29], v28, 1
	v_bfi_b32 v11, v11, 0, 0
	v_bfi_b32 v10, v10, 0, v36
	v_cmp_eq_u64_e64 s[22:23], v[10:11], v[28:29]
	v_lshrrev_b64 v[10:11], v22, v[36:37]
	v_mov_b32_e32 v41, v11
	v_mov_b32_e32 v40, v10
	s_and_saveexec_b64 s[30:31], s[22:23]
; %bb.2042:                             ;   in Loop: Header=BB4_1738 Depth=2
	v_bfe_u32 v11, v10, 20, 1
	v_add_co_u32_e64 v11, s[22:23], v10, v11
	v_add_co_u32_e64 v40, s[22:23], -1, v11
; %bb.2043:                             ;   in Loop: Header=BB4_1738 Depth=2
	s_or_b64 exec, exec, s[30:31]
	v_add_u32_e32 v9, 0xffffff81, v9
	v_cndmask_b32_e32 v9, v9, v62, vcc
	v_lshrrev_b32_e32 v11, 23, v10
	v_add3_u32 v28, v22, v9, v11
	v_add_u32_e32 v22, 6, v28
	v_and_b32_e32 v9, 0xfffff, v40
	v_add_u32_e32 v36, v9, v10
	v_cmp_ne_u32_e32 vcc, 0, v22
                                        ; implicit-def: $vgpr10_vgpr11
                                        ; implicit-def: $vgpr9
	s_and_saveexec_b64 s[22:23], vcc
	s_xor_b64 s[22:23], exec, s[22:23]
; %bb.2044:                             ;   in Loop: Header=BB4_1738 Depth=2
	v_cmp_lt_u64_e32 vcc, s[60:61], v[36:37]
	v_add_u32_e32 v9, 7, v28
	v_cndmask_b32_e64 v10, 0, 1, vcc
	v_cndmask_b32_e32 v9, v22, v9, vcc
	v_lshrrev_b64 v[10:11], v10, v[36:37]
; %bb.2045:                             ;   in Loop: Header=BB4_1738 Depth=2
	s_andn2_saveexec_b64 s[22:23], s[22:23]
; %bb.2046:                             ;   in Loop: Header=BB4_1738 Depth=2
	v_mov_b32_e32 v10, v36
	v_bfe_u32 v9, v36, 23, 1
	v_mov_b32_e32 v11, v37
; %bb.2047:                             ;   in Loop: Header=BB4_1738 Depth=2
	s_or_b64 exec, exec, s[22:23]
	v_lshrrev_b64 v[10:11], 20, v[10:11]
	v_cmp_gt_i32_e32 vcc, 16, v9
	v_cndmask_b32_e32 v11, 0, v11, vcc
	v_cndmask_b32_e32 v10, 7, v10, vcc
	v_cmp_eq_u32_e32 vcc, 0, v9
	v_min_i32_e32 v9, 15, v9
	v_cmp_eq_u64_e64 s[22:23], 0, v[10:11]
	v_lshlrev_b32_e32 v9, 3, v9
	v_and_b32_e32 v9, 0xf8, v9
	v_and_or_b32 v9, v10, 7, v9
	s_and_b64 s[22:23], vcc, s[22:23]
	v_cndmask_b32_e64 v9, v9, 0, s[22:23]
	v_or_b32_e32 v9, v9, v19
.LBB4_2048:                             ;   in Loop: Header=BB4_1738 Depth=2
	s_or_b64 exec, exec, s[94:95]
                                        ; implicit-def: $vgpr19
.LBB4_2049:                             ;   in Loop: Header=BB4_1738 Depth=2
	s_andn2_saveexec_b64 s[22:23], s[92:93]
; %bb.2050:                             ;   in Loop: Header=BB4_1738 Depth=2
	v_or_b32_e32 v9, 0x7e, v19
; %bb.2051:                             ;   in Loop: Header=BB4_1738 Depth=2
	s_or_b64 exec, exec, s[22:23]
                                        ; implicit-def: $vgpr10
.LBB4_2052:                             ;   in Loop: Header=BB4_1738 Depth=2
	s_andn2_saveexec_b64 s[22:23], s[90:91]
; %bb.2053:                             ;   in Loop: Header=BB4_1738 Depth=2
	v_or_b32_sdwa v9, v10, s51 dst_sel:DWORD dst_unused:UNUSED_PAD src0_sel:BYTE_3 src1_sel:DWORD
; %bb.2054:                             ;   in Loop: Header=BB4_1738 Depth=2
	s_or_b64 exec, exec, s[22:23]
	v_lshrrev_b32_e32 v10, 16, v13
	v_cmp_ne_u16_sdwa s[90:91], v10, v37 src0_sel:BYTE_0 src1_sel:DWORD
	v_mov_b32_e32 v11, 0
	s_and_saveexec_b64 s[22:23], s[90:91]
	s_cbranch_execz .LBB4_2060
; %bb.2055:                             ;   in Loop: Header=BB4_1738 Depth=2
	v_cmp_ne_u16_sdwa s[92:93], v10, s53 src0_sel:BYTE_0 src1_sel:DWORD
	v_bfrev_b32_e32 v11, 1
	s_and_saveexec_b64 s[90:91], s[92:93]
	s_cbranch_execz .LBB4_2059
; %bb.2056:                             ;   in Loop: Header=BB4_1738 Depth=2
	v_bfe_u32 v19, v13, 16, 7
	v_cmp_ne_u32_e32 vcc, s51, v19
	v_mov_b32_e32 v11, 0x7f800001
	s_and_saveexec_b64 s[92:93], vcc
	s_cbranch_execz .LBB4_2058
; %bb.2057:                             ;   in Loop: Header=BB4_1738 Depth=2
	v_and_b32_e32 v11, 7, v10
	v_lshrrev_b32_e32 v22, 3, v19
	v_cmp_gt_u32_e32 vcc, 8, v19
	v_ffbh_u32_e32 v19, v11
	v_min_u32_e32 v19, 32, v19
	v_subrev_u32_e32 v28, 28, v19
	v_lshlrev_b64 v[28:29], v28, v[10:11]
	v_sub_u32_e32 v19, 29, v19
	v_and_b32_e32 v28, 7, v28
	v_cndmask_b32_e32 v19, v22, v19, vcc
	v_cndmask_b32_e32 v11, v11, v28, vcc
	v_lshlrev_b32_e32 v10, 24, v10
	v_lshlrev_b32_e32 v11, 20, v11
	v_and_b32_e32 v10, 0x80000000, v10
	v_lshl_add_u32 v19, v19, 23, v58
	v_or3_b32 v11, v10, v19, v11
.LBB4_2058:                             ;   in Loop: Header=BB4_1738 Depth=2
	s_or_b64 exec, exec, s[92:93]
.LBB4_2059:                             ;   in Loop: Header=BB4_1738 Depth=2
	s_or_b64 exec, exec, s[90:91]
.LBB4_2060:                             ;   in Loop: Header=BB4_1738 Depth=2
	s_or_b64 exec, exec, s[22:23]
	v_mul_f32_e32 v10, v7, v11
	v_and_b32_e32 v36, 0x7f800000, v10
	v_cmp_ne_u64_e32 vcc, s[56:57], v[36:37]
                                        ; implicit-def: $vgpr19
	s_and_saveexec_b64 s[22:23], vcc
	s_xor_b64 s[90:91], exec, s[22:23]
	s_cbranch_execz .LBB4_2074
; %bb.2061:                             ;   in Loop: Header=BB4_1738 Depth=2
	v_and_b32_e32 v36, 0x7fffffff, v10
	v_cmp_gt_u64_e32 vcc, s[58:59], v[36:37]
	v_and_b32_sdwa v22, v10, s53 dst_sel:DWORD dst_unused:UNUSED_PAD src0_sel:BYTE_3 src1_sel:DWORD
                                        ; implicit-def: $vgpr19
	s_and_saveexec_b64 s[22:23], vcc
	s_xor_b64 s[92:93], exec, s[22:23]
	s_cbranch_execz .LBB4_2071
; %bb.2062:                             ;   in Loop: Header=BB4_1738 Depth=2
	v_mov_b32_e32 v19, 0
	v_cmp_ne_u32_e32 vcc, 0, v10
	s_and_saveexec_b64 s[94:95], vcc
	s_cbranch_execz .LBB4_2070
; %bb.2063:                             ;   in Loop: Header=BB4_1738 Depth=2
	v_bfe_u32 v19, v10, 23, 8
	v_and_b32_e32 v11, 0x7fffff, v10
	v_cmp_gt_u32_e64 s[22:23], s54, v19
	v_sub_u32_e32 v10, 0x79, v19
	v_cmp_eq_u32_e32 vcc, 0, v19
	v_cndmask_b32_e64 v10, 0, v10, s[22:23]
	v_cndmask_b32_e32 v28, v10, v31, vcc
	v_or_b32_e32 v29, 0x800000, v11
	v_add_u32_e32 v10, 20, v28
	v_cndmask_b32_e32 v36, v29, v11, vcc
	v_lshlrev_b64 v[10:11], v10, -1
	v_add_u32_e32 v29, 19, v28
	v_lshlrev_b64 v[29:30], v29, 1
	v_bfi_b32 v11, v11, 0, 0
	v_bfi_b32 v10, v10, 0, v36
	v_cmp_eq_u64_e64 s[22:23], v[10:11], v[29:30]
	v_lshrrev_b64 v[10:11], v28, v[36:37]
	v_mov_b32_e32 v41, v11
	v_mov_b32_e32 v40, v10
	s_and_saveexec_b64 s[30:31], s[22:23]
; %bb.2064:                             ;   in Loop: Header=BB4_1738 Depth=2
	v_bfe_u32 v11, v10, 20, 1
	v_add_co_u32_e64 v11, s[22:23], v10, v11
	v_add_co_u32_e64 v40, s[22:23], -1, v11
; %bb.2065:                             ;   in Loop: Header=BB4_1738 Depth=2
	s_or_b64 exec, exec, s[30:31]
	v_add_u32_e32 v11, 0xffffff81, v19
	v_cndmask_b32_e32 v11, v11, v62, vcc
	v_lshrrev_b32_e32 v19, 23, v10
	v_add3_u32 v29, v28, v11, v19
	v_add_u32_e32 v28, 6, v29
	v_and_b32_e32 v11, 0xfffff, v40
	v_add_u32_e32 v36, v11, v10
	v_cmp_ne_u32_e32 vcc, 0, v28
                                        ; implicit-def: $vgpr10_vgpr11
                                        ; implicit-def: $vgpr19
	s_and_saveexec_b64 s[22:23], vcc
	s_xor_b64 s[22:23], exec, s[22:23]
; %bb.2066:                             ;   in Loop: Header=BB4_1738 Depth=2
	v_cmp_lt_u64_e32 vcc, s[60:61], v[36:37]
	v_add_u32_e32 v10, 7, v29
	v_cndmask_b32_e32 v19, v28, v10, vcc
	v_cndmask_b32_e64 v10, 0, 1, vcc
	v_lshrrev_b64 v[10:11], v10, v[36:37]
; %bb.2067:                             ;   in Loop: Header=BB4_1738 Depth=2
	s_andn2_saveexec_b64 s[22:23], s[22:23]
; %bb.2068:                             ;   in Loop: Header=BB4_1738 Depth=2
	v_mov_b32_e32 v10, v36
	v_bfe_u32 v19, v36, 23, 1
	v_mov_b32_e32 v11, v37
; %bb.2069:                             ;   in Loop: Header=BB4_1738 Depth=2
	s_or_b64 exec, exec, s[22:23]
	v_lshrrev_b64 v[10:11], 20, v[10:11]
	v_cmp_gt_i32_e32 vcc, 16, v19
	v_cndmask_b32_e32 v11, 0, v11, vcc
	v_cndmask_b32_e32 v10, 7, v10, vcc
	v_cmp_eq_u64_e64 s[22:23], 0, v[10:11]
	v_min_i32_e32 v11, 15, v19
	v_lshlrev_b32_e32 v11, 3, v11
	v_cmp_eq_u32_e32 vcc, 0, v19
	v_and_b32_e32 v11, 0xf8, v11
	v_and_or_b32 v10, v10, 7, v11
	s_and_b64 s[22:23], vcc, s[22:23]
	v_cndmask_b32_e64 v10, v10, 0, s[22:23]
	v_or_b32_e32 v19, v10, v22
.LBB4_2070:                             ;   in Loop: Header=BB4_1738 Depth=2
	s_or_b64 exec, exec, s[94:95]
                                        ; implicit-def: $vgpr22
.LBB4_2071:                             ;   in Loop: Header=BB4_1738 Depth=2
	s_andn2_saveexec_b64 s[22:23], s[92:93]
; %bb.2072:                             ;   in Loop: Header=BB4_1738 Depth=2
	v_or_b32_e32 v19, 0x7e, v22
; %bb.2073:                             ;   in Loop: Header=BB4_1738 Depth=2
	s_or_b64 exec, exec, s[22:23]
                                        ; implicit-def: $vgpr10
.LBB4_2074:                             ;   in Loop: Header=BB4_1738 Depth=2
	s_andn2_saveexec_b64 s[22:23], s[90:91]
; %bb.2075:                             ;   in Loop: Header=BB4_1738 Depth=2
	v_or_b32_sdwa v19, v10, s51 dst_sel:DWORD dst_unused:UNUSED_PAD src0_sel:BYTE_3 src1_sel:DWORD
; %bb.2076:                             ;   in Loop: Header=BB4_1738 Depth=2
	s_or_b64 exec, exec, s[22:23]
	v_cmp_lt_u64_e32 vcc, s[62:63], v[12:13]
	v_mov_b32_e32 v11, 0
	s_and_saveexec_b64 s[22:23], vcc
	s_cbranch_execz .LBB4_2082
; %bb.2077:                             ;   in Loop: Header=BB4_1738 Depth=2
	v_lshrrev_b32_e32 v10, 24, v13
	v_cmp_ne_u32_e32 vcc, s53, v10
	v_bfrev_b32_e32 v11, 1
	s_and_saveexec_b64 s[90:91], vcc
	s_cbranch_execz .LBB4_2081
; %bb.2078:                             ;   in Loop: Header=BB4_1738 Depth=2
	v_bfe_u32 v12, v13, 24, 7
	v_cmp_ne_u32_e32 vcc, s51, v12
	v_mov_b32_e32 v11, 0x7f800001
	s_and_saveexec_b64 s[92:93], vcc
	s_cbranch_execz .LBB4_2080
; %bb.2079:                             ;   in Loop: Header=BB4_1738 Depth=2
	v_and_b32_e32 v13, 7, v10
	v_ffbh_u32_e32 v11, v13
	v_min_u32_e32 v28, 32, v11
	v_subrev_u32_e32 v11, 28, v28
	v_lshrrev_b32_e32 v22, 3, v12
	v_cmp_gt_u32_e32 vcc, 8, v12
	v_lshlrev_b64 v[11:12], v11, v[10:11]
	v_sub_u32_e32 v12, 29, v28
	v_and_b32_e32 v11, 7, v11
	v_cndmask_b32_e32 v12, v22, v12, vcc
	v_cndmask_b32_e32 v11, v13, v11, vcc
	v_lshlrev_b32_e32 v10, 24, v10
	v_lshlrev_b32_e32 v11, 20, v11
	v_and_b32_e32 v10, 0x80000000, v10
	v_lshl_add_u32 v12, v12, 23, v58
	v_or3_b32 v11, v10, v12, v11
.LBB4_2080:                             ;   in Loop: Header=BB4_1738 Depth=2
	s_or_b64 exec, exec, s[92:93]
.LBB4_2081:                             ;   in Loop: Header=BB4_1738 Depth=2
	s_or_b64 exec, exec, s[90:91]
.LBB4_2082:                             ;   in Loop: Header=BB4_1738 Depth=2
	s_or_b64 exec, exec, s[22:23]
	v_mul_f32_e32 v10, v7, v11
	v_and_b32_e32 v36, 0x7f800000, v10
	v_cmp_ne_u64_e32 vcc, s[56:57], v[36:37]
                                        ; implicit-def: $vgpr22
	s_and_saveexec_b64 s[22:23], vcc
	s_xor_b64 s[90:91], exec, s[22:23]
	s_cbranch_execz .LBB4_2096
; %bb.2083:                             ;   in Loop: Header=BB4_1738 Depth=2
	v_and_b32_e32 v36, 0x7fffffff, v10
	v_cmp_gt_u64_e32 vcc, s[58:59], v[36:37]
	v_and_b32_sdwa v7, v10, s53 dst_sel:DWORD dst_unused:UNUSED_PAD src0_sel:BYTE_3 src1_sel:DWORD
                                        ; implicit-def: $vgpr22
	s_and_saveexec_b64 s[22:23], vcc
	s_xor_b64 s[92:93], exec, s[22:23]
	s_cbranch_execz .LBB4_2093
; %bb.2084:                             ;   in Loop: Header=BB4_1738 Depth=2
	v_mov_b32_e32 v22, 0
	v_cmp_ne_u32_e32 vcc, 0, v10
	s_and_saveexec_b64 s[94:95], vcc
	s_cbranch_execz .LBB4_2092
; %bb.2085:                             ;   in Loop: Header=BB4_1738 Depth=2
	v_bfe_u32 v13, v10, 23, 8
	v_and_b32_e32 v11, 0x7fffff, v10
	v_cmp_gt_u32_e64 s[22:23], s54, v13
	v_sub_u32_e32 v10, 0x79, v13
	v_cmp_eq_u32_e32 vcc, 0, v13
	v_cndmask_b32_e64 v10, 0, v10, s[22:23]
	v_cndmask_b32_e32 v22, v10, v31, vcc
	v_or_b32_e32 v12, 0x800000, v11
	v_add_u32_e32 v10, 20, v22
	v_cndmask_b32_e32 v36, v12, v11, vcc
	v_lshlrev_b64 v[10:11], v10, -1
	v_add_u32_e32 v12, 19, v22
	v_lshlrev_b64 v[28:29], v12, 1
	v_bfi_b32 v11, v11, 0, 0
	v_bfi_b32 v10, v10, 0, v36
	v_cmp_eq_u64_e64 s[22:23], v[10:11], v[28:29]
	v_lshrrev_b64 v[10:11], v22, v[36:37]
	v_mov_b32_e32 v12, v11
	v_mov_b32_e32 v11, v10
	s_and_saveexec_b64 s[30:31], s[22:23]
; %bb.2086:                             ;   in Loop: Header=BB4_1738 Depth=2
	v_bfe_u32 v11, v10, 20, 1
	v_add_co_u32_e64 v11, s[22:23], v10, v11
	v_add_co_u32_e64 v11, s[22:23], -1, v11
; %bb.2087:                             ;   in Loop: Header=BB4_1738 Depth=2
	s_or_b64 exec, exec, s[30:31]
	v_add_u32_e32 v12, 0xffffff81, v13
	v_cndmask_b32_e32 v12, v12, v62, vcc
	v_lshrrev_b32_e32 v13, 23, v10
	v_add3_u32 v22, v22, v12, v13
	v_add_u32_e32 v13, 6, v22
	v_and_b32_e32 v11, 0xfffff, v11
	v_add_u32_e32 v36, v11, v10
	v_cmp_ne_u32_e32 vcc, 0, v13
                                        ; implicit-def: $vgpr10_vgpr11
                                        ; implicit-def: $vgpr12
	s_and_saveexec_b64 s[22:23], vcc
	s_xor_b64 s[22:23], exec, s[22:23]
; %bb.2088:                             ;   in Loop: Header=BB4_1738 Depth=2
	v_cmp_lt_u64_e32 vcc, s[60:61], v[36:37]
	v_add_u32_e32 v10, 7, v22
	v_cndmask_b32_e32 v12, v13, v10, vcc
	v_cndmask_b32_e64 v10, 0, 1, vcc
	v_lshrrev_b64 v[10:11], v10, v[36:37]
; %bb.2089:                             ;   in Loop: Header=BB4_1738 Depth=2
	s_andn2_saveexec_b64 s[22:23], s[22:23]
; %bb.2090:                             ;   in Loop: Header=BB4_1738 Depth=2
	v_mov_b32_e32 v10, v36
	v_bfe_u32 v12, v36, 23, 1
	v_mov_b32_e32 v11, v37
; %bb.2091:                             ;   in Loop: Header=BB4_1738 Depth=2
	s_or_b64 exec, exec, s[22:23]
	v_lshrrev_b64 v[10:11], 20, v[10:11]
	v_cmp_gt_i32_e32 vcc, 16, v12
	v_cndmask_b32_e32 v11, 0, v11, vcc
	v_cndmask_b32_e32 v10, 7, v10, vcc
	v_cmp_eq_u64_e64 s[22:23], 0, v[10:11]
	v_min_i32_e32 v11, 15, v12
	v_lshlrev_b32_e32 v11, 3, v11
	v_cmp_eq_u32_e32 vcc, 0, v12
	v_and_b32_e32 v11, 0xf8, v11
	v_and_or_b32 v10, v10, 7, v11
	s_and_b64 s[22:23], vcc, s[22:23]
	v_cndmask_b32_e64 v10, v10, 0, s[22:23]
	v_or_b32_e32 v22, v10, v7
.LBB4_2092:                             ;   in Loop: Header=BB4_1738 Depth=2
	s_or_b64 exec, exec, s[94:95]
                                        ; implicit-def: $vgpr7
.LBB4_2093:                             ;   in Loop: Header=BB4_1738 Depth=2
	s_andn2_saveexec_b64 s[22:23], s[92:93]
; %bb.2094:                             ;   in Loop: Header=BB4_1738 Depth=2
	v_or_b32_e32 v22, 0x7e, v7
; %bb.2095:                             ;   in Loop: Header=BB4_1738 Depth=2
	s_or_b64 exec, exec, s[22:23]
                                        ; implicit-def: $vgpr10
.LBB4_2096:                             ;   in Loop: Header=BB4_1738 Depth=2
	s_andn2_saveexec_b64 s[22:23], s[90:91]
; %bb.2097:                             ;   in Loop: Header=BB4_1738 Depth=2
	v_or_b32_sdwa v22, v10, s51 dst_sel:DWORD dst_unused:UNUSED_PAD src0_sel:BYTE_3 src1_sel:DWORD
; %bb.2098:                             ;   in Loop: Header=BB4_1738 Depth=2
	s_or_b64 exec, exec, s[22:23]
	v_lshl_or_b32 v7, v18, 8, v2
	v_lshlrev_b32_e32 v10, 16, v23
	v_lshlrev_b32_e32 v11, 24, v33
	v_or3_b32 v36, v10, v11, v7
	global_load_dwordx4 v[10:13], v[16:17], off glc slc
	v_cmp_ne_u32_e32 vcc, 0, v2
	v_mov_b32_e32 v18, 0
	s_and_saveexec_b64 s[22:23], vcc
	s_cbranch_execz .LBB4_2104
; %bb.2099:                             ;   in Loop: Header=BB4_1738 Depth=2
	v_cmp_ne_u32_e32 vcc, s53, v2
	v_bfrev_b32_e32 v18, 1
	s_and_saveexec_b64 s[90:91], vcc
	s_cbranch_execz .LBB4_2103
; %bb.2100:                             ;   in Loop: Header=BB4_1738 Depth=2
	v_and_b32_e32 v23, 0x7f, v2
	v_cmp_ne_u32_e32 vcc, s51, v23
	v_mov_b32_e32 v18, 0x7f800001
	s_and_saveexec_b64 s[92:93], vcc
	s_cbranch_execz .LBB4_2102
; %bb.2101:                             ;   in Loop: Header=BB4_1738 Depth=2
	v_and_b32_e32 v2, 7, v2
	v_ffbh_u32_e32 v2, v2
	v_min_u32_e32 v2, 32, v2
	v_lshrrev_b32_e32 v18, 3, v23
	v_cmp_gt_u32_e32 vcc, 8, v23
	v_subrev_u32_e32 v23, 28, v2
	v_sub_u32_e32 v2, 29, v2
	v_cndmask_b32_e32 v2, v18, v2, vcc
	v_cndmask_b32_e32 v18, 0, v23, vcc
	v_lshlrev_b64 v[28:29], v18, v[36:37]
	v_lshlrev_b32_e32 v23, 24, v36
	v_lshlrev_b32_e32 v18, 20, v28
	v_and_b32_e32 v18, 0x700000, v18
	v_and_b32_e32 v23, 0x80000000, v23
	v_lshl_add_u32 v2, v2, 23, v58
	v_or3_b32 v18, v23, v2, v18
.LBB4_2102:                             ;   in Loop: Header=BB4_1738 Depth=2
	s_or_b64 exec, exec, s[92:93]
.LBB4_2103:                             ;   in Loop: Header=BB4_1738 Depth=2
	s_or_b64 exec, exec, s[90:91]
.LBB4_2104:                             ;   in Loop: Header=BB4_1738 Depth=2
	s_or_b64 exec, exec, s[22:23]
	s_waitcnt vmcnt(0)
	v_cmp_gt_i16_sdwa s[90:91], v10, s51 src0_sel:BYTE_0 src1_sel:DWORD
	s_mov_b64 s[22:23], 0
	s_and_saveexec_b64 s[92:93], s[90:91]
	s_xor_b64 s[90:91], exec, s[92:93]
	s_cbranch_execnz .LBB4_2506
; %bb.2105:                             ;   in Loop: Header=BB4_1738 Depth=2
	s_or_saveexec_b64 s[90:91], s[90:91]
	v_bfrev_b32_e32 v2, 1
	s_xor_b64 exec, exec, s[90:91]
	s_cbranch_execnz .LBB4_2509
.LBB4_2106:                             ;   in Loop: Header=BB4_1738 Depth=2
	s_or_b64 exec, exec, s[90:91]
	s_and_saveexec_b64 s[90:91], s[22:23]
	s_cbranch_execz .LBB4_2108
.LBB4_2107:                             ;   in Loop: Header=BB4_1738 Depth=2
	v_and_b32_e32 v2, 7, v10
	v_ffbh_u32_e32 v2, v2
	v_and_b32_e32 v23, 0x7f, v10
	v_min_u32_e32 v2, 32, v2
	v_bfe_u32 v28, v10, 3, 4
	v_subrev_u32_e32 v29, 28, v2
	v_sub_u32_e32 v2, 29, v2
	v_cmp_gt_u32_e32 vcc, 8, v23
	v_cndmask_b32_e32 v2, v28, v2, vcc
	v_cndmask_b32_e32 v28, 0, v29, vcc
	v_lshlrev_b64 v[28:29], v28, v[10:11]
	v_lshlrev_b32_e32 v29, 24, v10
	v_lshlrev_b32_e32 v28, 20, v28
	v_and_b32_e32 v28, 0x700000, v28
	v_and_b32_e32 v29, 0x80000000, v29
	v_lshl_add_u32 v2, v2, 23, v58
	v_or3_b32 v2, v29, v2, v28
	v_cmp_ne_u32_e32 vcc, s51, v23
	v_cndmask_b32_e32 v2, v52, v2, vcc
.LBB4_2108:                             ;   in Loop: Header=BB4_1738 Depth=2
	s_or_b64 exec, exec, s[90:91]
	v_add_f32_e32 v23, v18, v2
	v_and_b32_e32 v28, 0x7f800000, v23
	v_mov_b32_e32 v29, v37
	v_cmp_ne_u64_e32 vcc, s[56:57], v[28:29]
                                        ; implicit-def: $vgpr2
	s_and_saveexec_b64 s[22:23], vcc
	s_xor_b64 s[90:91], exec, s[22:23]
	s_cbranch_execz .LBB4_2122
; %bb.2109:                             ;   in Loop: Header=BB4_1738 Depth=2
	v_and_b32_e32 v28, 0x7fffffff, v23
	v_mov_b32_e32 v29, v37
	v_cmp_gt_u64_e32 vcc, s[58:59], v[28:29]
	v_and_b32_sdwa v18, v23, s53 dst_sel:DWORD dst_unused:UNUSED_PAD src0_sel:BYTE_3 src1_sel:DWORD
                                        ; implicit-def: $vgpr2
	s_and_saveexec_b64 s[22:23], vcc
	s_xor_b64 s[92:93], exec, s[22:23]
	s_cbranch_execz .LBB4_2119
; %bb.2110:                             ;   in Loop: Header=BB4_1738 Depth=2
	v_mov_b32_e32 v2, 0
	v_cmp_ne_u32_e32 vcc, 0, v23
	s_and_saveexec_b64 s[94:95], vcc
	s_cbranch_execz .LBB4_2118
; %bb.2111:                             ;   in Loop: Header=BB4_1738 Depth=2
	v_bfe_u32 v2, v23, 23, 8
	v_and_b32_e32 v28, 0x7fffff, v23
	v_cmp_gt_u32_e64 s[22:23], s54, v2
	v_sub_u32_e32 v23, 0x79, v2
	v_cmp_eq_u32_e32 vcc, 0, v2
	v_cndmask_b32_e64 v23, 0, v23, s[22:23]
	v_cndmask_b32_e32 v23, v23, v31, vcc
	v_or_b32_e32 v29, 0x800000, v28
	v_add_u32_e32 v30, 20, v23
	v_cndmask_b32_e32 v28, v29, v28, vcc
	v_mov_b32_e32 v29, v37
	v_lshlrev_b64 v[33:34], v30, -1
	v_add_u32_e32 v30, 19, v23
	v_lshlrev_b64 v[48:49], v30, 1
	v_lshrrev_b64 v[40:41], v23, v[28:29]
	v_bfi_b32 v34, v34, 0, 0
	v_bfi_b32 v33, v33, 0, v28
	v_cmp_eq_u64_e64 s[22:23], v[33:34], v[48:49]
	v_mov_b32_e32 v42, v41
	v_mov_b32_e32 v41, v40
	s_and_saveexec_b64 s[30:31], s[22:23]
; %bb.2112:                             ;   in Loop: Header=BB4_1738 Depth=2
	v_bfe_u32 v28, v40, 20, 1
	v_add_co_u32_e64 v28, s[22:23], v40, v28
	v_add_co_u32_e64 v41, s[22:23], -1, v28
; %bb.2113:                             ;   in Loop: Header=BB4_1738 Depth=2
	s_or_b64 exec, exec, s[30:31]
	v_add_u32_e32 v2, 0xffffff81, v2
	v_cndmask_b32_e32 v2, v2, v62, vcc
	v_lshrrev_b32_e32 v28, 23, v40
	v_add3_u32 v28, v23, v2, v28
	v_add_u32_e32 v23, 6, v28
	v_and_b32_e32 v2, 0xfffff, v41
	v_add_u32_e32 v40, v2, v40
	v_mov_b32_e32 v41, v37
	v_cmp_ne_u32_e32 vcc, 0, v23
                                        ; implicit-def: $vgpr2
	s_and_saveexec_b64 s[22:23], vcc
	s_xor_b64 s[22:23], exec, s[22:23]
; %bb.2114:                             ;   in Loop: Header=BB4_1738 Depth=2
	v_cmp_lt_u64_e32 vcc, s[60:61], v[40:41]
	v_add_u32_e32 v2, 7, v28
	v_cndmask_b32_e32 v2, v23, v2, vcc
	v_cndmask_b32_e64 v23, 0, 1, vcc
	v_lshrrev_b64 v[40:41], v23, v[40:41]
; %bb.2115:                             ;   in Loop: Header=BB4_1738 Depth=2
	s_andn2_saveexec_b64 s[22:23], s[22:23]
; %bb.2116:                             ;   in Loop: Header=BB4_1738 Depth=2
	v_bfe_u32 v2, v40, 23, 1
; %bb.2117:                             ;   in Loop: Header=BB4_1738 Depth=2
	s_or_b64 exec, exec, s[22:23]
	v_lshrrev_b64 v[28:29], 20, v[40:41]
	v_cmp_gt_i32_e32 vcc, 16, v2
	v_cndmask_b32_e32 v29, 0, v29, vcc
	v_cndmask_b32_e32 v28, 7, v28, vcc
	v_cmp_eq_u32_e32 vcc, 0, v2
	v_min_i32_e32 v2, 15, v2
	v_cmp_eq_u64_e64 s[22:23], 0, v[28:29]
	v_lshlrev_b32_e32 v2, 3, v2
	v_and_b32_e32 v2, 0xf8, v2
	v_and_or_b32 v2, v28, 7, v2
	s_and_b64 s[22:23], vcc, s[22:23]
	v_cndmask_b32_e64 v2, v2, 0, s[22:23]
	v_or_b32_e32 v2, v2, v18
.LBB4_2118:                             ;   in Loop: Header=BB4_1738 Depth=2
	s_or_b64 exec, exec, s[94:95]
                                        ; implicit-def: $vgpr18
.LBB4_2119:                             ;   in Loop: Header=BB4_1738 Depth=2
	s_andn2_saveexec_b64 s[22:23], s[92:93]
; %bb.2120:                             ;   in Loop: Header=BB4_1738 Depth=2
	v_or_b32_e32 v2, 0x7e, v18
; %bb.2121:                             ;   in Loop: Header=BB4_1738 Depth=2
	s_or_b64 exec, exec, s[22:23]
                                        ; implicit-def: $vgpr23
.LBB4_2122:                             ;   in Loop: Header=BB4_1738 Depth=2
	s_andn2_saveexec_b64 s[22:23], s[90:91]
; %bb.2123:                             ;   in Loop: Header=BB4_1738 Depth=2
	v_or_b32_sdwa v2, v23, s51 dst_sel:DWORD dst_unused:UNUSED_PAD src0_sel:BYTE_3 src1_sel:DWORD
; %bb.2124:                             ;   in Loop: Header=BB4_1738 Depth=2
	s_or_b64 exec, exec, s[22:23]
	v_lshrrev_b16_e32 v30, 8, v7
	v_cmp_ne_u16_e32 vcc, 0, v30
	v_mov_b32_e32 v18, 0
	s_and_saveexec_b64 s[22:23], vcc
	s_cbranch_execz .LBB4_2130
; %bb.2125:                             ;   in Loop: Header=BB4_1738 Depth=2
	v_cmp_ne_u16_e32 vcc, s53, v30
	v_bfrev_b32_e32 v18, 1
	s_and_saveexec_b64 s[90:91], vcc
	s_cbranch_execz .LBB4_2129
; %bb.2126:                             ;   in Loop: Header=BB4_1738 Depth=2
	v_and_b32_e32 v23, 0x7f, v30
	v_cmp_ne_u32_e32 vcc, s51, v23
	v_mov_b32_e32 v18, 0x7f800001
	s_and_saveexec_b64 s[92:93], vcc
	s_cbranch_execz .LBB4_2128
; %bb.2127:                             ;   in Loop: Header=BB4_1738 Depth=2
	v_and_b32_e32 v18, 7, v30
	v_lshrrev_b32_e32 v33, 3, v23
	v_cmp_gt_u32_e32 vcc, 8, v23
	v_ffbh_u32_e32 v23, v18
	v_min_u32_e32 v23, 32, v23
	v_subrev_u32_e32 v28, 28, v23
	v_lshlrev_b64 v[28:29], v28, v[30:31]
	v_sub_u32_e32 v23, 29, v23
	v_and_b32_e32 v28, 7, v28
	v_cndmask_b32_e32 v23, v33, v23, vcc
	v_cndmask_b32_e32 v18, v18, v28, vcc
	v_lshlrev_b32_e32 v7, 16, v7
	v_lshlrev_b32_e32 v18, 20, v18
	v_and_b32_e32 v7, 0x80000000, v7
	v_lshl_add_u32 v23, v23, 23, v58
	v_or3_b32 v18, v7, v23, v18
.LBB4_2128:                             ;   in Loop: Header=BB4_1738 Depth=2
	s_or_b64 exec, exec, s[92:93]
.LBB4_2129:                             ;   in Loop: Header=BB4_1738 Depth=2
	s_or_b64 exec, exec, s[90:91]
.LBB4_2130:                             ;   in Loop: Header=BB4_1738 Depth=2
	s_or_b64 exec, exec, s[22:23]
	v_lshrrev_b16_e32 v40, 8, v10
	v_cmp_lt_i16_e32 vcc, s51, v40
	s_mov_b64 s[22:23], 0
	s_and_saveexec_b64 s[90:91], vcc
	s_xor_b64 s[90:91], exec, s[90:91]
	s_cbranch_execnz .LBB4_2510
; %bb.2131:                             ;   in Loop: Header=BB4_1738 Depth=2
	s_or_saveexec_b64 s[90:91], s[90:91]
	v_bfrev_b32_e32 v7, 1
	s_xor_b64 exec, exec, s[90:91]
	s_cbranch_execnz .LBB4_2513
.LBB4_2132:                             ;   in Loop: Header=BB4_1738 Depth=2
	s_or_b64 exec, exec, s[90:91]
	s_and_saveexec_b64 s[90:91], s[22:23]
	s_cbranch_execz .LBB4_2134
.LBB4_2133:                             ;   in Loop: Header=BB4_1738 Depth=2
	v_and_b32_e32 v7, 7, v40
	v_ffbh_u32_e32 v28, v7
	v_min_u32_e32 v33, 32, v28
	v_mov_b32_e32 v41, v37
	v_subrev_u32_e32 v28, 28, v33
	v_lshlrev_b64 v[28:29], v28, v[40:41]
	v_and_b32_e32 v23, 0x7f, v40
	v_bfe_u32 v30, v40, 3, 4
	v_sub_u32_e32 v29, 29, v33
	v_and_b32_e32 v28, 7, v28
	v_cmp_gt_u32_e32 vcc, 8, v23
	v_cndmask_b32_e32 v29, v30, v29, vcc
	v_cndmask_b32_e32 v7, v7, v28, vcc
	v_lshlrev_b32_e32 v28, 24, v40
	v_lshlrev_b32_e32 v7, 20, v7
	v_and_b32_e32 v28, 0x80000000, v28
	v_lshl_add_u32 v29, v29, 23, v58
	v_or3_b32 v7, v28, v29, v7
	v_cmp_ne_u32_e32 vcc, s51, v23
	v_cndmask_b32_e32 v7, v52, v7, vcc
.LBB4_2134:                             ;   in Loop: Header=BB4_1738 Depth=2
	s_or_b64 exec, exec, s[90:91]
	v_add_f32_e32 v23, v18, v7
	v_and_b32_e32 v28, 0x7f800000, v23
	v_mov_b32_e32 v29, v37
	v_cmp_ne_u64_e32 vcc, s[56:57], v[28:29]
                                        ; implicit-def: $vgpr7
	s_and_saveexec_b64 s[22:23], vcc
	s_xor_b64 s[90:91], exec, s[22:23]
	s_cbranch_execz .LBB4_2148
; %bb.2135:                             ;   in Loop: Header=BB4_1738 Depth=2
	v_and_b32_e32 v28, 0x7fffffff, v23
	v_mov_b32_e32 v29, v37
	v_cmp_gt_u64_e32 vcc, s[58:59], v[28:29]
	v_and_b32_sdwa v18, v23, s53 dst_sel:DWORD dst_unused:UNUSED_PAD src0_sel:BYTE_3 src1_sel:DWORD
                                        ; implicit-def: $vgpr7
	s_and_saveexec_b64 s[22:23], vcc
	s_xor_b64 s[92:93], exec, s[22:23]
	s_cbranch_execz .LBB4_2145
; %bb.2136:                             ;   in Loop: Header=BB4_1738 Depth=2
	v_mov_b32_e32 v7, 0
	v_cmp_ne_u32_e32 vcc, 0, v23
	s_and_saveexec_b64 s[94:95], vcc
	s_cbranch_execz .LBB4_2144
; %bb.2137:                             ;   in Loop: Header=BB4_1738 Depth=2
	v_bfe_u32 v7, v23, 23, 8
	v_and_b32_e32 v28, 0x7fffff, v23
	v_cmp_gt_u32_e64 s[22:23], s54, v7
	v_sub_u32_e32 v23, 0x79, v7
	v_cmp_eq_u32_e32 vcc, 0, v7
	v_cndmask_b32_e64 v23, 0, v23, s[22:23]
	v_cndmask_b32_e32 v23, v23, v31, vcc
	v_or_b32_e32 v29, 0x800000, v28
	v_add_u32_e32 v30, 20, v23
	v_cndmask_b32_e32 v28, v29, v28, vcc
	v_mov_b32_e32 v29, v37
	v_lshlrev_b64 v[33:34], v30, -1
	v_add_u32_e32 v30, 19, v23
	v_lshlrev_b64 v[48:49], v30, 1
	v_lshrrev_b64 v[40:41], v23, v[28:29]
	v_bfi_b32 v34, v34, 0, 0
	v_bfi_b32 v33, v33, 0, v28
	v_cmp_eq_u64_e64 s[22:23], v[33:34], v[48:49]
	v_mov_b32_e32 v42, v41
	v_mov_b32_e32 v41, v40
	s_and_saveexec_b64 s[30:31], s[22:23]
; %bb.2138:                             ;   in Loop: Header=BB4_1738 Depth=2
	v_bfe_u32 v28, v40, 20, 1
	v_add_co_u32_e64 v28, s[22:23], v40, v28
	v_add_co_u32_e64 v41, s[22:23], -1, v28
; %bb.2139:                             ;   in Loop: Header=BB4_1738 Depth=2
	s_or_b64 exec, exec, s[30:31]
	v_add_u32_e32 v7, 0xffffff81, v7
	v_cndmask_b32_e32 v7, v7, v62, vcc
	v_lshrrev_b32_e32 v28, 23, v40
	v_add3_u32 v28, v23, v7, v28
	v_add_u32_e32 v23, 6, v28
	v_and_b32_e32 v7, 0xfffff, v41
	v_add_u32_e32 v40, v7, v40
	v_mov_b32_e32 v41, v37
	v_cmp_ne_u32_e32 vcc, 0, v23
                                        ; implicit-def: $vgpr7
	s_and_saveexec_b64 s[22:23], vcc
	s_xor_b64 s[22:23], exec, s[22:23]
; %bb.2140:                             ;   in Loop: Header=BB4_1738 Depth=2
	v_cmp_lt_u64_e32 vcc, s[60:61], v[40:41]
	v_add_u32_e32 v7, 7, v28
	v_cndmask_b32_e32 v7, v23, v7, vcc
	v_cndmask_b32_e64 v23, 0, 1, vcc
	v_lshrrev_b64 v[40:41], v23, v[40:41]
; %bb.2141:                             ;   in Loop: Header=BB4_1738 Depth=2
	s_andn2_saveexec_b64 s[22:23], s[22:23]
; %bb.2142:                             ;   in Loop: Header=BB4_1738 Depth=2
	v_bfe_u32 v7, v40, 23, 1
; %bb.2143:                             ;   in Loop: Header=BB4_1738 Depth=2
	s_or_b64 exec, exec, s[22:23]
	v_lshrrev_b64 v[28:29], 20, v[40:41]
	v_cmp_gt_i32_e32 vcc, 16, v7
	v_cndmask_b32_e32 v29, 0, v29, vcc
	v_cndmask_b32_e32 v28, 7, v28, vcc
	v_cmp_eq_u32_e32 vcc, 0, v7
	v_min_i32_e32 v7, 15, v7
	v_cmp_eq_u64_e64 s[22:23], 0, v[28:29]
	v_lshlrev_b32_e32 v7, 3, v7
	v_and_b32_e32 v7, 0xf8, v7
	v_and_or_b32 v7, v28, 7, v7
	s_and_b64 s[22:23], vcc, s[22:23]
	v_cndmask_b32_e64 v7, v7, 0, s[22:23]
	v_or_b32_e32 v7, v7, v18
.LBB4_2144:                             ;   in Loop: Header=BB4_1738 Depth=2
	s_or_b64 exec, exec, s[94:95]
                                        ; implicit-def: $vgpr18
.LBB4_2145:                             ;   in Loop: Header=BB4_1738 Depth=2
	s_andn2_saveexec_b64 s[22:23], s[92:93]
; %bb.2146:                             ;   in Loop: Header=BB4_1738 Depth=2
	v_or_b32_e32 v7, 0x7e, v18
; %bb.2147:                             ;   in Loop: Header=BB4_1738 Depth=2
	s_or_b64 exec, exec, s[22:23]
                                        ; implicit-def: $vgpr23
.LBB4_2148:                             ;   in Loop: Header=BB4_1738 Depth=2
	s_andn2_saveexec_b64 s[22:23], s[90:91]
; %bb.2149:                             ;   in Loop: Header=BB4_1738 Depth=2
	v_or_b32_sdwa v7, v23, s51 dst_sel:DWORD dst_unused:UNUSED_PAD src0_sel:BYTE_3 src1_sel:DWORD
; %bb.2150:                             ;   in Loop: Header=BB4_1738 Depth=2
	s_or_b64 exec, exec, s[22:23]
	v_and_b32_sdwa v23, v36, s52 dst_sel:DWORD dst_unused:UNUSED_PAD src0_sel:WORD_1 src1_sel:DWORD
	v_lshrrev_b32_e32 v30, 16, v36
	v_cmp_ne_u16_e32 vcc, 0, v23
	v_mov_b32_e32 v18, 0
	s_and_saveexec_b64 s[22:23], vcc
	s_cbranch_execz .LBB4_2156
; %bb.2151:                             ;   in Loop: Header=BB4_1738 Depth=2
	v_cmp_ne_u16_e32 vcc, s53, v23
	v_bfrev_b32_e32 v18, 1
	s_and_saveexec_b64 s[90:91], vcc
	s_cbranch_execz .LBB4_2155
; %bb.2152:                             ;   in Loop: Header=BB4_1738 Depth=2
	v_bfe_u32 v23, v36, 16, 7
	v_cmp_ne_u32_e32 vcc, s51, v23
	v_mov_b32_e32 v18, 0x7f800001
	s_and_saveexec_b64 s[92:93], vcc
	s_cbranch_execz .LBB4_2154
; %bb.2153:                             ;   in Loop: Header=BB4_1738 Depth=2
	v_and_b32_e32 v18, 7, v30
	v_lshrrev_b32_e32 v33, 3, v23
	v_cmp_gt_u32_e32 vcc, 8, v23
	v_ffbh_u32_e32 v23, v18
	v_min_u32_e32 v23, 32, v23
	v_subrev_u32_e32 v28, 28, v23
	v_lshlrev_b64 v[28:29], v28, v[30:31]
	v_sub_u32_e32 v23, 29, v23
	v_and_b32_e32 v28, 7, v28
	v_cndmask_b32_e32 v18, v18, v28, vcc
	v_mov_b32_e32 v28, 24
	v_cndmask_b32_e32 v23, v33, v23, vcc
	v_lshlrev_b32_sdwa v28, v28, v36 dst_sel:DWORD dst_unused:UNUSED_PAD src0_sel:DWORD src1_sel:WORD_1
	v_lshlrev_b32_e32 v18, 20, v18
	v_and_b32_e32 v28, 0x80000000, v28
	v_lshl_add_u32 v23, v23, 23, v58
	v_or3_b32 v18, v28, v23, v18
.LBB4_2154:                             ;   in Loop: Header=BB4_1738 Depth=2
	s_or_b64 exec, exec, s[92:93]
.LBB4_2155:                             ;   in Loop: Header=BB4_1738 Depth=2
	s_or_b64 exec, exec, s[90:91]
.LBB4_2156:                             ;   in Loop: Header=BB4_1738 Depth=2
	s_or_b64 exec, exec, s[22:23]
	v_lshrrev_b32_e32 v30, 16, v10
	v_cmp_gt_i16_sdwa s[90:91], v30, s51 src0_sel:BYTE_0 src1_sel:DWORD
	s_mov_b64 s[22:23], 0
	s_and_saveexec_b64 s[92:93], s[90:91]
	s_xor_b64 s[90:91], exec, s[92:93]
	s_cbranch_execnz .LBB4_2514
; %bb.2157:                             ;   in Loop: Header=BB4_1738 Depth=2
	s_or_saveexec_b64 s[90:91], s[90:91]
	v_bfrev_b32_e32 v23, 1
	s_xor_b64 exec, exec, s[90:91]
	s_cbranch_execnz .LBB4_2517
.LBB4_2158:                             ;   in Loop: Header=BB4_1738 Depth=2
	s_or_b64 exec, exec, s[90:91]
	s_and_saveexec_b64 s[90:91], s[22:23]
	s_cbranch_execz .LBB4_2160
.LBB4_2159:                             ;   in Loop: Header=BB4_1738 Depth=2
	v_and_b32_e32 v23, 7, v30
	v_ffbh_u32_e32 v28, v23
	v_min_u32_e32 v35, 32, v28
	v_subrev_u32_e32 v28, 28, v35
	v_lshlrev_b64 v[28:29], v28, v[30:31]
	v_and_b32_e32 v33, 0x7f, v30
	v_bfe_u32 v34, v30, 3, 4
	v_sub_u32_e32 v29, 29, v35
	v_and_b32_e32 v28, 7, v28
	v_cmp_gt_u32_e32 vcc, 8, v33
	v_cndmask_b32_e32 v29, v34, v29, vcc
	v_cndmask_b32_e32 v23, v23, v28, vcc
	v_lshlrev_b32_e32 v28, 24, v30
	v_lshlrev_b32_e32 v23, 20, v23
	v_and_b32_e32 v28, 0x80000000, v28
	v_lshl_add_u32 v29, v29, 23, v58
	v_or3_b32 v23, v28, v29, v23
	v_cmp_ne_u32_e32 vcc, s51, v33
	v_cndmask_b32_e32 v23, v52, v23, vcc
.LBB4_2160:                             ;   in Loop: Header=BB4_1738 Depth=2
	s_or_b64 exec, exec, s[90:91]
	v_add_f32_e32 v28, v18, v23
	v_and_b32_e32 v29, 0x7f800000, v28
	v_mov_b32_e32 v30, v37
	v_cmp_ne_u64_e32 vcc, s[56:57], v[29:30]
                                        ; implicit-def: $vgpr18
	s_and_saveexec_b64 s[22:23], vcc
	s_xor_b64 s[90:91], exec, s[22:23]
	s_cbranch_execz .LBB4_2174
; %bb.2161:                             ;   in Loop: Header=BB4_1738 Depth=2
	v_and_b32_e32 v29, 0x7fffffff, v28
	v_mov_b32_e32 v30, v37
	v_cmp_gt_u64_e32 vcc, s[58:59], v[29:30]
	v_and_b32_sdwa v23, v28, s53 dst_sel:DWORD dst_unused:UNUSED_PAD src0_sel:BYTE_3 src1_sel:DWORD
                                        ; implicit-def: $vgpr18
	s_and_saveexec_b64 s[22:23], vcc
	s_xor_b64 s[92:93], exec, s[22:23]
	s_cbranch_execz .LBB4_2171
; %bb.2162:                             ;   in Loop: Header=BB4_1738 Depth=2
	v_mov_b32_e32 v18, 0
	v_cmp_ne_u32_e32 vcc, 0, v28
	s_and_saveexec_b64 s[94:95], vcc
	s_cbranch_execz .LBB4_2170
; %bb.2163:                             ;   in Loop: Header=BB4_1738 Depth=2
	v_bfe_u32 v18, v28, 23, 8
	v_and_b32_e32 v29, 0x7fffff, v28
	v_cmp_gt_u32_e64 s[22:23], s54, v18
	v_sub_u32_e32 v28, 0x79, v18
	v_cmp_eq_u32_e32 vcc, 0, v18
	v_cndmask_b32_e64 v28, 0, v28, s[22:23]
	v_cndmask_b32_e32 v28, v28, v31, vcc
	v_or_b32_e32 v30, 0x800000, v29
	v_add_u32_e32 v33, 20, v28
	v_cndmask_b32_e32 v29, v30, v29, vcc
	v_mov_b32_e32 v30, v37
	v_lshlrev_b64 v[33:34], v33, -1
	v_add_u32_e32 v35, 19, v28
	v_lshlrev_b64 v[48:49], v35, 1
	v_lshrrev_b64 v[40:41], v28, v[29:30]
	v_bfi_b32 v34, v34, 0, 0
	v_bfi_b32 v33, v33, 0, v29
	v_cmp_eq_u64_e64 s[22:23], v[33:34], v[48:49]
	v_mov_b32_e32 v42, v41
	v_mov_b32_e32 v41, v40
	s_and_saveexec_b64 s[30:31], s[22:23]
; %bb.2164:                             ;   in Loop: Header=BB4_1738 Depth=2
	v_bfe_u32 v29, v40, 20, 1
	v_add_co_u32_e64 v29, s[22:23], v40, v29
	v_add_co_u32_e64 v41, s[22:23], -1, v29
; %bb.2165:                             ;   in Loop: Header=BB4_1738 Depth=2
	s_or_b64 exec, exec, s[30:31]
	v_add_u32_e32 v18, 0xffffff81, v18
	v_cndmask_b32_e32 v18, v18, v62, vcc
	v_lshrrev_b32_e32 v29, 23, v40
	v_add3_u32 v29, v28, v18, v29
	v_add_u32_e32 v28, 6, v29
	v_and_b32_e32 v18, 0xfffff, v41
	v_add_u32_e32 v40, v18, v40
	v_mov_b32_e32 v41, v37
	v_cmp_ne_u32_e32 vcc, 0, v28
                                        ; implicit-def: $vgpr18
	s_and_saveexec_b64 s[22:23], vcc
	s_xor_b64 s[22:23], exec, s[22:23]
; %bb.2166:                             ;   in Loop: Header=BB4_1738 Depth=2
	v_cmp_lt_u64_e32 vcc, s[60:61], v[40:41]
	v_add_u32_e32 v18, 7, v29
	v_cndmask_b32_e32 v18, v28, v18, vcc
	v_cndmask_b32_e64 v28, 0, 1, vcc
	v_lshrrev_b64 v[40:41], v28, v[40:41]
; %bb.2167:                             ;   in Loop: Header=BB4_1738 Depth=2
	s_andn2_saveexec_b64 s[22:23], s[22:23]
; %bb.2168:                             ;   in Loop: Header=BB4_1738 Depth=2
	v_bfe_u32 v18, v40, 23, 1
; %bb.2169:                             ;   in Loop: Header=BB4_1738 Depth=2
	s_or_b64 exec, exec, s[22:23]
	v_lshrrev_b64 v[28:29], 20, v[40:41]
	v_cmp_gt_i32_e32 vcc, 16, v18
	v_cndmask_b32_e32 v29, 0, v29, vcc
	v_cndmask_b32_e32 v28, 7, v28, vcc
	v_cmp_eq_u32_e32 vcc, 0, v18
	v_min_i32_e32 v18, 15, v18
	v_cmp_eq_u64_e64 s[22:23], 0, v[28:29]
	v_lshlrev_b32_e32 v18, 3, v18
	v_and_b32_e32 v18, 0xf8, v18
	v_and_or_b32 v18, v28, 7, v18
	s_and_b64 s[22:23], vcc, s[22:23]
	v_cndmask_b32_e64 v18, v18, 0, s[22:23]
	v_or_b32_e32 v18, v18, v23
.LBB4_2170:                             ;   in Loop: Header=BB4_1738 Depth=2
	s_or_b64 exec, exec, s[94:95]
                                        ; implicit-def: $vgpr23
.LBB4_2171:                             ;   in Loop: Header=BB4_1738 Depth=2
	s_andn2_saveexec_b64 s[22:23], s[92:93]
; %bb.2172:                             ;   in Loop: Header=BB4_1738 Depth=2
	v_or_b32_e32 v18, 0x7e, v23
; %bb.2173:                             ;   in Loop: Header=BB4_1738 Depth=2
	s_or_b64 exec, exec, s[22:23]
                                        ; implicit-def: $vgpr28
.LBB4_2174:                             ;   in Loop: Header=BB4_1738 Depth=2
	s_andn2_saveexec_b64 s[22:23], s[90:91]
; %bb.2175:                             ;   in Loop: Header=BB4_1738 Depth=2
	v_or_b32_sdwa v18, v28, s51 dst_sel:DWORD dst_unused:UNUSED_PAD src0_sel:BYTE_3 src1_sel:DWORD
; %bb.2176:                             ;   in Loop: Header=BB4_1738 Depth=2
	s_or_b64 exec, exec, s[22:23]
	v_cmp_lt_u32_e32 vcc, s63, v36
	v_mov_b32_e32 v23, 0
	s_and_saveexec_b64 s[22:23], vcc
	s_cbranch_execz .LBB4_2182
; %bb.2177:                             ;   in Loop: Header=BB4_1738 Depth=2
	v_lshrrev_b32_e32 v30, 24, v36
	v_cmp_ne_u32_e32 vcc, s53, v30
	v_bfrev_b32_e32 v23, 1
	s_and_saveexec_b64 s[90:91], vcc
	s_cbranch_execz .LBB4_2181
; %bb.2178:                             ;   in Loop: Header=BB4_1738 Depth=2
	v_bfe_u32 v28, v36, 24, 7
	v_cmp_ne_u32_e32 vcc, s51, v28
	v_mov_b32_e32 v23, 0x7f800001
	s_and_saveexec_b64 s[92:93], vcc
	s_cbranch_execz .LBB4_2180
; %bb.2179:                             ;   in Loop: Header=BB4_1738 Depth=2
	v_and_b32_e32 v23, 7, v30
	v_lshrrev_b32_e32 v33, 3, v28
	v_cmp_gt_u32_e32 vcc, 8, v28
	v_ffbh_u32_e32 v28, v23
	v_min_u32_e32 v34, 32, v28
	v_subrev_u32_e32 v28, 28, v34
	v_lshlrev_b64 v[28:29], v28, v[30:31]
	v_sub_u32_e32 v29, 29, v34
	v_and_b32_e32 v28, 7, v28
	v_cndmask_b32_e32 v29, v33, v29, vcc
	v_cndmask_b32_e32 v23, v23, v28, vcc
	v_lshlrev_b32_e32 v28, 24, v30
	v_lshlrev_b32_e32 v23, 20, v23
	v_and_b32_e32 v28, 0x80000000, v28
	v_lshl_add_u32 v29, v29, 23, v58
	v_or3_b32 v23, v28, v29, v23
.LBB4_2180:                             ;   in Loop: Header=BB4_1738 Depth=2
	s_or_b64 exec, exec, s[92:93]
.LBB4_2181:                             ;   in Loop: Header=BB4_1738 Depth=2
	s_or_b64 exec, exec, s[90:91]
.LBB4_2182:                             ;   in Loop: Header=BB4_1738 Depth=2
	s_or_b64 exec, exec, s[22:23]
	v_bfe_u32 v33, v10, 24, 3
	v_ffbh_u32_e32 v29, v33
	v_min_u32_e32 v36, 32, v29
	v_lshrrev_b32_e32 v28, 24, v10
	v_subrev_u32_e32 v29, 28, v36
	v_lshlrev_b64 v[29:30], v29, v[28:29]
	v_bfe_u32 v34, v10, 24, 7
	v_bfe_u32 v35, v28, 3, 4
	v_sub_u32_e32 v30, 29, v36
	v_and_b32_e32 v29, 7, v29
	v_cmp_gt_u32_e32 vcc, 8, v34
	v_cndmask_b32_e32 v30, v35, v30, vcc
	v_cndmask_b32_e32 v29, v33, v29, vcc
	v_lshlrev_b32_e32 v29, 20, v29
	v_and_b32_e32 v33, 0x80000000, v10
	v_lshl_add_u32 v30, v30, 23, v58
	v_or3_b32 v29, v33, v30, v29
	v_cmp_ne_u32_e32 vcc, s51, v34
	v_cndmask_b32_e32 v29, v52, v29, vcc
	v_cmp_ne_u32_e32 vcc, s53, v28
	v_cndmask_b32_e32 v28, v53, v29, vcc
	v_cmp_lt_u32_e32 vcc, s63, v10
	v_cndmask_b32_e32 v28, 0, v28, vcc
	v_add_f32_e32 v29, v28, v23
	v_and_b32_e32 v36, 0x7f800000, v29
	v_cmp_ne_u64_e32 vcc, s[56:57], v[36:37]
                                        ; implicit-def: $vgpr23
	s_and_saveexec_b64 s[22:23], vcc
	s_xor_b64 s[90:91], exec, s[22:23]
	s_cbranch_execz .LBB4_2196
; %bb.2183:                             ;   in Loop: Header=BB4_1738 Depth=2
	v_and_b32_e32 v36, 0x7fffffff, v29
	v_cmp_gt_u64_e32 vcc, s[58:59], v[36:37]
	v_and_b32_sdwa v28, v29, s53 dst_sel:DWORD dst_unused:UNUSED_PAD src0_sel:BYTE_3 src1_sel:DWORD
                                        ; implicit-def: $vgpr23
	s_and_saveexec_b64 s[22:23], vcc
	s_xor_b64 s[92:93], exec, s[22:23]
	s_cbranch_execz .LBB4_2193
; %bb.2184:                             ;   in Loop: Header=BB4_1738 Depth=2
	v_mov_b32_e32 v23, 0
	v_cmp_ne_u32_e32 vcc, 0, v29
	s_and_saveexec_b64 s[94:95], vcc
	s_cbranch_execz .LBB4_2192
; %bb.2185:                             ;   in Loop: Header=BB4_1738 Depth=2
	v_bfe_u32 v23, v29, 23, 8
	v_and_b32_e32 v30, 0x7fffff, v29
	v_cmp_gt_u32_e64 s[22:23], s54, v23
	v_sub_u32_e32 v29, 0x79, v23
	v_cmp_eq_u32_e32 vcc, 0, v23
	v_cndmask_b32_e64 v29, 0, v29, s[22:23]
	v_or_b32_e32 v33, 0x800000, v30
	v_cndmask_b32_e32 v29, v29, v31, vcc
	v_cndmask_b32_e32 v36, v33, v30, vcc
	v_add_u32_e32 v30, 20, v29
	v_lshlrev_b64 v[33:34], v30, -1
	v_add_u32_e32 v30, 19, v29
	v_lshlrev_b64 v[48:49], v30, 1
	v_lshrrev_b64 v[40:41], v29, v[36:37]
	v_bfi_b32 v34, v34, 0, 0
	v_bfi_b32 v33, v33, 0, v36
	v_cmp_eq_u64_e64 s[22:23], v[33:34], v[48:49]
	v_mov_b32_e32 v42, v41
	v_mov_b32_e32 v41, v40
	s_and_saveexec_b64 s[30:31], s[22:23]
; %bb.2186:                             ;   in Loop: Header=BB4_1738 Depth=2
	v_bfe_u32 v30, v40, 20, 1
	v_add_co_u32_e64 v30, s[22:23], v40, v30
	v_add_co_u32_e64 v41, s[22:23], -1, v30
; %bb.2187:                             ;   in Loop: Header=BB4_1738 Depth=2
	s_or_b64 exec, exec, s[30:31]
	v_add_u32_e32 v23, 0xffffff81, v23
	v_cndmask_b32_e32 v23, v23, v62, vcc
	v_lshrrev_b32_e32 v30, 23, v40
	v_add3_u32 v30, v29, v23, v30
	v_add_u32_e32 v29, 6, v30
	v_and_b32_e32 v23, 0xfffff, v41
	v_add_u32_e32 v36, v23, v40
	v_cmp_ne_u32_e32 vcc, 0, v29
                                        ; implicit-def: $vgpr40_vgpr41
                                        ; implicit-def: $vgpr23
	s_and_saveexec_b64 s[22:23], vcc
	s_xor_b64 s[22:23], exec, s[22:23]
; %bb.2188:                             ;   in Loop: Header=BB4_1738 Depth=2
	v_cmp_lt_u64_e32 vcc, s[60:61], v[36:37]
	v_add_u32_e32 v23, 7, v30
	v_cndmask_b32_e32 v23, v29, v23, vcc
	v_cndmask_b32_e64 v29, 0, 1, vcc
	v_lshrrev_b64 v[40:41], v29, v[36:37]
; %bb.2189:                             ;   in Loop: Header=BB4_1738 Depth=2
	s_andn2_saveexec_b64 s[22:23], s[22:23]
; %bb.2190:                             ;   in Loop: Header=BB4_1738 Depth=2
	v_mov_b32_e32 v41, v37
	v_bfe_u32 v23, v36, 23, 1
	v_mov_b32_e32 v40, v36
; %bb.2191:                             ;   in Loop: Header=BB4_1738 Depth=2
	s_or_b64 exec, exec, s[22:23]
	v_lshrrev_b64 v[29:30], 20, v[40:41]
	v_cmp_gt_i32_e32 vcc, 16, v23
	v_cndmask_b32_e32 v30, 0, v30, vcc
	v_cndmask_b32_e32 v29, 7, v29, vcc
	v_cmp_eq_u32_e32 vcc, 0, v23
	v_min_i32_e32 v23, 15, v23
	v_cmp_eq_u64_e64 s[22:23], 0, v[29:30]
	v_lshlrev_b32_e32 v23, 3, v23
	v_and_b32_e32 v23, 0xf8, v23
	v_and_or_b32 v23, v29, 7, v23
	s_and_b64 s[22:23], vcc, s[22:23]
	v_cndmask_b32_e64 v23, v23, 0, s[22:23]
	v_or_b32_e32 v23, v23, v28
.LBB4_2192:                             ;   in Loop: Header=BB4_1738 Depth=2
	s_or_b64 exec, exec, s[94:95]
                                        ; implicit-def: $vgpr28
.LBB4_2193:                             ;   in Loop: Header=BB4_1738 Depth=2
	s_andn2_saveexec_b64 s[22:23], s[92:93]
; %bb.2194:                             ;   in Loop: Header=BB4_1738 Depth=2
	v_or_b32_e32 v23, 0x7e, v28
; %bb.2195:                             ;   in Loop: Header=BB4_1738 Depth=2
	s_or_b64 exec, exec, s[22:23]
                                        ; implicit-def: $vgpr29
.LBB4_2196:                             ;   in Loop: Header=BB4_1738 Depth=2
	s_andn2_saveexec_b64 s[22:23], s[90:91]
; %bb.2197:                             ;   in Loop: Header=BB4_1738 Depth=2
	v_or_b32_sdwa v23, v29, s51 dst_sel:DWORD dst_unused:UNUSED_PAD src0_sel:BYTE_3 src1_sel:DWORD
; %bb.2198:                             ;   in Loop: Header=BB4_1738 Depth=2
	s_or_b64 exec, exec, s[22:23]
	v_lshl_or_b32 v25, v25, 8, v20
	v_lshlrev_b32_e32 v27, 16, v27
	v_lshlrev_b32_e32 v28, 24, v32
	v_or3_b32 v36, v27, v28, v25
	v_cmp_ne_u32_e32 vcc, 0, v20
	v_mov_b32_e32 v27, 0
	s_and_saveexec_b64 s[22:23], vcc
	s_cbranch_execz .LBB4_2204
; %bb.2199:                             ;   in Loop: Header=BB4_1738 Depth=2
	v_cmp_ne_u32_e32 vcc, s53, v20
	v_bfrev_b32_e32 v27, 1
	s_and_saveexec_b64 s[90:91], vcc
	s_cbranch_execz .LBB4_2203
; %bb.2200:                             ;   in Loop: Header=BB4_1738 Depth=2
	v_and_b32_e32 v28, 0x7f, v20
	v_cmp_ne_u32_e32 vcc, s51, v28
	v_mov_b32_e32 v27, 0x7f800001
	s_and_saveexec_b64 s[92:93], vcc
	s_cbranch_execz .LBB4_2202
; %bb.2201:                             ;   in Loop: Header=BB4_1738 Depth=2
	v_and_b32_e32 v20, 7, v20
	v_ffbh_u32_e32 v20, v20
	v_min_u32_e32 v20, 32, v20
	v_lshrrev_b32_e32 v27, 3, v28
	v_cmp_gt_u32_e32 vcc, 8, v28
	v_subrev_u32_e32 v28, 28, v20
	v_sub_u32_e32 v20, 29, v20
	v_cndmask_b32_e32 v20, v27, v20, vcc
	v_cndmask_b32_e32 v27, 0, v28, vcc
	v_lshlrev_b64 v[27:28], v27, v[36:37]
	v_lshlrev_b32_e32 v28, 24, v36
	v_lshlrev_b32_e32 v27, 20, v27
	v_and_b32_e32 v27, 0x700000, v27
	v_and_b32_e32 v28, 0x80000000, v28
	v_lshl_add_u32 v20, v20, 23, v58
	v_or3_b32 v27, v28, v20, v27
.LBB4_2202:                             ;   in Loop: Header=BB4_1738 Depth=2
	s_or_b64 exec, exec, s[92:93]
.LBB4_2203:                             ;   in Loop: Header=BB4_1738 Depth=2
	s_or_b64 exec, exec, s[90:91]
.LBB4_2204:                             ;   in Loop: Header=BB4_1738 Depth=2
	s_or_b64 exec, exec, s[22:23]
	v_cmp_gt_i16_sdwa s[90:91], v11, s51 src0_sel:BYTE_0 src1_sel:DWORD
	s_mov_b64 s[22:23], 0
	s_and_saveexec_b64 s[92:93], s[90:91]
	s_xor_b64 s[90:91], exec, s[92:93]
	s_cbranch_execz .LBB4_2208
; %bb.2205:                             ;   in Loop: Header=BB4_1738 Depth=2
	v_cmp_eq_u16_sdwa s[94:95], v11, s53 src0_sel:BYTE_0 src1_sel:DWORD
	s_mov_b64 s[22:23], -1
	s_and_saveexec_b64 s[92:93], s[94:95]
; %bb.2206:                             ;   in Loop: Header=BB4_1738 Depth=2
	s_xor_b64 s[22:23], exec, -1
; %bb.2207:                             ;   in Loop: Header=BB4_1738 Depth=2
	s_or_b64 exec, exec, s[92:93]
	s_and_b64 s[22:23], s[22:23], exec
.LBB4_2208:                             ;   in Loop: Header=BB4_1738 Depth=2
	s_or_saveexec_b64 s[90:91], s[90:91]
	v_bfrev_b32_e32 v20, 1
	s_xor_b64 exec, exec, s[90:91]
; %bb.2209:                             ;   in Loop: Header=BB4_1738 Depth=2
	v_cmp_ne_u16_sdwa s[92:93], v11, v37 src0_sel:BYTE_0 src1_sel:DWORD
	s_andn2_b64 s[22:23], s[22:23], exec
	s_and_b64 s[92:93], s[92:93], exec
	v_mov_b32_e32 v20, 0
	s_or_b64 s[22:23], s[22:23], s[92:93]
; %bb.2210:                             ;   in Loop: Header=BB4_1738 Depth=2
	s_or_b64 exec, exec, s[90:91]
	v_mov_b32_e32 v40, v11
	v_mov_b32_e32 v41, v37
	s_and_saveexec_b64 s[90:91], s[22:23]
	s_cbranch_execz .LBB4_2212
; %bb.2211:                             ;   in Loop: Header=BB4_1738 Depth=2
	v_and_b32_e32 v20, 7, v11
	v_ffbh_u32_e32 v20, v20
	v_and_b32_e32 v30, 0x7f, v11
	v_min_u32_e32 v20, 32, v20
	v_bfe_u32 v28, v11, 3, 4
	v_subrev_u32_e32 v29, 28, v20
	v_sub_u32_e32 v20, 29, v20
	v_cmp_gt_u32_e32 vcc, 8, v30
	v_cndmask_b32_e32 v20, v28, v20, vcc
	v_cndmask_b32_e32 v28, 0, v29, vcc
	v_lshlrev_b64 v[28:29], v28, v[40:41]
	v_lshlrev_b32_e32 v29, 24, v40
	v_lshlrev_b32_e32 v28, 20, v28
	v_and_b32_e32 v28, 0x700000, v28
	v_and_b32_e32 v29, 0x80000000, v29
	v_lshl_add_u32 v20, v20, 23, v58
	v_or3_b32 v20, v29, v20, v28
	v_cmp_ne_u32_e32 vcc, s51, v30
	v_cndmask_b32_e32 v20, v52, v20, vcc
.LBB4_2212:                             ;   in Loop: Header=BB4_1738 Depth=2
	s_or_b64 exec, exec, s[90:91]
	v_add_f32_e32 v28, v27, v20
	v_and_b32_e32 v29, 0x7f800000, v28
	v_mov_b32_e32 v30, v37
	v_cmp_ne_u64_e32 vcc, s[56:57], v[29:30]
                                        ; implicit-def: $vgpr20
	s_and_saveexec_b64 s[22:23], vcc
	s_xor_b64 s[90:91], exec, s[22:23]
	s_cbranch_execz .LBB4_2226
; %bb.2213:                             ;   in Loop: Header=BB4_1738 Depth=2
	v_and_b32_e32 v29, 0x7fffffff, v28
	v_mov_b32_e32 v30, v37
	v_cmp_gt_u64_e32 vcc, s[58:59], v[29:30]
	v_and_b32_sdwa v27, v28, s53 dst_sel:DWORD dst_unused:UNUSED_PAD src0_sel:BYTE_3 src1_sel:DWORD
                                        ; implicit-def: $vgpr20
	s_and_saveexec_b64 s[22:23], vcc
	s_xor_b64 s[92:93], exec, s[22:23]
	s_cbranch_execz .LBB4_2223
; %bb.2214:                             ;   in Loop: Header=BB4_1738 Depth=2
	v_mov_b32_e32 v20, 0
	v_cmp_ne_u32_e32 vcc, 0, v28
	s_and_saveexec_b64 s[94:95], vcc
	s_cbranch_execz .LBB4_2222
; %bb.2215:                             ;   in Loop: Header=BB4_1738 Depth=2
	v_bfe_u32 v20, v28, 23, 8
	v_and_b32_e32 v29, 0x7fffff, v28
	v_cmp_gt_u32_e64 s[22:23], s54, v20
	v_sub_u32_e32 v28, 0x79, v20
	v_cmp_eq_u32_e32 vcc, 0, v20
	v_cndmask_b32_e64 v28, 0, v28, s[22:23]
	v_cndmask_b32_e32 v28, v28, v31, vcc
	v_or_b32_e32 v30, 0x800000, v29
	v_add_u32_e32 v32, 20, v28
	v_cndmask_b32_e32 v29, v30, v29, vcc
	v_mov_b32_e32 v30, v37
	v_lshlrev_b64 v[32:33], v32, -1
	v_add_u32_e32 v34, 19, v28
	v_lshlrev_b64 v[34:35], v34, 1
	v_lshrrev_b64 v[41:42], v28, v[29:30]
	v_bfi_b32 v33, v33, 0, 0
	v_bfi_b32 v32, v32, 0, v29
	v_cmp_eq_u64_e64 s[22:23], v[32:33], v[34:35]
	v_mov_b32_e32 v43, v42
	v_mov_b32_e32 v42, v41
	s_and_saveexec_b64 s[30:31], s[22:23]
; %bb.2216:                             ;   in Loop: Header=BB4_1738 Depth=2
	v_bfe_u32 v29, v41, 20, 1
	v_add_co_u32_e64 v29, s[22:23], v41, v29
	v_add_co_u32_e64 v42, s[22:23], -1, v29
; %bb.2217:                             ;   in Loop: Header=BB4_1738 Depth=2
	s_or_b64 exec, exec, s[30:31]
	v_add_u32_e32 v20, 0xffffff81, v20
	v_cndmask_b32_e32 v20, v20, v62, vcc
	v_lshrrev_b32_e32 v29, 23, v41
	v_add3_u32 v29, v28, v20, v29
	v_add_u32_e32 v28, 6, v29
	v_and_b32_e32 v20, 0xfffff, v42
	v_add_u32_e32 v41, v20, v41
	v_mov_b32_e32 v42, v37
	v_cmp_ne_u32_e32 vcc, 0, v28
                                        ; implicit-def: $vgpr20
	s_and_saveexec_b64 s[22:23], vcc
	s_xor_b64 s[22:23], exec, s[22:23]
; %bb.2218:                             ;   in Loop: Header=BB4_1738 Depth=2
	v_cmp_lt_u64_e32 vcc, s[60:61], v[41:42]
	v_add_u32_e32 v20, 7, v29
	v_cndmask_b32_e32 v20, v28, v20, vcc
	v_cndmask_b32_e64 v28, 0, 1, vcc
	v_lshrrev_b64 v[41:42], v28, v[41:42]
; %bb.2219:                             ;   in Loop: Header=BB4_1738 Depth=2
	s_andn2_saveexec_b64 s[22:23], s[22:23]
; %bb.2220:                             ;   in Loop: Header=BB4_1738 Depth=2
	v_bfe_u32 v20, v41, 23, 1
; %bb.2221:                             ;   in Loop: Header=BB4_1738 Depth=2
	s_or_b64 exec, exec, s[22:23]
	v_lshrrev_b64 v[28:29], 20, v[41:42]
	v_cmp_gt_i32_e32 vcc, 16, v20
	v_cndmask_b32_e32 v29, 0, v29, vcc
	v_cndmask_b32_e32 v28, 7, v28, vcc
	v_cmp_eq_u32_e32 vcc, 0, v20
	v_min_i32_e32 v20, 15, v20
	v_cmp_eq_u64_e64 s[22:23], 0, v[28:29]
	v_lshlrev_b32_e32 v20, 3, v20
	v_and_b32_e32 v20, 0xf8, v20
	v_and_or_b32 v20, v28, 7, v20
	s_and_b64 s[22:23], vcc, s[22:23]
	v_cndmask_b32_e64 v20, v20, 0, s[22:23]
	v_or_b32_e32 v20, v20, v27
.LBB4_2222:                             ;   in Loop: Header=BB4_1738 Depth=2
	s_or_b64 exec, exec, s[94:95]
                                        ; implicit-def: $vgpr27
.LBB4_2223:                             ;   in Loop: Header=BB4_1738 Depth=2
	s_andn2_saveexec_b64 s[22:23], s[92:93]
; %bb.2224:                             ;   in Loop: Header=BB4_1738 Depth=2
	v_or_b32_e32 v20, 0x7e, v27
; %bb.2225:                             ;   in Loop: Header=BB4_1738 Depth=2
	s_or_b64 exec, exec, s[22:23]
                                        ; implicit-def: $vgpr28
.LBB4_2226:                             ;   in Loop: Header=BB4_1738 Depth=2
	s_andn2_saveexec_b64 s[22:23], s[90:91]
; %bb.2227:                             ;   in Loop: Header=BB4_1738 Depth=2
	v_or_b32_sdwa v20, v28, s51 dst_sel:DWORD dst_unused:UNUSED_PAD src0_sel:BYTE_3 src1_sel:DWORD
; %bb.2228:                             ;   in Loop: Header=BB4_1738 Depth=2
	s_or_b64 exec, exec, s[22:23]
	v_lshrrev_b16_e32 v30, 8, v25
	v_cmp_ne_u16_e32 vcc, 0, v30
	v_mov_b32_e32 v27, 0
	s_and_saveexec_b64 s[22:23], vcc
	s_cbranch_execz .LBB4_2234
; %bb.2229:                             ;   in Loop: Header=BB4_1738 Depth=2
	v_cmp_ne_u16_e32 vcc, s53, v30
	v_bfrev_b32_e32 v27, 1
	s_and_saveexec_b64 s[90:91], vcc
	s_cbranch_execz .LBB4_2233
; %bb.2230:                             ;   in Loop: Header=BB4_1738 Depth=2
	v_and_b32_e32 v28, 0x7f, v30
	v_cmp_ne_u32_e32 vcc, s51, v28
	v_mov_b32_e32 v27, 0x7f800001
	s_and_saveexec_b64 s[92:93], vcc
	s_cbranch_execz .LBB4_2232
; %bb.2231:                             ;   in Loop: Header=BB4_1738 Depth=2
	v_and_b32_e32 v29, 7, v30
	v_ffbh_u32_e32 v27, v29
	v_min_u32_e32 v33, 32, v27
	v_subrev_u32_e32 v27, 28, v33
	v_lshrrev_b32_e32 v32, 3, v28
	v_cmp_gt_u32_e32 vcc, 8, v28
	v_lshlrev_b64 v[27:28], v27, v[30:31]
	v_sub_u32_e32 v28, 29, v33
	v_and_b32_e32 v27, 7, v27
	v_cndmask_b32_e32 v28, v32, v28, vcc
	v_cndmask_b32_e32 v27, v29, v27, vcc
	v_lshlrev_b32_e32 v25, 16, v25
	v_lshlrev_b32_e32 v27, 20, v27
	v_and_b32_e32 v25, 0x80000000, v25
	v_lshl_add_u32 v28, v28, 23, v58
	v_or3_b32 v27, v25, v28, v27
.LBB4_2232:                             ;   in Loop: Header=BB4_1738 Depth=2
	s_or_b64 exec, exec, s[92:93]
.LBB4_2233:                             ;   in Loop: Header=BB4_1738 Depth=2
	s_or_b64 exec, exec, s[90:91]
.LBB4_2234:                             ;   in Loop: Header=BB4_1738 Depth=2
	s_or_b64 exec, exec, s[22:23]
	v_lshrrev_b16_e32 v40, 8, v40
	v_cmp_lt_i16_e32 vcc, s51, v40
	s_mov_b64 s[22:23], 0
	s_and_saveexec_b64 s[90:91], vcc
	s_xor_b64 s[90:91], exec, s[90:91]
	s_cbranch_execnz .LBB4_2518
; %bb.2235:                             ;   in Loop: Header=BB4_1738 Depth=2
	s_or_saveexec_b64 s[90:91], s[90:91]
	v_bfrev_b32_e32 v25, 1
	s_xor_b64 exec, exec, s[90:91]
	s_cbranch_execnz .LBB4_2521
.LBB4_2236:                             ;   in Loop: Header=BB4_1738 Depth=2
	s_or_b64 exec, exec, s[90:91]
	s_and_saveexec_b64 s[90:91], s[22:23]
	s_cbranch_execz .LBB4_2238
.LBB4_2237:                             ;   in Loop: Header=BB4_1738 Depth=2
	v_and_b32_e32 v25, 7, v40
	v_ffbh_u32_e32 v28, v25
	v_min_u32_e32 v33, 32, v28
	v_mov_b32_e32 v41, v37
	v_subrev_u32_e32 v28, 28, v33
	v_lshlrev_b64 v[28:29], v28, v[40:41]
	v_and_b32_e32 v30, 0x7f, v40
	v_bfe_u32 v32, v40, 3, 4
	v_sub_u32_e32 v29, 29, v33
	v_and_b32_e32 v28, 7, v28
	v_cmp_gt_u32_e32 vcc, 8, v30
	v_cndmask_b32_e32 v29, v32, v29, vcc
	v_cndmask_b32_e32 v25, v25, v28, vcc
	v_lshlrev_b32_e32 v28, 24, v40
	v_lshlrev_b32_e32 v25, 20, v25
	v_and_b32_e32 v28, 0x80000000, v28
	v_lshl_add_u32 v29, v29, 23, v58
	v_or3_b32 v25, v28, v29, v25
	v_cmp_ne_u32_e32 vcc, s51, v30
	v_cndmask_b32_e32 v25, v52, v25, vcc
.LBB4_2238:                             ;   in Loop: Header=BB4_1738 Depth=2
	s_or_b64 exec, exec, s[90:91]
	v_add_f32_e32 v28, v27, v25
	v_and_b32_e32 v29, 0x7f800000, v28
	v_mov_b32_e32 v30, v37
	v_cmp_ne_u64_e32 vcc, s[56:57], v[29:30]
                                        ; implicit-def: $vgpr25
	s_and_saveexec_b64 s[22:23], vcc
	s_xor_b64 s[90:91], exec, s[22:23]
	s_cbranch_execz .LBB4_2252
; %bb.2239:                             ;   in Loop: Header=BB4_1738 Depth=2
	v_and_b32_e32 v29, 0x7fffffff, v28
	v_mov_b32_e32 v30, v37
	v_cmp_gt_u64_e32 vcc, s[58:59], v[29:30]
	v_and_b32_sdwa v27, v28, s53 dst_sel:DWORD dst_unused:UNUSED_PAD src0_sel:BYTE_3 src1_sel:DWORD
                                        ; implicit-def: $vgpr25
	s_and_saveexec_b64 s[22:23], vcc
	s_xor_b64 s[92:93], exec, s[22:23]
	s_cbranch_execz .LBB4_2249
; %bb.2240:                             ;   in Loop: Header=BB4_1738 Depth=2
	v_mov_b32_e32 v25, 0
	v_cmp_ne_u32_e32 vcc, 0, v28
	s_and_saveexec_b64 s[94:95], vcc
	s_cbranch_execz .LBB4_2248
; %bb.2241:                             ;   in Loop: Header=BB4_1738 Depth=2
	v_bfe_u32 v25, v28, 23, 8
	v_and_b32_e32 v29, 0x7fffff, v28
	v_cmp_gt_u32_e64 s[22:23], s54, v25
	v_sub_u32_e32 v28, 0x79, v25
	v_cmp_eq_u32_e32 vcc, 0, v25
	v_cndmask_b32_e64 v28, 0, v28, s[22:23]
	v_cndmask_b32_e32 v28, v28, v31, vcc
	v_or_b32_e32 v30, 0x800000, v29
	v_add_u32_e32 v32, 20, v28
	v_cndmask_b32_e32 v29, v30, v29, vcc
	v_mov_b32_e32 v30, v37
	v_lshlrev_b64 v[32:33], v32, -1
	v_add_u32_e32 v34, 19, v28
	v_lshlrev_b64 v[34:35], v34, 1
	v_lshrrev_b64 v[40:41], v28, v[29:30]
	v_bfi_b32 v33, v33, 0, 0
	v_bfi_b32 v32, v32, 0, v29
	v_cmp_eq_u64_e64 s[22:23], v[32:33], v[34:35]
	v_mov_b32_e32 v42, v41
	v_mov_b32_e32 v41, v40
	s_and_saveexec_b64 s[30:31], s[22:23]
; %bb.2242:                             ;   in Loop: Header=BB4_1738 Depth=2
	v_bfe_u32 v29, v40, 20, 1
	v_add_co_u32_e64 v29, s[22:23], v40, v29
	v_add_co_u32_e64 v41, s[22:23], -1, v29
; %bb.2243:                             ;   in Loop: Header=BB4_1738 Depth=2
	s_or_b64 exec, exec, s[30:31]
	v_add_u32_e32 v25, 0xffffff81, v25
	v_cndmask_b32_e32 v25, v25, v62, vcc
	v_lshrrev_b32_e32 v29, 23, v40
	v_add3_u32 v29, v28, v25, v29
	v_add_u32_e32 v28, 6, v29
	v_and_b32_e32 v25, 0xfffff, v41
	v_add_u32_e32 v40, v25, v40
	v_mov_b32_e32 v41, v37
	v_cmp_ne_u32_e32 vcc, 0, v28
                                        ; implicit-def: $vgpr25
	s_and_saveexec_b64 s[22:23], vcc
	s_xor_b64 s[22:23], exec, s[22:23]
; %bb.2244:                             ;   in Loop: Header=BB4_1738 Depth=2
	v_cmp_lt_u64_e32 vcc, s[60:61], v[40:41]
	v_add_u32_e32 v25, 7, v29
	v_cndmask_b32_e32 v25, v28, v25, vcc
	v_cndmask_b32_e64 v28, 0, 1, vcc
	v_lshrrev_b64 v[40:41], v28, v[40:41]
; %bb.2245:                             ;   in Loop: Header=BB4_1738 Depth=2
	s_andn2_saveexec_b64 s[22:23], s[22:23]
; %bb.2246:                             ;   in Loop: Header=BB4_1738 Depth=2
	v_bfe_u32 v25, v40, 23, 1
; %bb.2247:                             ;   in Loop: Header=BB4_1738 Depth=2
	s_or_b64 exec, exec, s[22:23]
	v_lshrrev_b64 v[28:29], 20, v[40:41]
	v_cmp_gt_i32_e32 vcc, 16, v25
	v_cndmask_b32_e32 v29, 0, v29, vcc
	v_cndmask_b32_e32 v28, 7, v28, vcc
	v_cmp_eq_u32_e32 vcc, 0, v25
	v_min_i32_e32 v25, 15, v25
	v_cmp_eq_u64_e64 s[22:23], 0, v[28:29]
	v_lshlrev_b32_e32 v25, 3, v25
	v_and_b32_e32 v25, 0xf8, v25
	v_and_or_b32 v25, v28, 7, v25
	s_and_b64 s[22:23], vcc, s[22:23]
	v_cndmask_b32_e64 v25, v25, 0, s[22:23]
	v_or_b32_e32 v25, v25, v27
.LBB4_2248:                             ;   in Loop: Header=BB4_1738 Depth=2
	s_or_b64 exec, exec, s[94:95]
                                        ; implicit-def: $vgpr27
.LBB4_2249:                             ;   in Loop: Header=BB4_1738 Depth=2
	s_andn2_saveexec_b64 s[22:23], s[92:93]
; %bb.2250:                             ;   in Loop: Header=BB4_1738 Depth=2
	v_or_b32_e32 v25, 0x7e, v27
; %bb.2251:                             ;   in Loop: Header=BB4_1738 Depth=2
	s_or_b64 exec, exec, s[22:23]
                                        ; implicit-def: $vgpr28
.LBB4_2252:                             ;   in Loop: Header=BB4_1738 Depth=2
	s_andn2_saveexec_b64 s[22:23], s[90:91]
; %bb.2253:                             ;   in Loop: Header=BB4_1738 Depth=2
	v_or_b32_sdwa v25, v28, s51 dst_sel:DWORD dst_unused:UNUSED_PAD src0_sel:BYTE_3 src1_sel:DWORD
; %bb.2254:                             ;   in Loop: Header=BB4_1738 Depth=2
	s_or_b64 exec, exec, s[22:23]
	v_lshrrev_b32_e32 v30, 16, v36
	v_cmp_ne_u16_sdwa s[90:91], v30, v37 src0_sel:BYTE_0 src1_sel:DWORD
	v_mov_b32_e32 v27, 0
	s_and_saveexec_b64 s[22:23], s[90:91]
	s_cbranch_execz .LBB4_2260
; %bb.2255:                             ;   in Loop: Header=BB4_1738 Depth=2
	v_cmp_ne_u16_sdwa s[92:93], v30, s53 src0_sel:BYTE_0 src1_sel:DWORD
	v_bfrev_b32_e32 v27, 1
	s_and_saveexec_b64 s[90:91], s[92:93]
	s_cbranch_execz .LBB4_2259
; %bb.2256:                             ;   in Loop: Header=BB4_1738 Depth=2
	v_bfe_u32 v28, v36, 16, 7
	v_cmp_ne_u32_e32 vcc, s51, v28
	v_mov_b32_e32 v27, 0x7f800001
	s_and_saveexec_b64 s[92:93], vcc
	s_cbranch_execz .LBB4_2258
; %bb.2257:                             ;   in Loop: Header=BB4_1738 Depth=2
	v_and_b32_e32 v29, 7, v30
	v_ffbh_u32_e32 v27, v29
	v_min_u32_e32 v33, 32, v27
	v_subrev_u32_e32 v27, 28, v33
	v_lshrrev_b32_e32 v32, 3, v28
	v_cmp_gt_u32_e32 vcc, 8, v28
	v_lshlrev_b64 v[27:28], v27, v[30:31]
	v_sub_u32_e32 v28, 29, v33
	v_and_b32_e32 v27, 7, v27
	v_cndmask_b32_e32 v28, v32, v28, vcc
	v_cndmask_b32_e32 v27, v29, v27, vcc
	v_lshlrev_b32_e32 v29, 24, v30
	v_lshlrev_b32_e32 v27, 20, v27
	v_and_b32_e32 v29, 0x80000000, v29
	v_lshl_add_u32 v28, v28, 23, v58
	v_or3_b32 v27, v29, v28, v27
.LBB4_2258:                             ;   in Loop: Header=BB4_1738 Depth=2
	s_or_b64 exec, exec, s[92:93]
.LBB4_2259:                             ;   in Loop: Header=BB4_1738 Depth=2
	s_or_b64 exec, exec, s[90:91]
.LBB4_2260:                             ;   in Loop: Header=BB4_1738 Depth=2
	s_or_b64 exec, exec, s[22:23]
	v_lshrrev_b32_e32 v30, 16, v11
	v_cmp_gt_i16_sdwa s[90:91], v30, s51 src0_sel:BYTE_0 src1_sel:DWORD
	s_mov_b64 s[22:23], 0
	s_and_saveexec_b64 s[92:93], s[90:91]
	s_xor_b64 s[90:91], exec, s[92:93]
	s_cbranch_execnz .LBB4_2522
; %bb.2261:                             ;   in Loop: Header=BB4_1738 Depth=2
	s_or_saveexec_b64 s[90:91], s[90:91]
	v_bfrev_b32_e32 v28, 1
	s_xor_b64 exec, exec, s[90:91]
	s_cbranch_execnz .LBB4_2525
.LBB4_2262:                             ;   in Loop: Header=BB4_1738 Depth=2
	s_or_b64 exec, exec, s[90:91]
	s_and_saveexec_b64 s[90:91], s[22:23]
	s_cbranch_execz .LBB4_2264
.LBB4_2263:                             ;   in Loop: Header=BB4_1738 Depth=2
	v_and_b32_e32 v32, 7, v30
	v_ffbh_u32_e32 v28, v32
	v_min_u32_e32 v35, 32, v28
	v_subrev_u32_e32 v28, 28, v35
	v_lshlrev_b64 v[28:29], v28, v[30:31]
	v_and_b32_e32 v33, 0x7f, v30
	v_bfe_u32 v34, v30, 3, 4
	v_sub_u32_e32 v29, 29, v35
	v_and_b32_e32 v28, 7, v28
	v_cmp_gt_u32_e32 vcc, 8, v33
	v_cndmask_b32_e32 v29, v34, v29, vcc
	v_cndmask_b32_e32 v28, v32, v28, vcc
	v_lshlrev_b32_e32 v30, 24, v30
	v_lshlrev_b32_e32 v28, 20, v28
	v_and_b32_e32 v30, 0x80000000, v30
	v_lshl_add_u32 v29, v29, 23, v58
	v_or3_b32 v28, v30, v29, v28
	v_cmp_ne_u32_e32 vcc, s51, v33
	v_cndmask_b32_e32 v28, v52, v28, vcc
.LBB4_2264:                             ;   in Loop: Header=BB4_1738 Depth=2
	s_or_b64 exec, exec, s[90:91]
	v_add_f32_e32 v29, v27, v28
	v_and_b32_e32 v27, 0x7f800000, v29
	v_mov_b32_e32 v28, v37
	v_cmp_ne_u64_e32 vcc, s[56:57], v[27:28]
                                        ; implicit-def: $vgpr27
	s_and_saveexec_b64 s[22:23], vcc
	s_xor_b64 s[90:91], exec, s[22:23]
	s_cbranch_execz .LBB4_2278
; %bb.2265:                             ;   in Loop: Header=BB4_1738 Depth=2
	v_and_b32_e32 v27, 0x7fffffff, v29
	v_mov_b32_e32 v28, v37
	v_cmp_gt_u64_e32 vcc, s[58:59], v[27:28]
	v_and_b32_sdwa v28, v29, s53 dst_sel:DWORD dst_unused:UNUSED_PAD src0_sel:BYTE_3 src1_sel:DWORD
                                        ; implicit-def: $vgpr27
	s_and_saveexec_b64 s[22:23], vcc
	s_xor_b64 s[92:93], exec, s[22:23]
	s_cbranch_execz .LBB4_2275
; %bb.2266:                             ;   in Loop: Header=BB4_1738 Depth=2
	v_mov_b32_e32 v27, 0
	v_cmp_ne_u32_e32 vcc, 0, v29
	s_and_saveexec_b64 s[94:95], vcc
	s_cbranch_execz .LBB4_2274
; %bb.2267:                             ;   in Loop: Header=BB4_1738 Depth=2
	v_bfe_u32 v27, v29, 23, 8
	v_and_b32_e32 v30, 0x7fffff, v29
	v_cmp_gt_u32_e64 s[22:23], s54, v27
	v_sub_u32_e32 v29, 0x79, v27
	v_cmp_eq_u32_e32 vcc, 0, v27
	v_cndmask_b32_e64 v29, 0, v29, s[22:23]
	v_or_b32_e32 v32, 0x800000, v30
	v_cndmask_b32_e32 v29, v29, v31, vcc
	v_cndmask_b32_e32 v32, v32, v30, vcc
	v_add_u32_e32 v30, 20, v29
	v_mov_b32_e32 v33, v37
	v_lshlrev_b64 v[34:35], v30, -1
	v_add_u32_e32 v30, 19, v29
	v_lshlrev_b64 v[48:49], v30, 1
	v_lshrrev_b64 v[40:41], v29, v[32:33]
	v_bfi_b32 v35, v35, 0, 0
	v_bfi_b32 v34, v34, 0, v32
	v_cmp_eq_u64_e64 s[22:23], v[34:35], v[48:49]
	v_mov_b32_e32 v42, v41
	v_mov_b32_e32 v41, v40
	s_and_saveexec_b64 s[30:31], s[22:23]
; %bb.2268:                             ;   in Loop: Header=BB4_1738 Depth=2
	v_bfe_u32 v30, v40, 20, 1
	v_add_co_u32_e64 v30, s[22:23], v40, v30
	v_add_co_u32_e64 v41, s[22:23], -1, v30
; %bb.2269:                             ;   in Loop: Header=BB4_1738 Depth=2
	s_or_b64 exec, exec, s[30:31]
	v_add_u32_e32 v27, 0xffffff81, v27
	v_cndmask_b32_e32 v27, v27, v62, vcc
	v_lshrrev_b32_e32 v30, 23, v40
	v_add3_u32 v30, v29, v27, v30
	v_add_u32_e32 v29, 6, v30
	v_and_b32_e32 v27, 0xfffff, v41
	v_add_u32_e32 v40, v27, v40
	v_mov_b32_e32 v41, v37
	v_cmp_ne_u32_e32 vcc, 0, v29
                                        ; implicit-def: $vgpr27
	s_and_saveexec_b64 s[22:23], vcc
	s_xor_b64 s[22:23], exec, s[22:23]
; %bb.2270:                             ;   in Loop: Header=BB4_1738 Depth=2
	v_cmp_lt_u64_e32 vcc, s[60:61], v[40:41]
	v_add_u32_e32 v27, 7, v30
	v_cndmask_b32_e32 v27, v29, v27, vcc
	v_cndmask_b32_e64 v29, 0, 1, vcc
	v_lshrrev_b64 v[40:41], v29, v[40:41]
; %bb.2271:                             ;   in Loop: Header=BB4_1738 Depth=2
	s_andn2_saveexec_b64 s[22:23], s[22:23]
; %bb.2272:                             ;   in Loop: Header=BB4_1738 Depth=2
	v_bfe_u32 v27, v40, 23, 1
; %bb.2273:                             ;   in Loop: Header=BB4_1738 Depth=2
	s_or_b64 exec, exec, s[22:23]
	v_lshrrev_b64 v[29:30], 20, v[40:41]
	v_cmp_gt_i32_e32 vcc, 16, v27
	v_cndmask_b32_e32 v30, 0, v30, vcc
	v_cndmask_b32_e32 v29, 7, v29, vcc
	v_cmp_eq_u32_e32 vcc, 0, v27
	v_min_i32_e32 v27, 15, v27
	v_cmp_eq_u64_e64 s[22:23], 0, v[29:30]
	v_lshlrev_b32_e32 v27, 3, v27
	v_and_b32_e32 v27, 0xf8, v27
	v_and_or_b32 v27, v29, 7, v27
	s_and_b64 s[22:23], vcc, s[22:23]
	v_cndmask_b32_e64 v27, v27, 0, s[22:23]
	v_or_b32_e32 v27, v27, v28
.LBB4_2274:                             ;   in Loop: Header=BB4_1738 Depth=2
	s_or_b64 exec, exec, s[94:95]
                                        ; implicit-def: $vgpr28
.LBB4_2275:                             ;   in Loop: Header=BB4_1738 Depth=2
	s_andn2_saveexec_b64 s[22:23], s[92:93]
; %bb.2276:                             ;   in Loop: Header=BB4_1738 Depth=2
	v_or_b32_e32 v27, 0x7e, v28
; %bb.2277:                             ;   in Loop: Header=BB4_1738 Depth=2
	s_or_b64 exec, exec, s[22:23]
                                        ; implicit-def: $vgpr29
.LBB4_2278:                             ;   in Loop: Header=BB4_1738 Depth=2
	s_andn2_saveexec_b64 s[22:23], s[90:91]
; %bb.2279:                             ;   in Loop: Header=BB4_1738 Depth=2
	v_or_b32_sdwa v27, v29, s51 dst_sel:DWORD dst_unused:UNUSED_PAD src0_sel:BYTE_3 src1_sel:DWORD
; %bb.2280:                             ;   in Loop: Header=BB4_1738 Depth=2
	s_or_b64 exec, exec, s[22:23]
	v_cmp_lt_u32_e32 vcc, s63, v36
	v_mov_b32_e32 v28, 0
	s_and_saveexec_b64 s[22:23], vcc
	s_cbranch_execz .LBB4_2286
; %bb.2281:                             ;   in Loop: Header=BB4_1738 Depth=2
	v_lshrrev_b32_e32 v30, 24, v36
	v_cmp_ne_u32_sdwa s[92:93], v36, s53 src0_sel:BYTE_3 src1_sel:DWORD
	v_bfrev_b32_e32 v28, 1
	s_and_saveexec_b64 s[90:91], s[92:93]
	s_cbranch_execz .LBB4_2285
; %bb.2282:                             ;   in Loop: Header=BB4_1738 Depth=2
	v_bfe_u32 v29, v36, 24, 7
	v_cmp_ne_u32_e32 vcc, s51, v29
	v_mov_b32_e32 v28, 0x7f800001
	s_and_saveexec_b64 s[92:93], vcc
	s_cbranch_execz .LBB4_2284
; %bb.2283:                             ;   in Loop: Header=BB4_1738 Depth=2
	v_and_b32_e32 v32, 7, v30
	v_ffbh_u32_e32 v28, v32
	v_min_u32_e32 v34, 32, v28
	v_subrev_u32_e32 v28, 28, v34
	v_lshrrev_b32_e32 v33, 3, v29
	v_cmp_gt_u32_e32 vcc, 8, v29
	v_lshlrev_b64 v[28:29], v28, v[30:31]
	v_sub_u32_e32 v29, 29, v34
	v_and_b32_e32 v28, 7, v28
	v_mov_b32_e32 v30, 24
	v_cndmask_b32_e32 v29, v33, v29, vcc
	v_cndmask_b32_e32 v28, v32, v28, vcc
	v_lshlrev_b32_sdwa v30, v30, v36 dst_sel:DWORD dst_unused:UNUSED_PAD src0_sel:DWORD src1_sel:BYTE_3
	v_lshlrev_b32_e32 v28, 20, v28
	v_and_b32_e32 v30, 0x80000000, v30
	v_lshl_add_u32 v29, v29, 23, v58
	v_or3_b32 v28, v30, v29, v28
.LBB4_2284:                             ;   in Loop: Header=BB4_1738 Depth=2
	s_or_b64 exec, exec, s[92:93]
.LBB4_2285:                             ;   in Loop: Header=BB4_1738 Depth=2
	s_or_b64 exec, exec, s[90:91]
.LBB4_2286:                             ;   in Loop: Header=BB4_1738 Depth=2
	s_or_b64 exec, exec, s[22:23]
	v_bfe_u32 v30, v11, 24, 3
	v_ffbh_u32_e32 v32, v30
	v_min_u32_e32 v36, 32, v32
	v_lshrrev_b32_e32 v29, 24, v11
	v_subrev_u32_e32 v32, 28, v36
	v_lshlrev_b64 v[32:33], v32, v[29:30]
	v_bfe_u32 v34, v11, 24, 7
	v_bfe_u32 v35, v29, 3, 4
	v_sub_u32_e32 v33, 29, v36
	v_and_b32_e32 v32, 7, v32
	v_cmp_gt_u32_e32 vcc, 8, v34
	v_cndmask_b32_e32 v33, v35, v33, vcc
	v_cndmask_b32_e32 v30, v30, v32, vcc
	v_lshlrev_b32_e32 v30, 20, v30
	v_and_b32_e32 v32, 0x80000000, v11
	v_lshl_add_u32 v33, v33, 23, v58
	v_or3_b32 v30, v32, v33, v30
	v_cmp_ne_u32_e32 vcc, s51, v34
	v_cndmask_b32_e32 v30, v52, v30, vcc
	v_cmp_ne_u32_e32 vcc, s53, v29
	v_cndmask_b32_e32 v29, v53, v30, vcc
	v_cmp_lt_u64_e32 vcc, s[62:63], v[10:11]
                                        ; implicit-def: $vgpr30
	v_cndmask_b32_e32 v10, 0, v29, vcc
	v_add_f32_e32 v10, v10, v28
	v_and_b32_e32 v36, 0x7f800000, v10
	v_cmp_ne_u64_e32 vcc, s[56:57], v[36:37]
	s_and_saveexec_b64 s[22:23], vcc
	s_xor_b64 s[90:91], exec, s[22:23]
	s_cbranch_execz .LBB4_2300
; %bb.2287:                             ;   in Loop: Header=BB4_1738 Depth=2
	v_and_b32_e32 v36, 0x7fffffff, v10
	v_cmp_gt_u64_e32 vcc, s[58:59], v[36:37]
	v_and_b32_sdwa v28, v10, s53 dst_sel:DWORD dst_unused:UNUSED_PAD src0_sel:BYTE_3 src1_sel:DWORD
                                        ; implicit-def: $vgpr30
	s_and_saveexec_b64 s[22:23], vcc
	s_xor_b64 s[92:93], exec, s[22:23]
	s_cbranch_execz .LBB4_2297
; %bb.2288:                             ;   in Loop: Header=BB4_1738 Depth=2
	v_mov_b32_e32 v30, 0
	v_cmp_ne_u32_e32 vcc, 0, v10
	s_and_saveexec_b64 s[94:95], vcc
	s_cbranch_execz .LBB4_2296
; %bb.2289:                             ;   in Loop: Header=BB4_1738 Depth=2
	v_bfe_u32 v29, v10, 23, 8
	v_and_b32_e32 v11, 0x7fffff, v10
	v_cmp_gt_u32_e64 s[22:23], s54, v29
	v_sub_u32_e32 v10, 0x79, v29
	v_cmp_eq_u32_e32 vcc, 0, v29
	v_cndmask_b32_e64 v10, 0, v10, s[22:23]
	v_cndmask_b32_e32 v30, v10, v31, vcc
	v_or_b32_e32 v32, 0x800000, v11
	v_add_u32_e32 v10, 20, v30
	v_cndmask_b32_e32 v36, v32, v11, vcc
	v_lshlrev_b64 v[10:11], v10, -1
	v_add_u32_e32 v32, 19, v30
	v_lshlrev_b64 v[32:33], v32, 1
	v_bfi_b32 v11, v11, 0, 0
	v_bfi_b32 v10, v10, 0, v36
	v_cmp_eq_u64_e64 s[22:23], v[10:11], v[32:33]
	v_lshrrev_b64 v[10:11], v30, v[36:37]
	v_mov_b32_e32 v41, v11
	v_mov_b32_e32 v40, v10
	s_and_saveexec_b64 s[30:31], s[22:23]
; %bb.2290:                             ;   in Loop: Header=BB4_1738 Depth=2
	v_bfe_u32 v11, v10, 20, 1
	v_add_co_u32_e64 v11, s[22:23], v10, v11
	v_add_co_u32_e64 v40, s[22:23], -1, v11
; %bb.2291:                             ;   in Loop: Header=BB4_1738 Depth=2
	s_or_b64 exec, exec, s[30:31]
	v_add_u32_e32 v11, 0xffffff81, v29
	v_cndmask_b32_e32 v11, v11, v62, vcc
	v_lshrrev_b32_e32 v29, 23, v10
	v_add3_u32 v32, v30, v11, v29
	v_add_u32_e32 v30, 6, v32
	v_and_b32_e32 v11, 0xfffff, v40
	v_add_u32_e32 v36, v11, v10
	v_cmp_ne_u32_e32 vcc, 0, v30
                                        ; implicit-def: $vgpr10_vgpr11
                                        ; implicit-def: $vgpr29
	s_and_saveexec_b64 s[22:23], vcc
	s_xor_b64 s[22:23], exec, s[22:23]
; %bb.2292:                             ;   in Loop: Header=BB4_1738 Depth=2
	v_cmp_lt_u64_e32 vcc, s[60:61], v[36:37]
	v_add_u32_e32 v10, 7, v32
	v_cndmask_b32_e32 v29, v30, v10, vcc
	v_cndmask_b32_e64 v10, 0, 1, vcc
	v_lshrrev_b64 v[10:11], v10, v[36:37]
; %bb.2293:                             ;   in Loop: Header=BB4_1738 Depth=2
	s_andn2_saveexec_b64 s[22:23], s[22:23]
; %bb.2294:                             ;   in Loop: Header=BB4_1738 Depth=2
	v_mov_b32_e32 v10, v36
	v_bfe_u32 v29, v36, 23, 1
	v_mov_b32_e32 v11, v37
; %bb.2295:                             ;   in Loop: Header=BB4_1738 Depth=2
	s_or_b64 exec, exec, s[22:23]
	v_lshrrev_b64 v[10:11], 20, v[10:11]
	v_cmp_gt_i32_e32 vcc, 16, v29
	v_cndmask_b32_e32 v11, 0, v11, vcc
	v_cndmask_b32_e32 v10, 7, v10, vcc
	v_cmp_eq_u64_e64 s[22:23], 0, v[10:11]
	v_min_i32_e32 v11, 15, v29
	v_lshlrev_b32_e32 v11, 3, v11
	v_cmp_eq_u32_e32 vcc, 0, v29
	v_and_b32_e32 v11, 0xf8, v11
	v_and_or_b32 v10, v10, 7, v11
	s_and_b64 s[22:23], vcc, s[22:23]
	v_cndmask_b32_e64 v10, v10, 0, s[22:23]
	v_or_b32_e32 v30, v10, v28
.LBB4_2296:                             ;   in Loop: Header=BB4_1738 Depth=2
	s_or_b64 exec, exec, s[94:95]
                                        ; implicit-def: $vgpr28
.LBB4_2297:                             ;   in Loop: Header=BB4_1738 Depth=2
	s_andn2_saveexec_b64 s[22:23], s[92:93]
; %bb.2298:                             ;   in Loop: Header=BB4_1738 Depth=2
	v_or_b32_e32 v30, 0x7e, v28
; %bb.2299:                             ;   in Loop: Header=BB4_1738 Depth=2
	s_or_b64 exec, exec, s[22:23]
                                        ; implicit-def: $vgpr10
.LBB4_2300:                             ;   in Loop: Header=BB4_1738 Depth=2
	s_andn2_saveexec_b64 s[22:23], s[90:91]
; %bb.2301:                             ;   in Loop: Header=BB4_1738 Depth=2
	v_or_b32_sdwa v30, v10, s51 dst_sel:DWORD dst_unused:UNUSED_PAD src0_sel:BYTE_3 src1_sel:DWORD
; %bb.2302:                             ;   in Loop: Header=BB4_1738 Depth=2
	s_or_b64 exec, exec, s[22:23]
	v_lshl_or_b32 v21, v21, 8, v8
	v_lshlrev_b32_e32 v10, 16, v24
	v_lshlrev_b32_e32 v11, 24, v26
	v_or3_b32 v36, v10, v11, v21
	v_cmp_ne_u32_e32 vcc, 0, v8
	v_mov_b32_e32 v10, 0
	s_and_saveexec_b64 s[22:23], vcc
	s_cbranch_execz .LBB4_2308
; %bb.2303:                             ;   in Loop: Header=BB4_1738 Depth=2
	v_cmp_ne_u32_e32 vcc, s53, v8
	v_bfrev_b32_e32 v10, 1
	s_and_saveexec_b64 s[90:91], vcc
	s_cbranch_execz .LBB4_2307
; %bb.2304:                             ;   in Loop: Header=BB4_1738 Depth=2
	v_and_b32_e32 v11, 0x7f, v8
	v_cmp_ne_u32_e32 vcc, s51, v11
	v_mov_b32_e32 v10, 0x7f800001
	s_and_saveexec_b64 s[92:93], vcc
	s_cbranch_execz .LBB4_2306
; %bb.2305:                             ;   in Loop: Header=BB4_1738 Depth=2
	v_and_b32_e32 v8, 7, v8
	v_ffbh_u32_e32 v8, v8
	v_min_u32_e32 v8, 32, v8
	v_lshrrev_b32_e32 v10, 3, v11
	v_cmp_gt_u32_e32 vcc, 8, v11
	v_subrev_u32_e32 v11, 28, v8
	v_sub_u32_e32 v8, 29, v8
	v_cndmask_b32_e32 v8, v10, v8, vcc
	v_cndmask_b32_e32 v10, 0, v11, vcc
	v_lshlrev_b64 v[10:11], v10, v[36:37]
	v_lshlrev_b32_e32 v11, 24, v36
	v_lshlrev_b32_e32 v10, 20, v10
	v_and_b32_e32 v10, 0x700000, v10
	v_and_b32_e32 v11, 0x80000000, v11
	v_lshl_add_u32 v8, v8, 23, v58
	v_or3_b32 v10, v11, v8, v10
.LBB4_2306:                             ;   in Loop: Header=BB4_1738 Depth=2
	s_or_b64 exec, exec, s[92:93]
.LBB4_2307:                             ;   in Loop: Header=BB4_1738 Depth=2
	s_or_b64 exec, exec, s[90:91]
.LBB4_2308:                             ;   in Loop: Header=BB4_1738 Depth=2
	s_or_b64 exec, exec, s[22:23]
	v_cmp_gt_i16_sdwa s[90:91], v12, s51 src0_sel:BYTE_0 src1_sel:DWORD
	s_mov_b64 s[22:23], 0
	s_and_saveexec_b64 s[92:93], s[90:91]
	s_xor_b64 s[90:91], exec, s[92:93]
	s_cbranch_execnz .LBB4_2526
; %bb.2309:                             ;   in Loop: Header=BB4_1738 Depth=2
	s_or_saveexec_b64 s[90:91], s[90:91]
	v_bfrev_b32_e32 v8, 1
	s_xor_b64 exec, exec, s[90:91]
	s_cbranch_execnz .LBB4_2529
.LBB4_2310:                             ;   in Loop: Header=BB4_1738 Depth=2
	s_or_b64 exec, exec, s[90:91]
	s_and_saveexec_b64 s[90:91], s[22:23]
	s_cbranch_execz .LBB4_2312
.LBB4_2311:                             ;   in Loop: Header=BB4_1738 Depth=2
	v_and_b32_e32 v8, 7, v12
	v_ffbh_u32_e32 v8, v8
	v_and_b32_e32 v11, 0x7f, v12
	v_min_u32_e32 v8, 32, v8
	v_bfe_u32 v24, v12, 3, 4
	v_subrev_u32_e32 v26, 28, v8
	v_sub_u32_e32 v8, 29, v8
	v_cmp_gt_u32_e32 vcc, 8, v11
	v_cndmask_b32_e32 v8, v24, v8, vcc
	v_cndmask_b32_e32 v24, 0, v26, vcc
	v_lshlrev_b64 v[28:29], v24, v[12:13]
	v_lshlrev_b32_e32 v26, 24, v12
	v_lshlrev_b32_e32 v24, 20, v28
	v_and_b32_e32 v24, 0x700000, v24
	v_and_b32_e32 v26, 0x80000000, v26
	v_lshl_add_u32 v8, v8, 23, v58
	v_or3_b32 v8, v26, v8, v24
	v_cmp_ne_u32_e32 vcc, s51, v11
	v_cndmask_b32_e32 v8, v52, v8, vcc
.LBB4_2312:                             ;   in Loop: Header=BB4_1738 Depth=2
	s_or_b64 exec, exec, s[90:91]
	v_add_f32_e32 v10, v10, v8
	v_and_b32_e32 v28, 0x7f800000, v10
	v_mov_b32_e32 v29, v37
	v_cmp_ne_u64_e32 vcc, s[56:57], v[28:29]
                                        ; implicit-def: $vgpr8
	s_and_saveexec_b64 s[22:23], vcc
	s_xor_b64 s[90:91], exec, s[22:23]
	s_cbranch_execz .LBB4_2326
; %bb.2313:                             ;   in Loop: Header=BB4_1738 Depth=2
	v_and_b32_e32 v28, 0x7fffffff, v10
	v_mov_b32_e32 v29, v37
	v_cmp_gt_u64_e32 vcc, s[58:59], v[28:29]
	v_and_b32_sdwa v24, v10, s53 dst_sel:DWORD dst_unused:UNUSED_PAD src0_sel:BYTE_3 src1_sel:DWORD
                                        ; implicit-def: $vgpr8
	s_and_saveexec_b64 s[22:23], vcc
	s_xor_b64 s[92:93], exec, s[22:23]
	s_cbranch_execz .LBB4_2323
; %bb.2314:                             ;   in Loop: Header=BB4_1738 Depth=2
	v_mov_b32_e32 v8, 0
	v_cmp_ne_u32_e32 vcc, 0, v10
	s_and_saveexec_b64 s[94:95], vcc
	s_cbranch_execz .LBB4_2322
; %bb.2315:                             ;   in Loop: Header=BB4_1738 Depth=2
	v_bfe_u32 v8, v10, 23, 8
	v_and_b32_e32 v11, 0x7fffff, v10
	v_cmp_gt_u32_e64 s[22:23], s54, v8
	v_sub_u32_e32 v10, 0x79, v8
	v_cmp_eq_u32_e32 vcc, 0, v8
	v_cndmask_b32_e64 v10, 0, v10, s[22:23]
	v_or_b32_e32 v28, 0x800000, v11
	v_cndmask_b32_e32 v26, v10, v31, vcc
	v_cndmask_b32_e32 v10, v28, v11, vcc
	v_add_u32_e32 v28, 20, v26
	v_lshlrev_b64 v[28:29], v28, -1
	v_mov_b32_e32 v11, v37
	v_add_u32_e32 v32, 19, v26
	v_bfi_b32 v28, v28, 0, v10
	v_lshlrev_b64 v[32:33], v32, 1
	v_lshrrev_b64 v[10:11], v26, v[10:11]
	v_bfi_b32 v29, v29, 0, 0
	v_cmp_eq_u64_e64 s[22:23], v[28:29], v[32:33]
	v_mov_b32_e32 v41, v11
	v_mov_b32_e32 v40, v10
	s_and_saveexec_b64 s[30:31], s[22:23]
; %bb.2316:                             ;   in Loop: Header=BB4_1738 Depth=2
	v_bfe_u32 v11, v10, 20, 1
	v_add_co_u32_e64 v11, s[22:23], v10, v11
	v_add_co_u32_e64 v40, s[22:23], -1, v11
; %bb.2317:                             ;   in Loop: Header=BB4_1738 Depth=2
	s_or_b64 exec, exec, s[30:31]
	v_add_u32_e32 v8, 0xffffff81, v8
	v_cndmask_b32_e32 v8, v8, v62, vcc
	v_lshrrev_b32_e32 v11, 23, v10
	v_add3_u32 v28, v26, v8, v11
	v_add_u32_e32 v26, 6, v28
	v_and_b32_e32 v8, 0xfffff, v40
	v_add_u32_e32 v10, v8, v10
	v_mov_b32_e32 v11, v37
	v_cmp_ne_u32_e32 vcc, 0, v26
                                        ; implicit-def: $vgpr8
	s_and_saveexec_b64 s[22:23], vcc
	s_xor_b64 s[22:23], exec, s[22:23]
; %bb.2318:                             ;   in Loop: Header=BB4_1738 Depth=2
	v_cmp_lt_u64_e32 vcc, s[60:61], v[10:11]
	v_add_u32_e32 v8, 7, v28
	v_cndmask_b32_e32 v8, v26, v8, vcc
	v_cndmask_b32_e64 v26, 0, 1, vcc
	v_lshrrev_b64 v[10:11], v26, v[10:11]
; %bb.2319:                             ;   in Loop: Header=BB4_1738 Depth=2
	s_andn2_saveexec_b64 s[22:23], s[22:23]
; %bb.2320:                             ;   in Loop: Header=BB4_1738 Depth=2
	v_bfe_u32 v8, v10, 23, 1
; %bb.2321:                             ;   in Loop: Header=BB4_1738 Depth=2
	s_or_b64 exec, exec, s[22:23]
	v_lshrrev_b64 v[10:11], 20, v[10:11]
	v_cmp_gt_i32_e32 vcc, 16, v8
	v_cndmask_b32_e32 v11, 0, v11, vcc
	v_cndmask_b32_e32 v10, 7, v10, vcc
	v_cmp_eq_u32_e32 vcc, 0, v8
	v_min_i32_e32 v8, 15, v8
	v_cmp_eq_u64_e64 s[22:23], 0, v[10:11]
	v_lshlrev_b32_e32 v8, 3, v8
	v_and_b32_e32 v8, 0xf8, v8
	v_and_or_b32 v8, v10, 7, v8
	s_and_b64 s[22:23], vcc, s[22:23]
	v_cndmask_b32_e64 v8, v8, 0, s[22:23]
	v_or_b32_e32 v8, v8, v24
.LBB4_2322:                             ;   in Loop: Header=BB4_1738 Depth=2
	s_or_b64 exec, exec, s[94:95]
                                        ; implicit-def: $vgpr24
.LBB4_2323:                             ;   in Loop: Header=BB4_1738 Depth=2
	s_andn2_saveexec_b64 s[22:23], s[92:93]
; %bb.2324:                             ;   in Loop: Header=BB4_1738 Depth=2
	v_or_b32_e32 v8, 0x7e, v24
; %bb.2325:                             ;   in Loop: Header=BB4_1738 Depth=2
	s_or_b64 exec, exec, s[22:23]
                                        ; implicit-def: $vgpr10
.LBB4_2326:                             ;   in Loop: Header=BB4_1738 Depth=2
	s_andn2_saveexec_b64 s[22:23], s[90:91]
; %bb.2327:                             ;   in Loop: Header=BB4_1738 Depth=2
	v_or_b32_sdwa v8, v10, s51 dst_sel:DWORD dst_unused:UNUSED_PAD src0_sel:BYTE_3 src1_sel:DWORD
; %bb.2328:                             ;   in Loop: Header=BB4_1738 Depth=2
	s_or_b64 exec, exec, s[22:23]
	v_lshrrev_b16_e32 v10, 8, v21
	v_cmp_ne_u16_e32 vcc, 0, v10
	v_mov_b32_e32 v24, 0
	s_and_saveexec_b64 s[22:23], vcc
	s_cbranch_execz .LBB4_2334
; %bb.2329:                             ;   in Loop: Header=BB4_1738 Depth=2
	v_cmp_ne_u16_e32 vcc, s53, v10
	v_bfrev_b32_e32 v24, 1
	s_and_saveexec_b64 s[90:91], vcc
	s_cbranch_execz .LBB4_2333
; %bb.2330:                             ;   in Loop: Header=BB4_1738 Depth=2
	v_and_b32_e32 v11, 0x7f, v10
	v_cmp_ne_u32_e32 vcc, s51, v11
	v_mov_b32_e32 v24, 0x7f800001
	s_and_saveexec_b64 s[92:93], vcc
	s_cbranch_execz .LBB4_2332
; %bb.2331:                             ;   in Loop: Header=BB4_1738 Depth=2
	v_and_b32_e32 v24, 7, v10
	v_lshrrev_b32_e32 v26, 3, v11
	v_cmp_gt_u32_e32 vcc, 8, v11
	v_ffbh_u32_e32 v11, v24
	v_min_u32_e32 v28, 32, v11
	v_subrev_u32_e32 v11, 28, v28
	v_lshlrev_b64 v[10:11], v11, v[10:11]
	v_sub_u32_e32 v11, 29, v28
	v_and_b32_e32 v10, 7, v10
	v_cndmask_b32_e32 v11, v26, v11, vcc
	v_cndmask_b32_e32 v10, v24, v10, vcc
	v_lshlrev_b32_e32 v21, 16, v21
	v_lshlrev_b32_e32 v10, 20, v10
	v_and_b32_e32 v21, 0x80000000, v21
	v_lshl_add_u32 v11, v11, 23, v58
	v_or3_b32 v24, v21, v11, v10
.LBB4_2332:                             ;   in Loop: Header=BB4_1738 Depth=2
	s_or_b64 exec, exec, s[92:93]
.LBB4_2333:                             ;   in Loop: Header=BB4_1738 Depth=2
	s_or_b64 exec, exec, s[90:91]
.LBB4_2334:                             ;   in Loop: Header=BB4_1738 Depth=2
	s_or_b64 exec, exec, s[22:23]
	v_lshrrev_b16_e32 v10, 8, v12
	v_cmp_lt_i16_e32 vcc, s51, v10
	s_mov_b64 s[22:23], 0
	s_and_saveexec_b64 s[90:91], vcc
	s_xor_b64 s[90:91], exec, s[90:91]
	s_cbranch_execnz .LBB4_2530
; %bb.2335:                             ;   in Loop: Header=BB4_1738 Depth=2
	s_or_saveexec_b64 s[90:91], s[90:91]
	v_bfrev_b32_e32 v11, 1
	s_xor_b64 exec, exec, s[90:91]
	s_cbranch_execnz .LBB4_2533
.LBB4_2336:                             ;   in Loop: Header=BB4_1738 Depth=2
	s_or_b64 exec, exec, s[90:91]
	s_and_saveexec_b64 s[90:91], s[22:23]
	s_cbranch_execz .LBB4_2338
.LBB4_2337:                             ;   in Loop: Header=BB4_1738 Depth=2
	v_and_b32_e32 v21, 7, v10
	v_ffbh_u32_e32 v28, v21
	v_min_u32_e32 v33, 32, v28
	v_mov_b32_e32 v11, v37
	v_subrev_u32_e32 v28, 28, v33
	v_lshlrev_b64 v[28:29], v28, v[10:11]
	v_and_b32_e32 v26, 0x7f, v10
	v_bfe_u32 v32, v10, 3, 4
	v_sub_u32_e32 v11, 29, v33
	v_and_b32_e32 v28, 7, v28
	v_cmp_gt_u32_e32 vcc, 8, v26
	v_cndmask_b32_e32 v11, v32, v11, vcc
	v_cndmask_b32_e32 v21, v21, v28, vcc
	v_lshlrev_b32_e32 v10, 24, v10
	v_lshlrev_b32_e32 v21, 20, v21
	v_and_b32_e32 v10, 0x80000000, v10
	v_lshl_add_u32 v11, v11, 23, v58
	v_or3_b32 v10, v10, v11, v21
	v_cmp_ne_u32_e32 vcc, s51, v26
	v_cndmask_b32_e32 v11, v52, v10, vcc
.LBB4_2338:                             ;   in Loop: Header=BB4_1738 Depth=2
	s_or_b64 exec, exec, s[90:91]
	v_add_f32_e32 v10, v24, v11
	v_and_b32_e32 v28, 0x7f800000, v10
	v_mov_b32_e32 v29, v37
	v_cmp_ne_u64_e32 vcc, s[56:57], v[28:29]
                                        ; implicit-def: $vgpr21
	s_and_saveexec_b64 s[22:23], vcc
	s_xor_b64 s[90:91], exec, s[22:23]
	s_cbranch_execz .LBB4_2352
; %bb.2339:                             ;   in Loop: Header=BB4_1738 Depth=2
	v_and_b32_e32 v28, 0x7fffffff, v10
	v_mov_b32_e32 v29, v37
	v_cmp_gt_u64_e32 vcc, s[58:59], v[28:29]
	v_and_b32_sdwa v24, v10, s53 dst_sel:DWORD dst_unused:UNUSED_PAD src0_sel:BYTE_3 src1_sel:DWORD
                                        ; implicit-def: $vgpr21
	s_and_saveexec_b64 s[22:23], vcc
	s_xor_b64 s[92:93], exec, s[22:23]
	s_cbranch_execz .LBB4_2349
; %bb.2340:                             ;   in Loop: Header=BB4_1738 Depth=2
	v_mov_b32_e32 v21, 0
	v_cmp_ne_u32_e32 vcc, 0, v10
	s_and_saveexec_b64 s[94:95], vcc
	s_cbranch_execz .LBB4_2348
; %bb.2341:                             ;   in Loop: Header=BB4_1738 Depth=2
	v_bfe_u32 v21, v10, 23, 8
	v_and_b32_e32 v11, 0x7fffff, v10
	v_cmp_gt_u32_e64 s[22:23], s54, v21
	v_sub_u32_e32 v10, 0x79, v21
	v_cmp_eq_u32_e32 vcc, 0, v21
	v_cndmask_b32_e64 v10, 0, v10, s[22:23]
	v_or_b32_e32 v28, 0x800000, v11
	v_cndmask_b32_e32 v26, v10, v31, vcc
	v_cndmask_b32_e32 v10, v28, v11, vcc
	v_add_u32_e32 v28, 20, v26
	v_lshlrev_b64 v[28:29], v28, -1
	v_mov_b32_e32 v11, v37
	v_add_u32_e32 v32, 19, v26
	v_bfi_b32 v28, v28, 0, v10
	v_lshlrev_b64 v[32:33], v32, 1
	v_lshrrev_b64 v[10:11], v26, v[10:11]
	v_bfi_b32 v29, v29, 0, 0
	v_cmp_eq_u64_e64 s[22:23], v[28:29], v[32:33]
	v_mov_b32_e32 v41, v11
	v_mov_b32_e32 v40, v10
	s_and_saveexec_b64 s[30:31], s[22:23]
; %bb.2342:                             ;   in Loop: Header=BB4_1738 Depth=2
	v_bfe_u32 v11, v10, 20, 1
	v_add_co_u32_e64 v11, s[22:23], v10, v11
	v_add_co_u32_e64 v40, s[22:23], -1, v11
; %bb.2343:                             ;   in Loop: Header=BB4_1738 Depth=2
	s_or_b64 exec, exec, s[30:31]
	v_add_u32_e32 v11, 0xffffff81, v21
	v_cndmask_b32_e32 v11, v11, v62, vcc
	v_lshrrev_b32_e32 v21, 23, v10
	v_add3_u32 v28, v26, v11, v21
	v_add_u32_e32 v26, 6, v28
	v_and_b32_e32 v11, 0xfffff, v40
	v_add_u32_e32 v10, v11, v10
	v_mov_b32_e32 v11, v37
	v_cmp_ne_u32_e32 vcc, 0, v26
                                        ; implicit-def: $vgpr21
	s_and_saveexec_b64 s[22:23], vcc
	s_xor_b64 s[22:23], exec, s[22:23]
; %bb.2344:                             ;   in Loop: Header=BB4_1738 Depth=2
	v_cmp_lt_u64_e32 vcc, s[60:61], v[10:11]
	v_add_u32_e32 v21, 7, v28
	v_cndmask_b32_e32 v21, v26, v21, vcc
	v_cndmask_b32_e64 v26, 0, 1, vcc
	v_lshrrev_b64 v[10:11], v26, v[10:11]
; %bb.2345:                             ;   in Loop: Header=BB4_1738 Depth=2
	s_andn2_saveexec_b64 s[22:23], s[22:23]
; %bb.2346:                             ;   in Loop: Header=BB4_1738 Depth=2
	v_bfe_u32 v21, v10, 23, 1
; %bb.2347:                             ;   in Loop: Header=BB4_1738 Depth=2
	s_or_b64 exec, exec, s[22:23]
	v_lshrrev_b64 v[10:11], 20, v[10:11]
	v_cmp_gt_i32_e32 vcc, 16, v21
	v_cndmask_b32_e32 v11, 0, v11, vcc
	v_cndmask_b32_e32 v10, 7, v10, vcc
	v_cmp_eq_u64_e64 s[22:23], 0, v[10:11]
	v_min_i32_e32 v11, 15, v21
	v_lshlrev_b32_e32 v11, 3, v11
	v_cmp_eq_u32_e32 vcc, 0, v21
	v_and_b32_e32 v11, 0xf8, v11
	v_and_or_b32 v10, v10, 7, v11
	s_and_b64 s[22:23], vcc, s[22:23]
	v_cndmask_b32_e64 v10, v10, 0, s[22:23]
	v_or_b32_e32 v21, v10, v24
.LBB4_2348:                             ;   in Loop: Header=BB4_1738 Depth=2
	s_or_b64 exec, exec, s[94:95]
                                        ; implicit-def: $vgpr24
.LBB4_2349:                             ;   in Loop: Header=BB4_1738 Depth=2
	s_andn2_saveexec_b64 s[22:23], s[92:93]
; %bb.2350:                             ;   in Loop: Header=BB4_1738 Depth=2
	v_or_b32_e32 v21, 0x7e, v24
; %bb.2351:                             ;   in Loop: Header=BB4_1738 Depth=2
	s_or_b64 exec, exec, s[22:23]
                                        ; implicit-def: $vgpr10
.LBB4_2352:                             ;   in Loop: Header=BB4_1738 Depth=2
	s_andn2_saveexec_b64 s[22:23], s[90:91]
; %bb.2353:                             ;   in Loop: Header=BB4_1738 Depth=2
	v_or_b32_sdwa v21, v10, s51 dst_sel:DWORD dst_unused:UNUSED_PAD src0_sel:BYTE_3 src1_sel:DWORD
; %bb.2354:                             ;   in Loop: Header=BB4_1738 Depth=2
	s_or_b64 exec, exec, s[22:23]
	v_lshrrev_b32_e32 v10, 16, v36
	v_cmp_ne_u16_sdwa s[90:91], v10, v37 src0_sel:BYTE_0 src1_sel:DWORD
	v_mov_b32_e32 v11, 0
	s_and_saveexec_b64 s[22:23], s[90:91]
	s_cbranch_execz .LBB4_2360
; %bb.2355:                             ;   in Loop: Header=BB4_1738 Depth=2
	v_cmp_ne_u16_sdwa s[92:93], v10, s53 src0_sel:BYTE_0 src1_sel:DWORD
	v_bfrev_b32_e32 v11, 1
	s_and_saveexec_b64 s[90:91], s[92:93]
	s_cbranch_execz .LBB4_2359
; %bb.2356:                             ;   in Loop: Header=BB4_1738 Depth=2
	v_bfe_u32 v24, v36, 16, 7
	v_cmp_ne_u32_e32 vcc, s51, v24
	v_mov_b32_e32 v11, 0x7f800001
	s_and_saveexec_b64 s[92:93], vcc
	s_cbranch_execz .LBB4_2358
; %bb.2357:                             ;   in Loop: Header=BB4_1738 Depth=2
	v_and_b32_e32 v11, 7, v10
	v_lshrrev_b32_e32 v26, 3, v24
	v_cmp_gt_u32_e32 vcc, 8, v24
	v_ffbh_u32_e32 v24, v11
	v_min_u32_e32 v24, 32, v24
	v_subrev_u32_e32 v28, 28, v24
	v_lshlrev_b64 v[28:29], v28, v[10:11]
	v_sub_u32_e32 v24, 29, v24
	v_and_b32_e32 v28, 7, v28
	v_cndmask_b32_e32 v24, v26, v24, vcc
	v_cndmask_b32_e32 v11, v11, v28, vcc
	v_lshlrev_b32_e32 v10, 24, v10
	v_lshlrev_b32_e32 v11, 20, v11
	v_and_b32_e32 v10, 0x80000000, v10
	v_lshl_add_u32 v24, v24, 23, v58
	v_or3_b32 v11, v10, v24, v11
.LBB4_2358:                             ;   in Loop: Header=BB4_1738 Depth=2
	s_or_b64 exec, exec, s[92:93]
.LBB4_2359:                             ;   in Loop: Header=BB4_1738 Depth=2
	s_or_b64 exec, exec, s[90:91]
.LBB4_2360:                             ;   in Loop: Header=BB4_1738 Depth=2
	s_or_b64 exec, exec, s[22:23]
	v_lshrrev_b32_e32 v10, 16, v12
	v_cmp_gt_i16_sdwa s[90:91], v10, s51 src0_sel:BYTE_0 src1_sel:DWORD
	s_mov_b64 s[22:23], 0
	s_and_saveexec_b64 s[92:93], s[90:91]
	s_xor_b64 s[90:91], exec, s[92:93]
	s_cbranch_execnz .LBB4_2534
; %bb.2361:                             ;   in Loop: Header=BB4_1738 Depth=2
	s_or_saveexec_b64 s[90:91], s[90:91]
	v_bfrev_b32_e32 v24, 1
	s_xor_b64 exec, exec, s[90:91]
	s_cbranch_execnz .LBB4_2537
.LBB4_2362:                             ;   in Loop: Header=BB4_1738 Depth=2
	s_or_b64 exec, exec, s[90:91]
	s_and_saveexec_b64 s[90:91], s[22:23]
	s_cbranch_execz .LBB4_2364
.LBB4_2363:                             ;   in Loop: Header=BB4_1738 Depth=2
	v_and_b32_e32 v24, 7, v10
	v_ffbh_u32_e32 v28, v24
	v_min_u32_e32 v33, 32, v28
	v_subrev_u32_e32 v28, 28, v33
	v_lshlrev_b64 v[28:29], v28, v[10:11]
	v_and_b32_e32 v26, 0x7f, v10
	v_bfe_u32 v32, v10, 3, 4
	v_sub_u32_e32 v29, 29, v33
	v_and_b32_e32 v28, 7, v28
	v_cmp_gt_u32_e32 vcc, 8, v26
	v_cndmask_b32_e32 v29, v32, v29, vcc
	v_cndmask_b32_e32 v24, v24, v28, vcc
	v_lshlrev_b32_e32 v10, 24, v10
	v_lshlrev_b32_e32 v24, 20, v24
	v_and_b32_e32 v10, 0x80000000, v10
	v_lshl_add_u32 v28, v29, 23, v58
	v_or3_b32 v10, v10, v28, v24
	v_cmp_ne_u32_e32 vcc, s51, v26
	v_cndmask_b32_e32 v24, v52, v10, vcc
.LBB4_2364:                             ;   in Loop: Header=BB4_1738 Depth=2
	s_or_b64 exec, exec, s[90:91]
	v_add_f32_e32 v10, v11, v24
	v_and_b32_e32 v28, 0x7f800000, v10
	v_mov_b32_e32 v29, v37
	v_cmp_ne_u64_e32 vcc, s[56:57], v[28:29]
                                        ; implicit-def: $vgpr24
	s_and_saveexec_b64 s[22:23], vcc
	s_xor_b64 s[90:91], exec, s[22:23]
	s_cbranch_execz .LBB4_2378
; %bb.2365:                             ;   in Loop: Header=BB4_1738 Depth=2
	v_and_b32_e32 v28, 0x7fffffff, v10
	v_mov_b32_e32 v29, v37
	v_cmp_gt_u64_e32 vcc, s[58:59], v[28:29]
	v_and_b32_sdwa v26, v10, s53 dst_sel:DWORD dst_unused:UNUSED_PAD src0_sel:BYTE_3 src1_sel:DWORD
                                        ; implicit-def: $vgpr24
	s_and_saveexec_b64 s[22:23], vcc
	s_xor_b64 s[92:93], exec, s[22:23]
	s_cbranch_execz .LBB4_2375
; %bb.2366:                             ;   in Loop: Header=BB4_1738 Depth=2
	v_mov_b32_e32 v24, 0
	v_cmp_ne_u32_e32 vcc, 0, v10
	s_and_saveexec_b64 s[94:95], vcc
	s_cbranch_execz .LBB4_2374
; %bb.2367:                             ;   in Loop: Header=BB4_1738 Depth=2
	v_bfe_u32 v24, v10, 23, 8
	v_and_b32_e32 v11, 0x7fffff, v10
	v_cmp_gt_u32_e64 s[22:23], s54, v24
	v_sub_u32_e32 v10, 0x79, v24
	v_cmp_eq_u32_e32 vcc, 0, v24
	v_cndmask_b32_e64 v10, 0, v10, s[22:23]
	v_or_b32_e32 v29, 0x800000, v11
	v_cndmask_b32_e32 v28, v10, v31, vcc
	v_cndmask_b32_e32 v10, v29, v11, vcc
	v_add_u32_e32 v29, 20, v28
	v_lshlrev_b64 v[32:33], v29, -1
	v_mov_b32_e32 v11, v37
	v_add_u32_e32 v29, 19, v28
	v_bfi_b32 v32, v32, 0, v10
	v_lshlrev_b64 v[34:35], v29, 1
	v_lshrrev_b64 v[10:11], v28, v[10:11]
	v_bfi_b32 v33, v33, 0, 0
	v_cmp_eq_u64_e64 s[22:23], v[32:33], v[34:35]
	v_mov_b32_e32 v41, v11
	v_mov_b32_e32 v40, v10
	s_and_saveexec_b64 s[30:31], s[22:23]
; %bb.2368:                             ;   in Loop: Header=BB4_1738 Depth=2
	v_bfe_u32 v11, v10, 20, 1
	v_add_co_u32_e64 v11, s[22:23], v10, v11
	v_add_co_u32_e64 v40, s[22:23], -1, v11
; %bb.2369:                             ;   in Loop: Header=BB4_1738 Depth=2
	s_or_b64 exec, exec, s[30:31]
	v_add_u32_e32 v11, 0xffffff81, v24
	v_cndmask_b32_e32 v11, v11, v62, vcc
	v_lshrrev_b32_e32 v24, 23, v10
	v_add3_u32 v29, v28, v11, v24
	v_add_u32_e32 v28, 6, v29
	v_and_b32_e32 v11, 0xfffff, v40
	v_add_u32_e32 v10, v11, v10
	v_mov_b32_e32 v11, v37
	v_cmp_ne_u32_e32 vcc, 0, v28
                                        ; implicit-def: $vgpr24
	s_and_saveexec_b64 s[22:23], vcc
	s_xor_b64 s[22:23], exec, s[22:23]
; %bb.2370:                             ;   in Loop: Header=BB4_1738 Depth=2
	v_cmp_lt_u64_e32 vcc, s[60:61], v[10:11]
	v_add_u32_e32 v24, 7, v29
	v_cndmask_b32_e32 v24, v28, v24, vcc
	v_cndmask_b32_e64 v28, 0, 1, vcc
	v_lshrrev_b64 v[10:11], v28, v[10:11]
; %bb.2371:                             ;   in Loop: Header=BB4_1738 Depth=2
	s_andn2_saveexec_b64 s[22:23], s[22:23]
; %bb.2372:                             ;   in Loop: Header=BB4_1738 Depth=2
	v_bfe_u32 v24, v10, 23, 1
; %bb.2373:                             ;   in Loop: Header=BB4_1738 Depth=2
	s_or_b64 exec, exec, s[22:23]
	v_lshrrev_b64 v[10:11], 20, v[10:11]
	v_cmp_gt_i32_e32 vcc, 16, v24
	v_cndmask_b32_e32 v11, 0, v11, vcc
	v_cndmask_b32_e32 v10, 7, v10, vcc
	v_cmp_eq_u64_e64 s[22:23], 0, v[10:11]
	v_min_i32_e32 v11, 15, v24
	v_lshlrev_b32_e32 v11, 3, v11
	v_cmp_eq_u32_e32 vcc, 0, v24
	v_and_b32_e32 v11, 0xf8, v11
	v_and_or_b32 v10, v10, 7, v11
	s_and_b64 s[22:23], vcc, s[22:23]
	v_cndmask_b32_e64 v10, v10, 0, s[22:23]
	v_or_b32_e32 v24, v10, v26
.LBB4_2374:                             ;   in Loop: Header=BB4_1738 Depth=2
	s_or_b64 exec, exec, s[94:95]
                                        ; implicit-def: $vgpr26
.LBB4_2375:                             ;   in Loop: Header=BB4_1738 Depth=2
	s_andn2_saveexec_b64 s[22:23], s[92:93]
; %bb.2376:                             ;   in Loop: Header=BB4_1738 Depth=2
	v_or_b32_e32 v24, 0x7e, v26
; %bb.2377:                             ;   in Loop: Header=BB4_1738 Depth=2
	s_or_b64 exec, exec, s[22:23]
                                        ; implicit-def: $vgpr10
.LBB4_2378:                             ;   in Loop: Header=BB4_1738 Depth=2
	s_andn2_saveexec_b64 s[22:23], s[90:91]
; %bb.2379:                             ;   in Loop: Header=BB4_1738 Depth=2
	v_or_b32_sdwa v24, v10, s51 dst_sel:DWORD dst_unused:UNUSED_PAD src0_sel:BYTE_3 src1_sel:DWORD
; %bb.2380:                             ;   in Loop: Header=BB4_1738 Depth=2
	s_or_b64 exec, exec, s[22:23]
	v_cmp_lt_u32_e32 vcc, s63, v36
	v_mov_b32_e32 v11, 0
	s_and_saveexec_b64 s[22:23], vcc
	s_cbranch_execz .LBB4_2386
; %bb.2381:                             ;   in Loop: Header=BB4_1738 Depth=2
	v_lshrrev_b32_e32 v10, 24, v36
	v_cmp_ne_u32_sdwa s[92:93], v36, s53 src0_sel:BYTE_3 src1_sel:DWORD
	v_bfrev_b32_e32 v11, 1
	s_and_saveexec_b64 s[90:91], s[92:93]
	s_cbranch_execz .LBB4_2385
; %bb.2382:                             ;   in Loop: Header=BB4_1738 Depth=2
	v_bfe_u32 v26, v36, 24, 7
	v_cmp_ne_u32_e32 vcc, s51, v26
	v_mov_b32_e32 v11, 0x7f800001
	s_and_saveexec_b64 s[92:93], vcc
	s_cbranch_execz .LBB4_2384
; %bb.2383:                             ;   in Loop: Header=BB4_1738 Depth=2
	v_and_b32_e32 v28, 7, v10
	v_ffbh_u32_e32 v11, v28
	v_lshrrev_b32_e32 v29, 3, v26
	v_cmp_gt_u32_e32 vcc, 8, v26
	v_min_u32_e32 v26, 32, v11
	v_subrev_u32_e32 v11, 28, v26
	v_lshlrev_b64 v[10:11], v11, v[10:11]
	v_sub_u32_e32 v11, 29, v26
	v_and_b32_e32 v10, 7, v10
	v_mov_b32_e32 v26, 24
	v_cndmask_b32_e32 v11, v29, v11, vcc
	v_cndmask_b32_e32 v10, v28, v10, vcc
	v_lshlrev_b32_sdwa v26, v26, v36 dst_sel:DWORD dst_unused:UNUSED_PAD src0_sel:DWORD src1_sel:BYTE_3
	v_lshlrev_b32_e32 v10, 20, v10
	v_and_b32_e32 v26, 0x80000000, v26
	v_lshl_add_u32 v11, v11, 23, v58
	v_or3_b32 v11, v26, v11, v10
.LBB4_2384:                             ;   in Loop: Header=BB4_1738 Depth=2
	s_or_b64 exec, exec, s[92:93]
.LBB4_2385:                             ;   in Loop: Header=BB4_1738 Depth=2
	s_or_b64 exec, exec, s[90:91]
.LBB4_2386:                             ;   in Loop: Header=BB4_1738 Depth=2
	s_or_b64 exec, exec, s[22:23]
	v_bfe_u32 v26, v12, 24, 3
	v_ffbh_u32_e32 v28, v26
	v_min_u32_e32 v34, 32, v28
	v_lshrrev_b32_e32 v10, 24, v12
	v_subrev_u32_e32 v28, 28, v34
	v_lshlrev_b64 v[28:29], v28, v[10:11]
	v_bfe_u32 v32, v12, 24, 7
	v_bfe_u32 v33, v10, 3, 4
	v_sub_u32_e32 v29, 29, v34
	v_and_b32_e32 v28, 7, v28
	v_cmp_gt_u32_e32 vcc, 8, v32
	v_cndmask_b32_e32 v29, v33, v29, vcc
	v_cndmask_b32_e32 v26, v26, v28, vcc
	v_lshlrev_b32_e32 v26, 20, v26
	v_and_b32_e32 v28, 0x80000000, v12
	v_lshl_add_u32 v29, v29, 23, v58
	v_or3_b32 v26, v28, v29, v26
	v_cmp_ne_u32_e32 vcc, s51, v32
	v_cndmask_b32_e32 v26, v52, v26, vcc
	v_cmp_ne_u32_e32 vcc, s53, v10
	v_cndmask_b32_e32 v10, v53, v26, vcc
	v_cmp_lt_u32_e32 vcc, s63, v12
	v_cndmask_b32_e32 v10, 0, v10, vcc
	v_add_f32_e32 v10, v10, v11
	v_and_b32_e32 v36, 0x7f800000, v10
	v_cmp_ne_u64_e32 vcc, s[56:57], v[36:37]
                                        ; implicit-def: $vgpr26
	s_and_saveexec_b64 s[22:23], vcc
	s_xor_b64 s[90:91], exec, s[22:23]
	s_cbranch_execz .LBB4_2400
; %bb.2387:                             ;   in Loop: Header=BB4_1738 Depth=2
	v_and_b32_e32 v36, 0x7fffffff, v10
	v_cmp_gt_u64_e32 vcc, s[58:59], v[36:37]
	v_and_b32_sdwa v28, v10, s53 dst_sel:DWORD dst_unused:UNUSED_PAD src0_sel:BYTE_3 src1_sel:DWORD
                                        ; implicit-def: $vgpr26
	s_and_saveexec_b64 s[22:23], vcc
	s_xor_b64 s[92:93], exec, s[22:23]
	s_cbranch_execz .LBB4_2397
; %bb.2388:                             ;   in Loop: Header=BB4_1738 Depth=2
	v_mov_b32_e32 v26, 0
	v_cmp_ne_u32_e32 vcc, 0, v10
	s_and_saveexec_b64 s[94:95], vcc
	s_cbranch_execz .LBB4_2396
; %bb.2389:                             ;   in Loop: Header=BB4_1738 Depth=2
	v_bfe_u32 v26, v10, 23, 8
	v_and_b32_e32 v11, 0x7fffff, v10
	v_cmp_gt_u32_e64 s[22:23], s54, v26
	v_sub_u32_e32 v10, 0x79, v26
	v_cmp_eq_u32_e32 vcc, 0, v26
	v_cndmask_b32_e64 v10, 0, v10, s[22:23]
	v_cndmask_b32_e32 v29, v10, v31, vcc
	v_or_b32_e32 v32, 0x800000, v11
	v_add_u32_e32 v10, 20, v29
	v_cndmask_b32_e32 v36, v32, v11, vcc
	v_lshlrev_b64 v[10:11], v10, -1
	v_add_u32_e32 v32, 19, v29
	v_lshlrev_b64 v[32:33], v32, 1
	v_bfi_b32 v11, v11, 0, 0
	v_bfi_b32 v10, v10, 0, v36
	v_cmp_eq_u64_e64 s[22:23], v[10:11], v[32:33]
	v_lshrrev_b64 v[10:11], v29, v[36:37]
	v_mov_b32_e32 v41, v11
	v_mov_b32_e32 v40, v10
	s_and_saveexec_b64 s[30:31], s[22:23]
; %bb.2390:                             ;   in Loop: Header=BB4_1738 Depth=2
	v_bfe_u32 v11, v10, 20, 1
	v_add_co_u32_e64 v11, s[22:23], v10, v11
	v_add_co_u32_e64 v40, s[22:23], -1, v11
; %bb.2391:                             ;   in Loop: Header=BB4_1738 Depth=2
	s_or_b64 exec, exec, s[30:31]
	v_add_u32_e32 v11, 0xffffff81, v26
	v_cndmask_b32_e32 v11, v11, v62, vcc
	v_lshrrev_b32_e32 v26, 23, v10
	v_add3_u32 v32, v29, v11, v26
	v_add_u32_e32 v29, 6, v32
	v_and_b32_e32 v11, 0xfffff, v40
	v_add_u32_e32 v36, v11, v10
	v_cmp_ne_u32_e32 vcc, 0, v29
                                        ; implicit-def: $vgpr10_vgpr11
                                        ; implicit-def: $vgpr26
	s_and_saveexec_b64 s[22:23], vcc
	s_xor_b64 s[22:23], exec, s[22:23]
; %bb.2392:                             ;   in Loop: Header=BB4_1738 Depth=2
	v_cmp_lt_u64_e32 vcc, s[60:61], v[36:37]
	v_add_u32_e32 v10, 7, v32
	v_cndmask_b32_e32 v26, v29, v10, vcc
	v_cndmask_b32_e64 v10, 0, 1, vcc
	v_lshrrev_b64 v[10:11], v10, v[36:37]
; %bb.2393:                             ;   in Loop: Header=BB4_1738 Depth=2
	s_andn2_saveexec_b64 s[22:23], s[22:23]
; %bb.2394:                             ;   in Loop: Header=BB4_1738 Depth=2
	v_mov_b32_e32 v10, v36
	v_bfe_u32 v26, v36, 23, 1
	v_mov_b32_e32 v11, v37
; %bb.2395:                             ;   in Loop: Header=BB4_1738 Depth=2
	s_or_b64 exec, exec, s[22:23]
	v_lshrrev_b64 v[10:11], 20, v[10:11]
	v_cmp_gt_i32_e32 vcc, 16, v26
	v_cndmask_b32_e32 v11, 0, v11, vcc
	v_cndmask_b32_e32 v10, 7, v10, vcc
	v_cmp_eq_u64_e64 s[22:23], 0, v[10:11]
	v_min_i32_e32 v11, 15, v26
	v_lshlrev_b32_e32 v11, 3, v11
	v_cmp_eq_u32_e32 vcc, 0, v26
	v_and_b32_e32 v11, 0xf8, v11
	v_and_or_b32 v10, v10, 7, v11
	s_and_b64 s[22:23], vcc, s[22:23]
	v_cndmask_b32_e64 v10, v10, 0, s[22:23]
	v_or_b32_e32 v26, v10, v28
.LBB4_2396:                             ;   in Loop: Header=BB4_1738 Depth=2
	s_or_b64 exec, exec, s[94:95]
                                        ; implicit-def: $vgpr28
.LBB4_2397:                             ;   in Loop: Header=BB4_1738 Depth=2
	s_andn2_saveexec_b64 s[22:23], s[92:93]
; %bb.2398:                             ;   in Loop: Header=BB4_1738 Depth=2
	v_or_b32_e32 v26, 0x7e, v28
; %bb.2399:                             ;   in Loop: Header=BB4_1738 Depth=2
	s_or_b64 exec, exec, s[22:23]
                                        ; implicit-def: $vgpr10
.LBB4_2400:                             ;   in Loop: Header=BB4_1738 Depth=2
	s_andn2_saveexec_b64 s[22:23], s[90:91]
; %bb.2401:                             ;   in Loop: Header=BB4_1738 Depth=2
	v_or_b32_sdwa v26, v10, s51 dst_sel:DWORD dst_unused:UNUSED_PAD src0_sel:BYTE_3 src1_sel:DWORD
; %bb.2402:                             ;   in Loop: Header=BB4_1738 Depth=2
	s_or_b64 exec, exec, s[22:23]
	v_lshlrev_b32_e32 v10, 24, v22
	v_lshlrev_b32_e32 v11, 16, v19
	v_lshl_or_b32 v9, v9, 8, v3
	v_or3_b32 v36, v11, v10, v9
	v_cmp_ne_u32_e32 vcc, 0, v3
	v_mov_b32_e32 v19, 0
	s_and_saveexec_b64 s[22:23], vcc
	s_cbranch_execz .LBB4_2408
; %bb.2403:                             ;   in Loop: Header=BB4_1738 Depth=2
	v_cmp_ne_u32_e32 vcc, s53, v3
	v_bfrev_b32_e32 v19, 1
	s_and_saveexec_b64 s[90:91], vcc
	s_cbranch_execz .LBB4_2407
; %bb.2404:                             ;   in Loop: Header=BB4_1738 Depth=2
	v_and_b32_e32 v10, 0x7f, v3
	v_cmp_ne_u32_e32 vcc, s51, v10
	v_mov_b32_e32 v19, 0x7f800001
	s_and_saveexec_b64 s[92:93], vcc
	s_cbranch_execz .LBB4_2406
; %bb.2405:                             ;   in Loop: Header=BB4_1738 Depth=2
	v_and_b32_e32 v3, 7, v3
	v_ffbh_u32_e32 v3, v3
	v_min_u32_e32 v3, 32, v3
	v_lshrrev_b32_e32 v11, 3, v10
	v_cmp_gt_u32_e32 vcc, 8, v10
	v_subrev_u32_e32 v10, 28, v3
	v_sub_u32_e32 v3, 29, v3
	v_cndmask_b32_e32 v10, 0, v10, vcc
	v_cndmask_b32_e32 v3, v11, v3, vcc
	v_lshlrev_b64 v[10:11], v10, v[36:37]
	v_lshlrev_b32_e32 v11, 24, v36
	v_lshlrev_b32_e32 v10, 20, v10
	v_and_b32_e32 v10, 0x700000, v10
	v_and_b32_e32 v11, 0x80000000, v11
	v_lshl_add_u32 v3, v3, 23, v58
	v_or3_b32 v19, v11, v3, v10
.LBB4_2406:                             ;   in Loop: Header=BB4_1738 Depth=2
	s_or_b64 exec, exec, s[92:93]
.LBB4_2407:                             ;   in Loop: Header=BB4_1738 Depth=2
	s_or_b64 exec, exec, s[90:91]
.LBB4_2408:                             ;   in Loop: Header=BB4_1738 Depth=2
	s_or_b64 exec, exec, s[22:23]
	v_cmp_gt_i16_sdwa s[90:91], v13, s51 src0_sel:BYTE_0 src1_sel:DWORD
	s_mov_b64 s[22:23], 0
	s_and_saveexec_b64 s[92:93], s[90:91]
	s_xor_b64 s[90:91], exec, s[92:93]
	s_cbranch_execz .LBB4_2412
; %bb.2409:                             ;   in Loop: Header=BB4_1738 Depth=2
	v_cmp_eq_u16_sdwa s[94:95], v13, s53 src0_sel:BYTE_0 src1_sel:DWORD
	s_mov_b64 s[22:23], -1
	s_and_saveexec_b64 s[92:93], s[94:95]
; %bb.2410:                             ;   in Loop: Header=BB4_1738 Depth=2
	s_xor_b64 s[22:23], exec, -1
; %bb.2411:                             ;   in Loop: Header=BB4_1738 Depth=2
	s_or_b64 exec, exec, s[92:93]
	s_and_b64 s[22:23], s[22:23], exec
.LBB4_2412:                             ;   in Loop: Header=BB4_1738 Depth=2
	s_or_saveexec_b64 s[90:91], s[90:91]
	v_bfrev_b32_e32 v3, 1
	s_xor_b64 exec, exec, s[90:91]
; %bb.2413:                             ;   in Loop: Header=BB4_1738 Depth=2
	v_cmp_ne_u16_sdwa s[92:93], v13, v37 src0_sel:BYTE_0 src1_sel:DWORD
	s_andn2_b64 s[22:23], s[22:23], exec
	s_and_b64 s[92:93], s[92:93], exec
	v_mov_b32_e32 v3, 0
	s_or_b64 s[22:23], s[22:23], s[92:93]
; %bb.2414:                             ;   in Loop: Header=BB4_1738 Depth=2
	s_or_b64 exec, exec, s[90:91]
	v_mov_b32_e32 v10, v13
	v_mov_b32_e32 v11, v37
	s_and_saveexec_b64 s[90:91], s[22:23]
	s_cbranch_execz .LBB4_2416
; %bb.2415:                             ;   in Loop: Header=BB4_1738 Depth=2
	v_and_b32_e32 v3, 7, v13
	v_ffbh_u32_e32 v3, v3
	v_and_b32_e32 v22, 0x7f, v13
	v_min_u32_e32 v3, 32, v3
	v_bfe_u32 v28, v13, 3, 4
	v_subrev_u32_e32 v29, 28, v3
	v_sub_u32_e32 v3, 29, v3
	v_cmp_gt_u32_e32 vcc, 8, v22
	v_cndmask_b32_e32 v3, v28, v3, vcc
	v_cndmask_b32_e32 v28, 0, v29, vcc
	v_lshlrev_b64 v[28:29], v28, v[10:11]
	v_lshl_add_u32 v3, v3, 23, v58
	v_lshlrev_b32_e32 v11, 20, v28
	v_lshlrev_b32_e32 v28, 24, v10
	v_and_b32_e32 v11, 0x700000, v11
	v_and_b32_e32 v28, 0x80000000, v28
	v_or3_b32 v3, v28, v3, v11
	v_cmp_ne_u32_e32 vcc, s51, v22
	v_cndmask_b32_e32 v3, v52, v3, vcc
.LBB4_2416:                             ;   in Loop: Header=BB4_1738 Depth=2
	s_or_b64 exec, exec, s[90:91]
	v_add_f32_e32 v19, v19, v3
	v_and_b32_e32 v28, 0x7f800000, v19
	v_mov_b32_e32 v29, v37
	v_cmp_ne_u64_e32 vcc, s[56:57], v[28:29]
                                        ; implicit-def: $vgpr3
	s_and_saveexec_b64 s[22:23], vcc
	s_xor_b64 s[90:91], exec, s[22:23]
	s_cbranch_execz .LBB4_2430
; %bb.2417:                             ;   in Loop: Header=BB4_1738 Depth=2
	v_and_b32_e32 v28, 0x7fffffff, v19
	v_mov_b32_e32 v29, v37
	v_cmp_gt_u64_e32 vcc, s[58:59], v[28:29]
	v_and_b32_sdwa v11, v19, s53 dst_sel:DWORD dst_unused:UNUSED_PAD src0_sel:BYTE_3 src1_sel:DWORD
                                        ; implicit-def: $vgpr3
	s_and_saveexec_b64 s[22:23], vcc
	s_xor_b64 s[92:93], exec, s[22:23]
	s_cbranch_execz .LBB4_2427
; %bb.2418:                             ;   in Loop: Header=BB4_1738 Depth=2
	v_mov_b32_e32 v3, 0
	v_cmp_ne_u32_e32 vcc, 0, v19
	s_and_saveexec_b64 s[94:95], vcc
	s_cbranch_execz .LBB4_2426
; %bb.2419:                             ;   in Loop: Header=BB4_1738 Depth=2
	v_bfe_u32 v3, v19, 23, 8
	v_and_b32_e32 v22, 0x7fffff, v19
	v_cmp_gt_u32_e64 s[22:23], s54, v3
	v_sub_u32_e32 v19, 0x79, v3
	v_cmp_eq_u32_e32 vcc, 0, v3
	v_cndmask_b32_e64 v19, 0, v19, s[22:23]
	v_or_b32_e32 v28, 0x800000, v22
	v_cndmask_b32_e32 v19, v19, v31, vcc
	v_cndmask_b32_e32 v28, v28, v22, vcc
	v_add_u32_e32 v22, 20, v19
	v_mov_b32_e32 v29, v37
	v_lshlrev_b64 v[32:33], v22, -1
	v_add_u32_e32 v22, 19, v19
	v_lshlrev_b64 v[34:35], v22, 1
	v_lshrrev_b64 v[40:41], v19, v[28:29]
	v_bfi_b32 v33, v33, 0, 0
	v_bfi_b32 v32, v32, 0, v28
	v_cmp_eq_u64_e64 s[22:23], v[32:33], v[34:35]
	v_mov_b32_e32 v42, v41
	v_mov_b32_e32 v41, v40
	s_and_saveexec_b64 s[30:31], s[22:23]
; %bb.2420:                             ;   in Loop: Header=BB4_1738 Depth=2
	v_bfe_u32 v22, v40, 20, 1
	v_add_co_u32_e64 v22, s[22:23], v40, v22
	v_add_co_u32_e64 v41, s[22:23], -1, v22
; %bb.2421:                             ;   in Loop: Header=BB4_1738 Depth=2
	s_or_b64 exec, exec, s[30:31]
	v_add_u32_e32 v3, 0xffffff81, v3
	v_cndmask_b32_e32 v3, v3, v62, vcc
	v_lshrrev_b32_e32 v22, 23, v40
	v_add3_u32 v22, v19, v3, v22
	v_add_u32_e32 v19, 6, v22
	v_and_b32_e32 v3, 0xfffff, v41
	v_add_u32_e32 v40, v3, v40
	v_mov_b32_e32 v41, v37
	v_cmp_ne_u32_e32 vcc, 0, v19
                                        ; implicit-def: $vgpr3
	s_and_saveexec_b64 s[22:23], vcc
	s_xor_b64 s[22:23], exec, s[22:23]
; %bb.2422:                             ;   in Loop: Header=BB4_1738 Depth=2
	v_cmp_lt_u64_e32 vcc, s[60:61], v[40:41]
	v_add_u32_e32 v3, 7, v22
	v_cndmask_b32_e32 v3, v19, v3, vcc
	v_cndmask_b32_e64 v19, 0, 1, vcc
	v_lshrrev_b64 v[40:41], v19, v[40:41]
; %bb.2423:                             ;   in Loop: Header=BB4_1738 Depth=2
	s_andn2_saveexec_b64 s[22:23], s[22:23]
; %bb.2424:                             ;   in Loop: Header=BB4_1738 Depth=2
	v_bfe_u32 v3, v40, 23, 1
; %bb.2425:                             ;   in Loop: Header=BB4_1738 Depth=2
	s_or_b64 exec, exec, s[22:23]
	v_lshrrev_b64 v[28:29], 20, v[40:41]
	v_cmp_gt_i32_e32 vcc, 16, v3
	v_cndmask_b32_e32 v29, 0, v29, vcc
	v_cndmask_b32_e32 v28, 7, v28, vcc
	v_cmp_eq_u32_e32 vcc, 0, v3
	v_min_i32_e32 v3, 15, v3
	v_cmp_eq_u64_e64 s[22:23], 0, v[28:29]
	v_lshlrev_b32_e32 v3, 3, v3
	v_and_b32_e32 v3, 0xf8, v3
	v_and_or_b32 v3, v28, 7, v3
	s_and_b64 s[22:23], vcc, s[22:23]
	v_cndmask_b32_e64 v3, v3, 0, s[22:23]
	v_or_b32_e32 v3, v3, v11
.LBB4_2426:                             ;   in Loop: Header=BB4_1738 Depth=2
	s_or_b64 exec, exec, s[94:95]
                                        ; implicit-def: $vgpr11
.LBB4_2427:                             ;   in Loop: Header=BB4_1738 Depth=2
	s_andn2_saveexec_b64 s[22:23], s[92:93]
; %bb.2428:                             ;   in Loop: Header=BB4_1738 Depth=2
	v_or_b32_e32 v3, 0x7e, v11
; %bb.2429:                             ;   in Loop: Header=BB4_1738 Depth=2
	s_or_b64 exec, exec, s[22:23]
                                        ; implicit-def: $vgpr19
.LBB4_2430:                             ;   in Loop: Header=BB4_1738 Depth=2
	s_andn2_saveexec_b64 s[22:23], s[90:91]
; %bb.2431:                             ;   in Loop: Header=BB4_1738 Depth=2
	v_or_b32_sdwa v3, v19, s51 dst_sel:DWORD dst_unused:UNUSED_PAD src0_sel:BYTE_3 src1_sel:DWORD
; %bb.2432:                             ;   in Loop: Header=BB4_1738 Depth=2
	s_or_b64 exec, exec, s[22:23]
	v_lshrrev_b16_e32 v11, 8, v9
	v_cmp_ne_u16_e32 vcc, 0, v11
	v_mov_b32_e32 v19, 0
	s_and_saveexec_b64 s[22:23], vcc
	s_cbranch_execz .LBB4_2438
; %bb.2433:                             ;   in Loop: Header=BB4_1738 Depth=2
	v_cmp_ne_u16_e32 vcc, s53, v11
	v_bfrev_b32_e32 v19, 1
	s_and_saveexec_b64 s[90:91], vcc
	s_cbranch_execz .LBB4_2437
; %bb.2434:                             ;   in Loop: Header=BB4_1738 Depth=2
	v_and_b32_e32 v22, 0x7f, v11
	v_cmp_ne_u32_e32 vcc, s51, v22
	v_mov_b32_e32 v19, 0x7f800001
	s_and_saveexec_b64 s[92:93], vcc
	s_cbranch_execz .LBB4_2436
; %bb.2435:                             ;   in Loop: Header=BB4_1738 Depth=2
	v_and_b32_e32 v19, 7, v11
	v_lshrrev_b32_e32 v32, 3, v22
	v_cmp_gt_u32_e32 vcc, 8, v22
	v_ffbh_u32_e32 v22, v19
	v_min_u32_e32 v22, 32, v22
	v_subrev_u32_e32 v28, 28, v22
	v_lshlrev_b64 v[28:29], v28, v[11:12]
	v_sub_u32_e32 v11, 29, v22
	v_and_b32_e32 v22, 7, v28
	v_cndmask_b32_e32 v11, v32, v11, vcc
	v_cndmask_b32_e32 v19, v19, v22, vcc
	v_lshlrev_b32_e32 v9, 16, v9
	v_lshlrev_b32_e32 v19, 20, v19
	v_and_b32_e32 v9, 0x80000000, v9
	v_lshl_add_u32 v11, v11, 23, v58
	v_or3_b32 v19, v9, v11, v19
.LBB4_2436:                             ;   in Loop: Header=BB4_1738 Depth=2
	s_or_b64 exec, exec, s[92:93]
.LBB4_2437:                             ;   in Loop: Header=BB4_1738 Depth=2
	s_or_b64 exec, exec, s[90:91]
.LBB4_2438:                             ;   in Loop: Header=BB4_1738 Depth=2
	s_or_b64 exec, exec, s[22:23]
	v_lshrrev_b16_e32 v10, 8, v10
	v_cmp_lt_i16_e32 vcc, s51, v10
	s_mov_b64 s[22:23], 0
	s_and_saveexec_b64 s[90:91], vcc
	s_xor_b64 s[90:91], exec, s[90:91]
	s_cbranch_execnz .LBB4_2538
; %bb.2439:                             ;   in Loop: Header=BB4_1738 Depth=2
	s_or_saveexec_b64 s[90:91], s[90:91]
	v_bfrev_b32_e32 v9, 1
	s_xor_b64 exec, exec, s[90:91]
	s_cbranch_execnz .LBB4_2541
.LBB4_2440:                             ;   in Loop: Header=BB4_1738 Depth=2
	s_or_b64 exec, exec, s[90:91]
	s_and_saveexec_b64 s[90:91], s[22:23]
	s_cbranch_execz .LBB4_2442
.LBB4_2441:                             ;   in Loop: Header=BB4_1738 Depth=2
	v_and_b32_e32 v9, 7, v10
	v_ffbh_u32_e32 v28, v9
	v_min_u32_e32 v33, 32, v28
	v_mov_b32_e32 v11, v37
	v_subrev_u32_e32 v28, 28, v33
	v_lshlrev_b64 v[28:29], v28, v[10:11]
	v_and_b32_e32 v22, 0x7f, v10
	v_bfe_u32 v32, v10, 3, 4
	v_sub_u32_e32 v11, 29, v33
	v_and_b32_e32 v28, 7, v28
	v_cmp_gt_u32_e32 vcc, 8, v22
	v_cndmask_b32_e32 v11, v32, v11, vcc
	v_cndmask_b32_e32 v9, v9, v28, vcc
	v_lshlrev_b32_e32 v10, 24, v10
	v_lshlrev_b32_e32 v9, 20, v9
	v_and_b32_e32 v10, 0x80000000, v10
	v_lshl_add_u32 v11, v11, 23, v58
	v_or3_b32 v9, v10, v11, v9
	v_cmp_ne_u32_e32 vcc, s51, v22
	v_cndmask_b32_e32 v9, v52, v9, vcc
.LBB4_2442:                             ;   in Loop: Header=BB4_1738 Depth=2
	s_or_b64 exec, exec, s[90:91]
	v_add_f32_e32 v10, v19, v9
	v_and_b32_e32 v28, 0x7f800000, v10
	v_mov_b32_e32 v29, v37
	v_cmp_ne_u64_e32 vcc, s[56:57], v[28:29]
                                        ; implicit-def: $vgpr9
	s_and_saveexec_b64 s[22:23], vcc
	s_xor_b64 s[90:91], exec, s[22:23]
	s_cbranch_execz .LBB4_2456
; %bb.2443:                             ;   in Loop: Header=BB4_1738 Depth=2
	v_and_b32_e32 v28, 0x7fffffff, v10
	v_mov_b32_e32 v29, v37
	v_cmp_gt_u64_e32 vcc, s[58:59], v[28:29]
	v_and_b32_sdwa v19, v10, s53 dst_sel:DWORD dst_unused:UNUSED_PAD src0_sel:BYTE_3 src1_sel:DWORD
                                        ; implicit-def: $vgpr9
	s_and_saveexec_b64 s[22:23], vcc
	s_xor_b64 s[92:93], exec, s[22:23]
	s_cbranch_execz .LBB4_2453
; %bb.2444:                             ;   in Loop: Header=BB4_1738 Depth=2
	v_mov_b32_e32 v9, 0
	v_cmp_ne_u32_e32 vcc, 0, v10
	s_and_saveexec_b64 s[94:95], vcc
	s_cbranch_execz .LBB4_2452
; %bb.2445:                             ;   in Loop: Header=BB4_1738 Depth=2
	v_bfe_u32 v9, v10, 23, 8
	v_and_b32_e32 v11, 0x7fffff, v10
	v_cmp_gt_u32_e64 s[22:23], s54, v9
	v_sub_u32_e32 v10, 0x79, v9
	v_cmp_eq_u32_e32 vcc, 0, v9
	v_cndmask_b32_e64 v10, 0, v10, s[22:23]
	v_or_b32_e32 v28, 0x800000, v11
	v_cndmask_b32_e32 v22, v10, v31, vcc
	v_cndmask_b32_e32 v10, v28, v11, vcc
	v_add_u32_e32 v28, 20, v22
	v_lshlrev_b64 v[28:29], v28, -1
	v_mov_b32_e32 v11, v37
	v_add_u32_e32 v32, 19, v22
	v_bfi_b32 v28, v28, 0, v10
	v_lshlrev_b64 v[32:33], v32, 1
	v_lshrrev_b64 v[10:11], v22, v[10:11]
	v_bfi_b32 v29, v29, 0, 0
	v_cmp_eq_u64_e64 s[22:23], v[28:29], v[32:33]
	v_mov_b32_e32 v41, v11
	v_mov_b32_e32 v40, v10
	s_and_saveexec_b64 s[30:31], s[22:23]
; %bb.2446:                             ;   in Loop: Header=BB4_1738 Depth=2
	v_bfe_u32 v11, v10, 20, 1
	v_add_co_u32_e64 v11, s[22:23], v10, v11
	v_add_co_u32_e64 v40, s[22:23], -1, v11
; %bb.2447:                             ;   in Loop: Header=BB4_1738 Depth=2
	s_or_b64 exec, exec, s[30:31]
	v_add_u32_e32 v9, 0xffffff81, v9
	v_cndmask_b32_e32 v9, v9, v62, vcc
	v_lshrrev_b32_e32 v11, 23, v10
	v_add3_u32 v28, v22, v9, v11
	v_add_u32_e32 v22, 6, v28
	v_and_b32_e32 v9, 0xfffff, v40
	v_add_u32_e32 v10, v9, v10
	v_mov_b32_e32 v11, v37
	v_cmp_ne_u32_e32 vcc, 0, v22
                                        ; implicit-def: $vgpr9
	s_and_saveexec_b64 s[22:23], vcc
	s_xor_b64 s[22:23], exec, s[22:23]
; %bb.2448:                             ;   in Loop: Header=BB4_1738 Depth=2
	v_cmp_lt_u64_e32 vcc, s[60:61], v[10:11]
	v_add_u32_e32 v9, 7, v28
	v_cndmask_b32_e32 v9, v22, v9, vcc
	v_cndmask_b32_e64 v22, 0, 1, vcc
	v_lshrrev_b64 v[10:11], v22, v[10:11]
; %bb.2449:                             ;   in Loop: Header=BB4_1738 Depth=2
	s_andn2_saveexec_b64 s[22:23], s[22:23]
; %bb.2450:                             ;   in Loop: Header=BB4_1738 Depth=2
	v_bfe_u32 v9, v10, 23, 1
; %bb.2451:                             ;   in Loop: Header=BB4_1738 Depth=2
	s_or_b64 exec, exec, s[22:23]
	v_lshrrev_b64 v[10:11], 20, v[10:11]
	v_cmp_gt_i32_e32 vcc, 16, v9
	v_cndmask_b32_e32 v11, 0, v11, vcc
	v_cndmask_b32_e32 v10, 7, v10, vcc
	v_cmp_eq_u32_e32 vcc, 0, v9
	v_min_i32_e32 v9, 15, v9
	v_cmp_eq_u64_e64 s[22:23], 0, v[10:11]
	v_lshlrev_b32_e32 v9, 3, v9
	v_and_b32_e32 v9, 0xf8, v9
	v_and_or_b32 v9, v10, 7, v9
	s_and_b64 s[22:23], vcc, s[22:23]
	v_cndmask_b32_e64 v9, v9, 0, s[22:23]
	v_or_b32_e32 v9, v9, v19
.LBB4_2452:                             ;   in Loop: Header=BB4_1738 Depth=2
	s_or_b64 exec, exec, s[94:95]
                                        ; implicit-def: $vgpr19
.LBB4_2453:                             ;   in Loop: Header=BB4_1738 Depth=2
	s_andn2_saveexec_b64 s[22:23], s[92:93]
; %bb.2454:                             ;   in Loop: Header=BB4_1738 Depth=2
	v_or_b32_e32 v9, 0x7e, v19
; %bb.2455:                             ;   in Loop: Header=BB4_1738 Depth=2
	s_or_b64 exec, exec, s[22:23]
                                        ; implicit-def: $vgpr10
.LBB4_2456:                             ;   in Loop: Header=BB4_1738 Depth=2
	s_andn2_saveexec_b64 s[22:23], s[90:91]
; %bb.2457:                             ;   in Loop: Header=BB4_1738 Depth=2
	v_or_b32_sdwa v9, v10, s51 dst_sel:DWORD dst_unused:UNUSED_PAD src0_sel:BYTE_3 src1_sel:DWORD
; %bb.2458:                             ;   in Loop: Header=BB4_1738 Depth=2
	s_or_b64 exec, exec, s[22:23]
	v_lshrrev_b32_e32 v10, 16, v36
	v_cmp_ne_u16_sdwa s[90:91], v10, v37 src0_sel:BYTE_0 src1_sel:DWORD
	v_mov_b32_e32 v11, 0
	s_and_saveexec_b64 s[22:23], s[90:91]
	s_cbranch_execz .LBB4_2464
; %bb.2459:                             ;   in Loop: Header=BB4_1738 Depth=2
	v_cmp_ne_u16_sdwa s[92:93], v10, s53 src0_sel:BYTE_0 src1_sel:DWORD
	v_bfrev_b32_e32 v11, 1
	s_and_saveexec_b64 s[90:91], s[92:93]
	s_cbranch_execz .LBB4_2463
; %bb.2460:                             ;   in Loop: Header=BB4_1738 Depth=2
	v_bfe_u32 v19, v36, 16, 7
	v_cmp_ne_u32_e32 vcc, s51, v19
	v_mov_b32_e32 v11, 0x7f800001
	s_and_saveexec_b64 s[92:93], vcc
	s_cbranch_execz .LBB4_2462
; %bb.2461:                             ;   in Loop: Header=BB4_1738 Depth=2
	v_and_b32_e32 v11, 7, v10
	v_lshrrev_b32_e32 v22, 3, v19
	v_cmp_gt_u32_e32 vcc, 8, v19
	v_ffbh_u32_e32 v19, v11
	v_min_u32_e32 v19, 32, v19
	v_subrev_u32_e32 v28, 28, v19
	v_lshlrev_b64 v[28:29], v28, v[10:11]
	v_sub_u32_e32 v19, 29, v19
	v_and_b32_e32 v28, 7, v28
	v_cndmask_b32_e32 v19, v22, v19, vcc
	v_cndmask_b32_e32 v11, v11, v28, vcc
	v_lshlrev_b32_e32 v10, 24, v10
	v_lshlrev_b32_e32 v11, 20, v11
	v_and_b32_e32 v10, 0x80000000, v10
	v_lshl_add_u32 v19, v19, 23, v58
	v_or3_b32 v11, v10, v19, v11
.LBB4_2462:                             ;   in Loop: Header=BB4_1738 Depth=2
	s_or_b64 exec, exec, s[92:93]
.LBB4_2463:                             ;   in Loop: Header=BB4_1738 Depth=2
	s_or_b64 exec, exec, s[90:91]
.LBB4_2464:                             ;   in Loop: Header=BB4_1738 Depth=2
	s_or_b64 exec, exec, s[22:23]
	v_lshrrev_b32_e32 v10, 16, v13
	v_cmp_gt_i16_sdwa s[90:91], v10, s51 src0_sel:BYTE_0 src1_sel:DWORD
	s_mov_b64 s[22:23], 0
	s_and_saveexec_b64 s[92:93], s[90:91]
	s_xor_b64 s[90:91], exec, s[92:93]
	s_cbranch_execnz .LBB4_2542
; %bb.2465:                             ;   in Loop: Header=BB4_1738 Depth=2
	s_or_saveexec_b64 s[90:91], s[90:91]
	v_bfrev_b32_e32 v19, 1
	s_xor_b64 exec, exec, s[90:91]
	s_cbranch_execnz .LBB4_2545
.LBB4_2466:                             ;   in Loop: Header=BB4_1738 Depth=2
	s_or_b64 exec, exec, s[90:91]
	s_and_saveexec_b64 s[90:91], s[22:23]
	s_cbranch_execz .LBB4_2468
.LBB4_2467:                             ;   in Loop: Header=BB4_1738 Depth=2
	v_and_b32_e32 v19, 7, v10
	v_ffbh_u32_e32 v28, v19
	v_min_u32_e32 v33, 32, v28
	v_subrev_u32_e32 v28, 28, v33
	v_lshlrev_b64 v[28:29], v28, v[10:11]
	v_and_b32_e32 v22, 0x7f, v10
	v_bfe_u32 v32, v10, 3, 4
	v_sub_u32_e32 v29, 29, v33
	v_and_b32_e32 v28, 7, v28
	v_cmp_gt_u32_e32 vcc, 8, v22
	v_cndmask_b32_e32 v29, v32, v29, vcc
	v_cndmask_b32_e32 v19, v19, v28, vcc
	v_lshlrev_b32_e32 v10, 24, v10
	v_lshlrev_b32_e32 v19, 20, v19
	v_and_b32_e32 v10, 0x80000000, v10
	v_lshl_add_u32 v28, v29, 23, v58
	v_or3_b32 v10, v10, v28, v19
	v_cmp_ne_u32_e32 vcc, s51, v22
	v_cndmask_b32_e32 v19, v52, v10, vcc
.LBB4_2468:                             ;   in Loop: Header=BB4_1738 Depth=2
	s_or_b64 exec, exec, s[90:91]
	v_add_f32_e32 v10, v11, v19
	v_and_b32_e32 v28, 0x7f800000, v10
	v_mov_b32_e32 v29, v37
	v_cmp_ne_u64_e32 vcc, s[56:57], v[28:29]
                                        ; implicit-def: $vgpr19
	s_and_saveexec_b64 s[22:23], vcc
	s_xor_b64 s[90:91], exec, s[22:23]
	s_cbranch_execz .LBB4_2482
; %bb.2469:                             ;   in Loop: Header=BB4_1738 Depth=2
	v_and_b32_e32 v28, 0x7fffffff, v10
	v_mov_b32_e32 v29, v37
	v_cmp_gt_u64_e32 vcc, s[58:59], v[28:29]
	v_and_b32_sdwa v22, v10, s53 dst_sel:DWORD dst_unused:UNUSED_PAD src0_sel:BYTE_3 src1_sel:DWORD
                                        ; implicit-def: $vgpr19
	s_and_saveexec_b64 s[22:23], vcc
	s_xor_b64 s[92:93], exec, s[22:23]
	s_cbranch_execz .LBB4_2479
; %bb.2470:                             ;   in Loop: Header=BB4_1738 Depth=2
	v_mov_b32_e32 v19, 0
	v_cmp_ne_u32_e32 vcc, 0, v10
	s_and_saveexec_b64 s[94:95], vcc
	s_cbranch_execz .LBB4_2478
; %bb.2471:                             ;   in Loop: Header=BB4_1738 Depth=2
	v_bfe_u32 v19, v10, 23, 8
	v_and_b32_e32 v11, 0x7fffff, v10
	v_cmp_gt_u32_e64 s[22:23], s54, v19
	v_sub_u32_e32 v10, 0x79, v19
	v_cmp_eq_u32_e32 vcc, 0, v19
	v_cndmask_b32_e64 v10, 0, v10, s[22:23]
	v_or_b32_e32 v29, 0x800000, v11
	v_cndmask_b32_e32 v28, v10, v31, vcc
	v_cndmask_b32_e32 v10, v29, v11, vcc
	v_add_u32_e32 v29, 20, v28
	v_lshlrev_b64 v[32:33], v29, -1
	v_mov_b32_e32 v11, v37
	v_add_u32_e32 v29, 19, v28
	v_bfi_b32 v32, v32, 0, v10
	v_lshlrev_b64 v[34:35], v29, 1
	v_lshrrev_b64 v[10:11], v28, v[10:11]
	v_bfi_b32 v33, v33, 0, 0
	v_cmp_eq_u64_e64 s[22:23], v[32:33], v[34:35]
	v_mov_b32_e32 v41, v11
	v_mov_b32_e32 v40, v10
	s_and_saveexec_b64 s[30:31], s[22:23]
; %bb.2472:                             ;   in Loop: Header=BB4_1738 Depth=2
	v_bfe_u32 v11, v10, 20, 1
	v_add_co_u32_e64 v11, s[22:23], v10, v11
	v_add_co_u32_e64 v40, s[22:23], -1, v11
; %bb.2473:                             ;   in Loop: Header=BB4_1738 Depth=2
	s_or_b64 exec, exec, s[30:31]
	v_add_u32_e32 v11, 0xffffff81, v19
	v_cndmask_b32_e32 v11, v11, v62, vcc
	v_lshrrev_b32_e32 v19, 23, v10
	v_add3_u32 v29, v28, v11, v19
	v_add_u32_e32 v28, 6, v29
	v_and_b32_e32 v11, 0xfffff, v40
	v_add_u32_e32 v10, v11, v10
	v_mov_b32_e32 v11, v37
	v_cmp_ne_u32_e32 vcc, 0, v28
                                        ; implicit-def: $vgpr19
	s_and_saveexec_b64 s[22:23], vcc
	s_xor_b64 s[22:23], exec, s[22:23]
; %bb.2474:                             ;   in Loop: Header=BB4_1738 Depth=2
	v_cmp_lt_u64_e32 vcc, s[60:61], v[10:11]
	v_add_u32_e32 v19, 7, v29
	v_cndmask_b32_e32 v19, v28, v19, vcc
	v_cndmask_b32_e64 v28, 0, 1, vcc
	v_lshrrev_b64 v[10:11], v28, v[10:11]
; %bb.2475:                             ;   in Loop: Header=BB4_1738 Depth=2
	s_andn2_saveexec_b64 s[22:23], s[22:23]
; %bb.2476:                             ;   in Loop: Header=BB4_1738 Depth=2
	v_bfe_u32 v19, v10, 23, 1
; %bb.2477:                             ;   in Loop: Header=BB4_1738 Depth=2
	s_or_b64 exec, exec, s[22:23]
	v_lshrrev_b64 v[10:11], 20, v[10:11]
	v_cmp_gt_i32_e32 vcc, 16, v19
	v_cndmask_b32_e32 v11, 0, v11, vcc
	v_cndmask_b32_e32 v10, 7, v10, vcc
	v_cmp_eq_u64_e64 s[22:23], 0, v[10:11]
	v_min_i32_e32 v11, 15, v19
	v_lshlrev_b32_e32 v11, 3, v11
	v_cmp_eq_u32_e32 vcc, 0, v19
	v_and_b32_e32 v11, 0xf8, v11
	v_and_or_b32 v10, v10, 7, v11
	s_and_b64 s[22:23], vcc, s[22:23]
	v_cndmask_b32_e64 v10, v10, 0, s[22:23]
	v_or_b32_e32 v19, v10, v22
.LBB4_2478:                             ;   in Loop: Header=BB4_1738 Depth=2
	s_or_b64 exec, exec, s[94:95]
                                        ; implicit-def: $vgpr22
.LBB4_2479:                             ;   in Loop: Header=BB4_1738 Depth=2
	s_andn2_saveexec_b64 s[22:23], s[92:93]
; %bb.2480:                             ;   in Loop: Header=BB4_1738 Depth=2
	v_or_b32_e32 v19, 0x7e, v22
; %bb.2481:                             ;   in Loop: Header=BB4_1738 Depth=2
	s_or_b64 exec, exec, s[22:23]
                                        ; implicit-def: $vgpr10
.LBB4_2482:                             ;   in Loop: Header=BB4_1738 Depth=2
	s_andn2_saveexec_b64 s[22:23], s[90:91]
; %bb.2483:                             ;   in Loop: Header=BB4_1738 Depth=2
	v_or_b32_sdwa v19, v10, s51 dst_sel:DWORD dst_unused:UNUSED_PAD src0_sel:BYTE_3 src1_sel:DWORD
; %bb.2484:                             ;   in Loop: Header=BB4_1738 Depth=2
	s_or_b64 exec, exec, s[22:23]
	v_cmp_lt_u32_e32 vcc, s63, v36
	v_mov_b32_e32 v11, 0
	s_and_saveexec_b64 s[22:23], vcc
	s_cbranch_execz .LBB4_2490
; %bb.2485:                             ;   in Loop: Header=BB4_1738 Depth=2
	v_lshrrev_b32_e32 v10, 24, v36
	v_cmp_ne_u32_sdwa s[92:93], v36, s53 src0_sel:BYTE_3 src1_sel:DWORD
	v_bfrev_b32_e32 v11, 1
	s_and_saveexec_b64 s[90:91], s[92:93]
	s_cbranch_execz .LBB4_2489
; %bb.2486:                             ;   in Loop: Header=BB4_1738 Depth=2
	v_bfe_u32 v22, v36, 24, 7
	v_cmp_ne_u32_e32 vcc, s51, v22
	v_mov_b32_e32 v11, 0x7f800001
	s_and_saveexec_b64 s[92:93], vcc
	s_cbranch_execz .LBB4_2488
; %bb.2487:                             ;   in Loop: Header=BB4_1738 Depth=2
	v_and_b32_e32 v28, 7, v10
	v_ffbh_u32_e32 v11, v28
	v_lshrrev_b32_e32 v29, 3, v22
	v_cmp_gt_u32_e32 vcc, 8, v22
	v_min_u32_e32 v22, 32, v11
	v_subrev_u32_e32 v11, 28, v22
	v_lshlrev_b64 v[10:11], v11, v[10:11]
	v_sub_u32_e32 v11, 29, v22
	v_and_b32_e32 v10, 7, v10
	v_mov_b32_e32 v22, 24
	v_cndmask_b32_e32 v11, v29, v11, vcc
	v_cndmask_b32_e32 v10, v28, v10, vcc
	v_lshlrev_b32_sdwa v22, v22, v36 dst_sel:DWORD dst_unused:UNUSED_PAD src0_sel:DWORD src1_sel:BYTE_3
	v_lshlrev_b32_e32 v10, 20, v10
	v_and_b32_e32 v22, 0x80000000, v22
	v_lshl_add_u32 v11, v11, 23, v58
	v_or3_b32 v11, v22, v11, v10
.LBB4_2488:                             ;   in Loop: Header=BB4_1738 Depth=2
	s_or_b64 exec, exec, s[92:93]
.LBB4_2489:                             ;   in Loop: Header=BB4_1738 Depth=2
	s_or_b64 exec, exec, s[90:91]
.LBB4_2490:                             ;   in Loop: Header=BB4_1738 Depth=2
	s_or_b64 exec, exec, s[22:23]
	v_bfe_u32 v22, v13, 24, 3
	v_ffbh_u32_e32 v28, v22
	v_min_u32_e32 v34, 32, v28
	v_lshrrev_b32_e32 v10, 24, v13
	v_subrev_u32_e32 v28, 28, v34
	v_lshlrev_b64 v[28:29], v28, v[10:11]
	v_bfe_u32 v32, v13, 24, 7
	v_bfe_u32 v33, v10, 3, 4
	v_sub_u32_e32 v29, 29, v34
	v_and_b32_e32 v28, 7, v28
	v_cmp_gt_u32_e32 vcc, 8, v32
	v_cndmask_b32_e32 v29, v33, v29, vcc
	v_cndmask_b32_e32 v22, v22, v28, vcc
	v_lshlrev_b32_e32 v22, 20, v22
	v_and_b32_e32 v28, 0x80000000, v13
	v_lshl_add_u32 v29, v29, 23, v58
	v_or3_b32 v22, v28, v29, v22
	v_cmp_ne_u32_e32 vcc, s51, v32
	v_cndmask_b32_e32 v22, v52, v22, vcc
	v_cmp_ne_u32_e32 vcc, s53, v10
	v_cndmask_b32_e32 v10, v53, v22, vcc
	v_cmp_lt_u64_e32 vcc, s[62:63], v[12:13]
	v_cndmask_b32_e32 v10, 0, v10, vcc
	v_add_f32_e32 v11, v10, v11
	v_and_b32_e32 v36, 0x7f800000, v11
	v_cmp_ne_u64_e32 vcc, s[56:57], v[36:37]
                                        ; implicit-def: $vgpr10
	s_and_saveexec_b64 s[22:23], vcc
	s_xor_b64 s[90:91], exec, s[22:23]
	s_cbranch_execz .LBB4_2504
; %bb.2491:                             ;   in Loop: Header=BB4_1738 Depth=2
	v_and_b32_e32 v36, 0x7fffffff, v11
	v_cmp_gt_u64_e32 vcc, s[58:59], v[36:37]
	v_and_b32_sdwa v13, v11, s53 dst_sel:DWORD dst_unused:UNUSED_PAD src0_sel:BYTE_3 src1_sel:DWORD
                                        ; implicit-def: $vgpr10
	s_and_saveexec_b64 s[22:23], vcc
	s_xor_b64 s[92:93], exec, s[22:23]
	s_cbranch_execz .LBB4_2501
; %bb.2492:                             ;   in Loop: Header=BB4_1738 Depth=2
	v_mov_b32_e32 v10, 0
	v_cmp_ne_u32_e32 vcc, 0, v11
	s_and_saveexec_b64 s[94:95], vcc
	s_cbranch_execz .LBB4_2500
; %bb.2493:                             ;   in Loop: Header=BB4_1738 Depth=2
	v_bfe_u32 v22, v11, 23, 8
	v_and_b32_e32 v10, 0x7fffff, v11
	v_cmp_gt_u32_e64 s[22:23], s54, v22
	v_sub_u32_e32 v11, 0x79, v22
	v_cmp_eq_u32_e32 vcc, 0, v22
	v_cndmask_b32_e64 v11, 0, v11, s[22:23]
	v_or_b32_e32 v12, 0x800000, v10
	v_cndmask_b32_e32 v28, v11, v31, vcc
	v_cndmask_b32_e32 v36, v12, v10, vcc
	v_add_u32_e32 v10, 20, v28
	v_lshlrev_b64 v[10:11], v10, -1
	v_add_u32_e32 v12, 19, v28
	v_lshlrev_b64 v[32:33], v12, 1
	v_bfi_b32 v11, v11, 0, 0
	v_bfi_b32 v10, v10, 0, v36
	v_cmp_eq_u64_e64 s[22:23], v[10:11], v[32:33]
	v_lshrrev_b64 v[10:11], v28, v[36:37]
	v_mov_b32_e32 v12, v11
	v_mov_b32_e32 v11, v10
	s_and_saveexec_b64 s[30:31], s[22:23]
; %bb.2494:                             ;   in Loop: Header=BB4_1738 Depth=2
	v_bfe_u32 v11, v10, 20, 1
	v_add_co_u32_e64 v11, s[22:23], v10, v11
	v_add_co_u32_e64 v11, s[22:23], -1, v11
; %bb.2495:                             ;   in Loop: Header=BB4_1738 Depth=2
	s_or_b64 exec, exec, s[30:31]
	v_add_u32_e32 v12, 0xffffff81, v22
	v_cndmask_b32_e32 v12, v12, v62, vcc
	v_lshrrev_b32_e32 v22, 23, v10
	v_add3_u32 v28, v28, v12, v22
	v_add_u32_e32 v22, 6, v28
	v_and_b32_e32 v11, 0xfffff, v11
	v_add_u32_e32 v36, v11, v10
	v_cmp_ne_u32_e32 vcc, 0, v22
                                        ; implicit-def: $vgpr10_vgpr11
                                        ; implicit-def: $vgpr12
	s_and_saveexec_b64 s[22:23], vcc
	s_xor_b64 s[22:23], exec, s[22:23]
; %bb.2496:                             ;   in Loop: Header=BB4_1738 Depth=2
	v_cmp_lt_u64_e32 vcc, s[60:61], v[36:37]
	v_add_u32_e32 v10, 7, v28
	v_cndmask_b32_e32 v12, v22, v10, vcc
	v_cndmask_b32_e64 v10, 0, 1, vcc
	v_lshrrev_b64 v[10:11], v10, v[36:37]
; %bb.2497:                             ;   in Loop: Header=BB4_1738 Depth=2
	s_andn2_saveexec_b64 s[22:23], s[22:23]
; %bb.2498:                             ;   in Loop: Header=BB4_1738 Depth=2
	v_mov_b32_e32 v10, v36
	v_bfe_u32 v12, v36, 23, 1
	v_mov_b32_e32 v11, v37
; %bb.2499:                             ;   in Loop: Header=BB4_1738 Depth=2
	s_or_b64 exec, exec, s[22:23]
	v_lshrrev_b64 v[10:11], 20, v[10:11]
	v_cmp_gt_i32_e32 vcc, 16, v12
	v_cndmask_b32_e32 v11, 0, v11, vcc
	v_cndmask_b32_e32 v10, 7, v10, vcc
	v_cmp_eq_u64_e64 s[22:23], 0, v[10:11]
	v_min_i32_e32 v11, 15, v12
	v_lshlrev_b32_e32 v11, 3, v11
	v_cmp_eq_u32_e32 vcc, 0, v12
	v_and_b32_e32 v11, 0xf8, v11
	v_and_or_b32 v10, v10, 7, v11
	s_and_b64 s[22:23], vcc, s[22:23]
	v_cndmask_b32_e64 v10, v10, 0, s[22:23]
	v_or_b32_e32 v10, v10, v13
.LBB4_2500:                             ;   in Loop: Header=BB4_1738 Depth=2
	s_or_b64 exec, exec, s[94:95]
                                        ; implicit-def: $vgpr13
.LBB4_2501:                             ;   in Loop: Header=BB4_1738 Depth=2
	s_andn2_saveexec_b64 s[22:23], s[92:93]
; %bb.2502:                             ;   in Loop: Header=BB4_1738 Depth=2
	v_or_b32_e32 v10, 0x7e, v13
; %bb.2503:                             ;   in Loop: Header=BB4_1738 Depth=2
	s_or_b64 exec, exec, s[22:23]
                                        ; implicit-def: $vgpr11
.LBB4_2504:                             ;   in Loop: Header=BB4_1738 Depth=2
	s_andn2_saveexec_b64 s[22:23], s[90:91]
	s_cbranch_execz .LBB4_1737
; %bb.2505:                             ;   in Loop: Header=BB4_1738 Depth=2
	v_or_b32_sdwa v10, v11, s51 dst_sel:DWORD dst_unused:UNUSED_PAD src0_sel:BYTE_3 src1_sel:DWORD
	s_branch .LBB4_1737
.LBB4_2506:                             ;   in Loop: Header=BB4_1738 Depth=2
	v_cmp_eq_u16_sdwa s[94:95], v10, s53 src0_sel:BYTE_0 src1_sel:DWORD
	s_mov_b64 s[22:23], -1
	s_and_saveexec_b64 s[92:93], s[94:95]
; %bb.2507:                             ;   in Loop: Header=BB4_1738 Depth=2
	s_xor_b64 s[22:23], exec, -1
; %bb.2508:                             ;   in Loop: Header=BB4_1738 Depth=2
	s_or_b64 exec, exec, s[92:93]
	s_and_b64 s[22:23], s[22:23], exec
	s_or_saveexec_b64 s[90:91], s[90:91]
	v_bfrev_b32_e32 v2, 1
	s_xor_b64 exec, exec, s[90:91]
	s_cbranch_execz .LBB4_2106
.LBB4_2509:                             ;   in Loop: Header=BB4_1738 Depth=2
	v_cmp_ne_u16_sdwa s[92:93], v10, v37 src0_sel:BYTE_0 src1_sel:DWORD
	s_andn2_b64 s[22:23], s[22:23], exec
	s_and_b64 s[92:93], s[92:93], exec
	v_mov_b32_e32 v2, 0
	s_or_b64 s[22:23], s[22:23], s[92:93]
	s_or_b64 exec, exec, s[90:91]
	s_and_saveexec_b64 s[90:91], s[22:23]
	s_cbranch_execnz .LBB4_2107
	s_branch .LBB4_2108
.LBB4_2510:                             ;   in Loop: Header=BB4_1738 Depth=2
	v_cmp_eq_u16_e32 vcc, s53, v40
	s_mov_b64 s[22:23], -1
	s_and_saveexec_b64 s[92:93], vcc
; %bb.2511:                             ;   in Loop: Header=BB4_1738 Depth=2
	s_xor_b64 s[22:23], exec, -1
; %bb.2512:                             ;   in Loop: Header=BB4_1738 Depth=2
	s_or_b64 exec, exec, s[92:93]
	s_and_b64 s[22:23], s[22:23], exec
	s_or_saveexec_b64 s[90:91], s[90:91]
	v_bfrev_b32_e32 v7, 1
	s_xor_b64 exec, exec, s[90:91]
	s_cbranch_execz .LBB4_2132
.LBB4_2513:                             ;   in Loop: Header=BB4_1738 Depth=2
	v_cmp_ne_u16_e32 vcc, 0, v40
	s_andn2_b64 s[22:23], s[22:23], exec
	s_and_b64 s[92:93], vcc, exec
	v_mov_b32_e32 v7, 0
	s_or_b64 s[22:23], s[22:23], s[92:93]
	s_or_b64 exec, exec, s[90:91]
	s_and_saveexec_b64 s[90:91], s[22:23]
	s_cbranch_execnz .LBB4_2133
	s_branch .LBB4_2134
.LBB4_2514:                             ;   in Loop: Header=BB4_1738 Depth=2
	v_cmp_eq_u16_sdwa s[94:95], v30, s53 src0_sel:BYTE_0 src1_sel:DWORD
	s_mov_b64 s[22:23], -1
	s_and_saveexec_b64 s[92:93], s[94:95]
; %bb.2515:                             ;   in Loop: Header=BB4_1738 Depth=2
	s_xor_b64 s[22:23], exec, -1
; %bb.2516:                             ;   in Loop: Header=BB4_1738 Depth=2
	s_or_b64 exec, exec, s[92:93]
	s_and_b64 s[22:23], s[22:23], exec
	s_or_saveexec_b64 s[90:91], s[90:91]
	v_bfrev_b32_e32 v23, 1
	s_xor_b64 exec, exec, s[90:91]
	s_cbranch_execz .LBB4_2158
.LBB4_2517:                             ;   in Loop: Header=BB4_1738 Depth=2
	v_cmp_ne_u16_sdwa s[92:93], v30, v37 src0_sel:BYTE_0 src1_sel:DWORD
	s_andn2_b64 s[22:23], s[22:23], exec
	s_and_b64 s[92:93], s[92:93], exec
	v_mov_b32_e32 v23, 0
	s_or_b64 s[22:23], s[22:23], s[92:93]
	s_or_b64 exec, exec, s[90:91]
	s_and_saveexec_b64 s[90:91], s[22:23]
	s_cbranch_execnz .LBB4_2159
	s_branch .LBB4_2160
.LBB4_2518:                             ;   in Loop: Header=BB4_1738 Depth=2
	v_cmp_eq_u16_e32 vcc, s53, v40
	s_mov_b64 s[22:23], -1
	s_and_saveexec_b64 s[92:93], vcc
; %bb.2519:                             ;   in Loop: Header=BB4_1738 Depth=2
	s_xor_b64 s[22:23], exec, -1
; %bb.2520:                             ;   in Loop: Header=BB4_1738 Depth=2
	s_or_b64 exec, exec, s[92:93]
	s_and_b64 s[22:23], s[22:23], exec
	s_or_saveexec_b64 s[90:91], s[90:91]
	v_bfrev_b32_e32 v25, 1
	s_xor_b64 exec, exec, s[90:91]
	s_cbranch_execz .LBB4_2236
.LBB4_2521:                             ;   in Loop: Header=BB4_1738 Depth=2
	v_cmp_ne_u16_e32 vcc, 0, v40
	s_andn2_b64 s[22:23], s[22:23], exec
	s_and_b64 s[92:93], vcc, exec
	v_mov_b32_e32 v25, 0
	s_or_b64 s[22:23], s[22:23], s[92:93]
	s_or_b64 exec, exec, s[90:91]
	s_and_saveexec_b64 s[90:91], s[22:23]
	s_cbranch_execnz .LBB4_2237
	s_branch .LBB4_2238
.LBB4_2522:                             ;   in Loop: Header=BB4_1738 Depth=2
	v_cmp_eq_u16_sdwa s[94:95], v30, s53 src0_sel:BYTE_0 src1_sel:DWORD
	s_mov_b64 s[22:23], -1
	s_and_saveexec_b64 s[92:93], s[94:95]
; %bb.2523:                             ;   in Loop: Header=BB4_1738 Depth=2
	s_xor_b64 s[22:23], exec, -1
; %bb.2524:                             ;   in Loop: Header=BB4_1738 Depth=2
	s_or_b64 exec, exec, s[92:93]
	s_and_b64 s[22:23], s[22:23], exec
	s_or_saveexec_b64 s[90:91], s[90:91]
	v_bfrev_b32_e32 v28, 1
	s_xor_b64 exec, exec, s[90:91]
	s_cbranch_execz .LBB4_2262
.LBB4_2525:                             ;   in Loop: Header=BB4_1738 Depth=2
	v_cmp_ne_u16_sdwa s[92:93], v30, v37 src0_sel:BYTE_0 src1_sel:DWORD
	s_andn2_b64 s[22:23], s[22:23], exec
	s_and_b64 s[92:93], s[92:93], exec
	v_mov_b32_e32 v28, 0
	s_or_b64 s[22:23], s[22:23], s[92:93]
	s_or_b64 exec, exec, s[90:91]
	s_and_saveexec_b64 s[90:91], s[22:23]
	s_cbranch_execnz .LBB4_2263
	s_branch .LBB4_2264
.LBB4_2526:                             ;   in Loop: Header=BB4_1738 Depth=2
	v_cmp_eq_u16_sdwa s[94:95], v12, s53 src0_sel:BYTE_0 src1_sel:DWORD
	s_mov_b64 s[22:23], -1
	s_and_saveexec_b64 s[92:93], s[94:95]
; %bb.2527:                             ;   in Loop: Header=BB4_1738 Depth=2
	s_xor_b64 s[22:23], exec, -1
; %bb.2528:                             ;   in Loop: Header=BB4_1738 Depth=2
	s_or_b64 exec, exec, s[92:93]
	s_and_b64 s[22:23], s[22:23], exec
	s_or_saveexec_b64 s[90:91], s[90:91]
	v_bfrev_b32_e32 v8, 1
	s_xor_b64 exec, exec, s[90:91]
	s_cbranch_execz .LBB4_2310
.LBB4_2529:                             ;   in Loop: Header=BB4_1738 Depth=2
	v_cmp_ne_u16_sdwa s[92:93], v12, v37 src0_sel:BYTE_0 src1_sel:DWORD
	s_andn2_b64 s[22:23], s[22:23], exec
	s_and_b64 s[92:93], s[92:93], exec
	v_mov_b32_e32 v8, 0
	s_or_b64 s[22:23], s[22:23], s[92:93]
	s_or_b64 exec, exec, s[90:91]
	s_and_saveexec_b64 s[90:91], s[22:23]
	s_cbranch_execnz .LBB4_2311
	s_branch .LBB4_2312
.LBB4_2530:                             ;   in Loop: Header=BB4_1738 Depth=2
	v_cmp_eq_u16_e32 vcc, s53, v10
	s_mov_b64 s[22:23], -1
	s_and_saveexec_b64 s[92:93], vcc
; %bb.2531:                             ;   in Loop: Header=BB4_1738 Depth=2
	s_xor_b64 s[22:23], exec, -1
; %bb.2532:                             ;   in Loop: Header=BB4_1738 Depth=2
	s_or_b64 exec, exec, s[92:93]
	s_and_b64 s[22:23], s[22:23], exec
	s_or_saveexec_b64 s[90:91], s[90:91]
	v_bfrev_b32_e32 v11, 1
	s_xor_b64 exec, exec, s[90:91]
	s_cbranch_execz .LBB4_2336
.LBB4_2533:                             ;   in Loop: Header=BB4_1738 Depth=2
	v_cmp_ne_u16_e32 vcc, 0, v10
	s_andn2_b64 s[22:23], s[22:23], exec
	s_and_b64 s[92:93], vcc, exec
	v_mov_b32_e32 v11, 0
	s_or_b64 s[22:23], s[22:23], s[92:93]
	s_or_b64 exec, exec, s[90:91]
	s_and_saveexec_b64 s[90:91], s[22:23]
	s_cbranch_execnz .LBB4_2337
	s_branch .LBB4_2338
.LBB4_2534:                             ;   in Loop: Header=BB4_1738 Depth=2
	v_cmp_eq_u16_sdwa s[94:95], v10, s53 src0_sel:BYTE_0 src1_sel:DWORD
	s_mov_b64 s[22:23], -1
	s_and_saveexec_b64 s[92:93], s[94:95]
; %bb.2535:                             ;   in Loop: Header=BB4_1738 Depth=2
	s_xor_b64 s[22:23], exec, -1
; %bb.2536:                             ;   in Loop: Header=BB4_1738 Depth=2
	s_or_b64 exec, exec, s[92:93]
	s_and_b64 s[22:23], s[22:23], exec
	s_or_saveexec_b64 s[90:91], s[90:91]
	v_bfrev_b32_e32 v24, 1
	s_xor_b64 exec, exec, s[90:91]
	s_cbranch_execz .LBB4_2362
.LBB4_2537:                             ;   in Loop: Header=BB4_1738 Depth=2
	v_cmp_ne_u16_sdwa s[92:93], v10, v37 src0_sel:BYTE_0 src1_sel:DWORD
	s_andn2_b64 s[22:23], s[22:23], exec
	s_and_b64 s[92:93], s[92:93], exec
	v_mov_b32_e32 v24, 0
	s_or_b64 s[22:23], s[22:23], s[92:93]
	s_or_b64 exec, exec, s[90:91]
	s_and_saveexec_b64 s[90:91], s[22:23]
	s_cbranch_execnz .LBB4_2363
	s_branch .LBB4_2364
.LBB4_2538:                             ;   in Loop: Header=BB4_1738 Depth=2
	v_cmp_eq_u16_e32 vcc, s53, v10
	s_mov_b64 s[22:23], -1
	s_and_saveexec_b64 s[92:93], vcc
; %bb.2539:                             ;   in Loop: Header=BB4_1738 Depth=2
	s_xor_b64 s[22:23], exec, -1
; %bb.2540:                             ;   in Loop: Header=BB4_1738 Depth=2
	s_or_b64 exec, exec, s[92:93]
	s_and_b64 s[22:23], s[22:23], exec
	s_or_saveexec_b64 s[90:91], s[90:91]
	v_bfrev_b32_e32 v9, 1
	s_xor_b64 exec, exec, s[90:91]
	s_cbranch_execz .LBB4_2440
.LBB4_2541:                             ;   in Loop: Header=BB4_1738 Depth=2
	v_cmp_ne_u16_e32 vcc, 0, v10
	s_andn2_b64 s[22:23], s[22:23], exec
	s_and_b64 s[92:93], vcc, exec
	v_mov_b32_e32 v9, 0
	s_or_b64 s[22:23], s[22:23], s[92:93]
	s_or_b64 exec, exec, s[90:91]
	s_and_saveexec_b64 s[90:91], s[22:23]
	s_cbranch_execnz .LBB4_2441
	s_branch .LBB4_2442
.LBB4_2542:                             ;   in Loop: Header=BB4_1738 Depth=2
	v_cmp_eq_u16_sdwa s[94:95], v10, s53 src0_sel:BYTE_0 src1_sel:DWORD
	s_mov_b64 s[22:23], -1
	s_and_saveexec_b64 s[92:93], s[94:95]
; %bb.2543:                             ;   in Loop: Header=BB4_1738 Depth=2
	s_xor_b64 s[22:23], exec, -1
; %bb.2544:                             ;   in Loop: Header=BB4_1738 Depth=2
	s_or_b64 exec, exec, s[92:93]
	s_and_b64 s[22:23], s[22:23], exec
	s_or_saveexec_b64 s[90:91], s[90:91]
	v_bfrev_b32_e32 v19, 1
	s_xor_b64 exec, exec, s[90:91]
	s_cbranch_execz .LBB4_2466
.LBB4_2545:                             ;   in Loop: Header=BB4_1738 Depth=2
	v_cmp_ne_u16_sdwa s[92:93], v10, v37 src0_sel:BYTE_0 src1_sel:DWORD
	s_andn2_b64 s[22:23], s[22:23], exec
	s_and_b64 s[92:93], s[92:93], exec
	v_mov_b32_e32 v19, 0
	s_or_b64 s[22:23], s[22:23], s[92:93]
	s_or_b64 exec, exec, s[90:91]
	s_and_saveexec_b64 s[90:91], s[22:23]
	s_cbranch_execnz .LBB4_2467
	s_branch .LBB4_2468
.LBB4_2546:                             ;   in Loop: Header=BB4_49 Depth=1
	s_or_b64 exec, exec, s[88:89]
	v_mov_b32_e32 v8, v46
	v_mov_b32_e32 v9, v47
.LBB4_2547:                             ;   in Loop: Header=BB4_49 Depth=1
	s_or_b64 exec, exec, s[78:79]
	buffer_load_dword v3, off, s[0:3], s33 offset:152 ; 4-byte Folded Reload
	v_cmp_lt_i32_e32 vcc, 0, v5
	s_waitcnt vmcnt(0)
	v_and_b32_e32 v2, 15, v3
	v_and_b32_e32 v0, 0x3f0, v3
	v_cndmask_b32_e64 v1, v1, v2, s[20:21]
	v_cndmask_b32_e32 v2, 0, v50, vcc
	v_cndmask_b32_e64 v0, 0, v0, s[20:21]
	v_sub_u32_e32 v2, v2, v5
	v_cmp_ne_u32_e32 vcc, 0, v1
	v_and_or_b32 v0, v3, s64, v0
	v_lshl_add_u32 v4, v2, 6, v4
	s_and_b64 s[20:21], vcc, exec
.LBB4_2548:                             ;   in Loop: Header=BB4_49 Depth=1
	s_or_b64 exec, exec, s[76:77]
	buffer_load_dword v47, off, s[0:3], s33 offset:160 ; 4-byte Folded Reload
	buffer_load_dword v57, off, s[0:3], s33 offset:156 ; 4-byte Folded Reload
.LBB4_2549:                             ;   in Loop: Header=BB4_49 Depth=1
	s_mov_b64 s[22:23], exec
	buffer_load_dword v56, off, s[0:3], s33 offset:136 ; 4-byte Folded Reload
	s_and_b64 s[20:21], s[22:23], s[20:21]
	s_mov_b64 exec, s[20:21]
	s_cbranch_execz .LBB4_3554
; %bb.2550:                             ;   in Loop: Header=BB4_49 Depth=1
	s_waitcnt vmcnt(2)
	v_ashrrev_i32_e32 v2, 31, v4
	v_lshrrev_b32_e32 v2, 26, v2
	v_add_u32_e32 v2, v4, v2
	v_ashrrev_i32_e32 v5, 6, v2
	v_lshrrev_b32_e32 v3, 10, v1
	v_sub_u32_e32 v18, v3, v5
	v_cmp_lt_i32_e32 vcc, 0, v18
	s_and_saveexec_b64 s[76:77], vcc
	s_cbranch_execz .LBB4_3487
; %bb.2551:                             ;   in Loop: Header=BB4_49 Depth=1
	v_and_b32_e32 v2, 0xffffffc0, v2
	v_sub_u32_e32 v2, v4, v2
	v_lshlrev_b32_e32 v3, 10, v5
	v_add3_u32 v6, v0, v2, v3
	s_trap 2
	ds_read_b64 v[2:3], v0
	v_ashrrev_i32_e32 v7, 31, v6
	v_add_co_u32_e32 v10, vcc, v6, v8
	v_addc_co_u32_e32 v11, vcc, v7, v9, vcc
	s_waitcnt lgkmcnt(0)
	v_add_co_u32_e32 v12, vcc, v2, v6
	v_addc_co_u32_e32 v13, vcc, v3, v7, vcc
	v_add_co_u32_e32 v2, vcc, 0x3c0, v44
	v_addc_co_u32_e32 v3, vcc, 0, v45, vcc
	;; [unrolled: 2-line block ×3, first 2 shown]
	s_mov_b64 s[78:79], 0
	s_branch .LBB4_2553
.LBB4_2552:                             ;   in Loop: Header=BB4_2553 Depth=2
	s_or_b64 exec, exec, s[20:21]
	v_add_co_u32_e32 v16, vcc, 0xfffffc40, v14
	v_addc_co_u32_e32 v17, vcc, -1, v15, vcc
	flat_store_byte v[16:17], v6 glc slc
	v_add_co_u32_e32 v16, vcc, 0xfffffc80, v14
	v_addc_co_u32_e32 v17, vcc, -1, v15, vcc
	flat_store_byte v[16:17], v23 glc slc
	v_add_co_u32_e32 v16, vcc, 0xfffffcc0, v14
	v_addc_co_u32_e32 v17, vcc, -1, v15, vcc
	flat_store_byte v[16:17], v34 glc slc
	v_add_co_u32_e32 v16, vcc, 0xfffffd00, v14
	v_addc_co_u32_e32 v17, vcc, -1, v15, vcc
	flat_store_byte v[16:17], v32 glc slc
	v_add_co_u32_e32 v16, vcc, 0xfffffd40, v14
	v_addc_co_u32_e32 v17, vcc, -1, v15, vcc
	flat_store_byte v[16:17], v30 glc slc
	v_add_co_u32_e32 v16, vcc, 0xfffffd80, v14
	v_addc_co_u32_e32 v17, vcc, -1, v15, vcc
	flat_store_byte v[16:17], v27 glc slc
	v_add_co_u32_e32 v16, vcc, 0xfffffdc0, v14
	v_addc_co_u32_e32 v17, vcc, -1, v15, vcc
	flat_store_byte v[16:17], v26 glc slc
	v_add_co_u32_e32 v16, vcc, 0xfffffe00, v14
	v_addc_co_u32_e32 v17, vcc, -1, v15, vcc
	flat_store_byte v[16:17], v25 glc slc
	v_add_co_u32_e32 v16, vcc, 0xfffffe40, v14
	v_addc_co_u32_e32 v17, vcc, -1, v15, vcc
	flat_store_byte v[16:17], v24 glc slc
	v_add_co_u32_e32 v16, vcc, 0xfffffe80, v14
	v_addc_co_u32_e32 v17, vcc, -1, v15, vcc
	flat_store_byte v[16:17], v21 glc slc
	v_add_co_u32_e32 v16, vcc, 0xfffffec0, v14
	v_addc_co_u32_e32 v17, vcc, -1, v15, vcc
	flat_store_byte v[16:17], v20 glc slc
	v_add_co_u32_e32 v16, vcc, 0xffffff00, v14
	v_addc_co_u32_e32 v17, vcc, -1, v15, vcc
	flat_store_byte v[16:17], v19 glc slc
	v_add_co_u32_e32 v16, vcc, 0xffffff40, v14
	v_addc_co_u32_e32 v17, vcc, -1, v15, vcc
	flat_store_byte v[16:17], v9 glc slc
	v_add_co_u32_e32 v16, vcc, 0xffffff80, v14
	v_addc_co_u32_e32 v17, vcc, -1, v15, vcc
	flat_store_byte v[16:17], v8 glc slc
	v_add_co_u32_e32 v8, vcc, s55, v14
	v_addc_co_u32_e32 v9, vcc, -1, v15, vcc
	v_add_co_u32_e32 v10, vcc, v10, v57
	v_addc_co_u32_e32 v11, vcc, 0, v11, vcc
	v_add_co_u32_e32 v12, vcc, v12, v57
	v_addc_co_u32_e32 v13, vcc, 0, v13, vcc
	v_sub_u32_e32 v18, v18, v56
	v_cmp_gt_i32_e32 vcc, 1, v18
	flat_store_byte v[8:9], v7 glc slc
	flat_store_byte v[14:15], v2 glc slc
	s_or_b64 s[78:79], vcc, s[78:79]
	v_add_co_u32_e32 v14, vcc, v14, v57
	v_addc_co_u32_e32 v15, vcc, 0, v15, vcc
	s_andn2_b64 exec, exec, s[78:79]
	s_cbranch_execz .LBB4_3486
.LBB4_2553:                             ;   Parent Loop BB4_49 Depth=1
                                        ; =>  This Inner Loop Header: Depth=2
	s_trap 2
	ds_read_b64 v[16:17], v0
	s_waitcnt lgkmcnt(0)
	v_cmp_eq_u32_sdwa s[88:89], v16, v37 src0_sel:BYTE_0 src1_sel:DWORD
	v_readfirstlane_b32 s20, v16
	v_readfirstlane_b32 s21, v17
	s_and_b64 vcc, exec, s[88:89]
	s_cbranch_vccnz .LBB4_2557
; %bb.2554:                             ;   in Loop: Header=BB4_2553 Depth=2
	v_cmp_eq_u32_sdwa s[88:89], v16, s53 src0_sel:BYTE_0 src1_sel:DWORD
	s_brev_b32 s30, 1
	s_and_b64 vcc, exec, s[88:89]
	s_cbranch_vccnz .LBB4_2558
; %bb.2555:                             ;   in Loop: Header=BB4_2553 Depth=2
	s_and_b32 s88, s20, 0x7f
	s_cmpk_eq_i32 s88, 0x7f
	s_mov_b32 s30, 0x7f800001
	s_cbranch_scc1 .LBB4_2558
; %bb.2556:                             ;   in Loop: Header=BB4_2553 Depth=2
	s_and_b32 s89, s20, 7
	s_flbit_i32_b32 s89, s89
	s_min_u32 s89, s89, 32
	s_lshr_b32 s90, s88, 3
	s_sub_i32 s91, s89, 28
	s_sub_i32 s89, 29, s89
	s_cmp_lt_u32 s88, 8
	s_cselect_b32 s88, s91, 0
	s_cselect_b32 s90, s89, s90
	s_lshl_b64 s[88:89], s[20:21], s88
	s_lshl_b32 s21, s88, 20
	s_lshl_b32 s20, s20, 24
	;; [unrolled: 1-line block ×3, first 2 shown]
	s_and_b32 s20, s20, 0x80000000
	s_add_i32 s88, s88, 0x3c000000
	s_and_b32 s21, s21, 0x700000
	s_or_b32 s20, s20, s88
	s_or_b32 s30, s20, s21
	s_branch .LBB4_2558
.LBB4_2557:                             ;   in Loop: Header=BB4_2553 Depth=2
	s_mov_b32 s30, 0
.LBB4_2558:                             ;   in Loop: Header=BB4_2553 Depth=2
	flat_load_ubyte v2, v[10:11] glc slc
	v_mov_b32_e32 v3, 0
	s_waitcnt vmcnt(0) lgkmcnt(0)
	v_cmp_ne_u16_e32 vcc, 0, v2
	s_and_saveexec_b64 s[20:21], vcc
	s_cbranch_execz .LBB4_2564
; %bb.2559:                             ;   in Loop: Header=BB4_2553 Depth=2
	v_cmp_ne_u16_e32 vcc, s53, v2
	v_bfrev_b32_e32 v3, 1
	s_and_saveexec_b64 s[88:89], vcc
	s_cbranch_execz .LBB4_2563
; %bb.2560:                             ;   in Loop: Header=BB4_2553 Depth=2
	v_and_b32_e32 v16, 0xffff, v2
	v_and_b32_e32 v6, 0x7f, v16
	v_cmp_ne_u32_e32 vcc, s51, v6
	v_mov_b32_e32 v3, 0x7f800001
	s_and_saveexec_b64 s[90:91], vcc
	s_cbranch_execz .LBB4_2562
; %bb.2561:                             ;   in Loop: Header=BB4_2553 Depth=2
	v_and_b32_e32 v3, 7, v16
	v_lshrrev_b32_e32 v8, 3, v6
	v_cmp_gt_u32_e32 vcc, 8, v6
	v_ffbh_u32_e32 v6, v3
	v_min_u32_e32 v9, 32, v6
	v_subrev_u32_e32 v6, 28, v9
	v_lshlrev_b64 v[6:7], v6, v[16:17]
	v_sub_u32_e32 v7, 29, v9
	v_and_b32_e32 v6, 7, v6
	v_cndmask_b32_e32 v7, v8, v7, vcc
	v_cndmask_b32_e32 v3, v3, v6, vcc
	v_lshlrev_b32_e32 v2, 24, v2
	v_lshlrev_b32_e32 v3, 20, v3
	v_and_b32_e32 v2, 0x80000000, v2
	v_lshl_add_u32 v6, v7, 23, v58
	v_or3_b32 v3, v2, v6, v3
.LBB4_2562:                             ;   in Loop: Header=BB4_2553 Depth=2
	s_or_b64 exec, exec, s[90:91]
.LBB4_2563:                             ;   in Loop: Header=BB4_2553 Depth=2
	s_or_b64 exec, exec, s[88:89]
.LBB4_2564:                             ;   in Loop: Header=BB4_2553 Depth=2
	s_or_b64 exec, exec, s[20:21]
	v_mul_f32_e32 v3, s30, v3
	v_and_b32_e32 v36, 0x7f800000, v3
	v_cmp_ne_u64_e32 vcc, s[56:57], v[36:37]
                                        ; implicit-def: $vgpr6
	s_and_saveexec_b64 s[20:21], vcc
	s_xor_b64 s[88:89], exec, s[20:21]
	s_cbranch_execz .LBB4_2582
; %bb.2565:                             ;   in Loop: Header=BB4_2553 Depth=2
	v_and_b32_e32 v36, 0x7fffffff, v3
	v_cmp_gt_u64_e32 vcc, s[58:59], v[36:37]
	v_and_b32_sdwa v2, v3, s53 dst_sel:DWORD dst_unused:UNUSED_PAD src0_sel:BYTE_3 src1_sel:DWORD
                                        ; implicit-def: $vgpr6
	s_and_saveexec_b64 s[20:21], vcc
	s_xor_b64 s[90:91], exec, s[20:21]
	s_cbranch_execz .LBB4_2579
; %bb.2566:                             ;   in Loop: Header=BB4_2553 Depth=2
	v_cmp_ne_u32_e32 vcc, 0, v3
	v_mov_b32_e32 v6, 0
	s_and_saveexec_b64 s[92:93], vcc
	s_cbranch_execz .LBB4_2578
; %bb.2567:                             ;   in Loop: Header=BB4_2553 Depth=2
	v_and_b32_e32 v7, 0x7fffff, v3
	v_bfe_u32 v3, v3, 23, 8
	v_cmp_gt_u32_e64 s[20:21], s54, v3
	v_sub_u32_e32 v6, 0x79, v3
	v_cmp_eq_u32_e32 vcc, 0, v3
	v_cndmask_b32_e64 v6, 0, v6, s[20:21]
	v_or_b32_e32 v8, 0x800000, v7
	v_cndmask_b32_e32 v6, v6, v31, vcc
	v_cndmask_b32_e32 v36, v8, v7, vcc
	v_add_u32_e32 v7, 20, v6
	v_lshlrev_b64 v[7:8], v7, -1
	v_add_u32_e32 v9, 19, v6
	v_lshlrev_b64 v[16:17], v9, 1
	v_bfi_b32 v8, v8, 0, 0
	v_bfi_b32 v7, v7, 0, v36
	v_cmp_eq_u64_e64 s[20:21], v[7:8], v[16:17]
	v_lshrrev_b64 v[16:17], v6, v[36:37]
	v_mov_b32_e32 v51, v17
	v_mov_b32_e32 v50, v16
	s_and_saveexec_b64 s[94:95], s[20:21]
; %bb.2568:                             ;   in Loop: Header=BB4_2553 Depth=2
	v_bfe_u32 v7, v16, 20, 1
	v_add_co_u32_e64 v7, s[20:21], v16, v7
	v_add_co_u32_e64 v50, s[20:21], -1, v7
; %bb.2569:                             ;   in Loop: Header=BB4_2553 Depth=2
	s_or_b64 exec, exec, s[94:95]
	v_add_u32_e32 v3, 0xffffff81, v3
	v_cndmask_b32_e32 v3, v3, v62, vcc
	v_lshrrev_b32_e32 v7, 23, v16
	v_add3_u32 v7, v6, v3, v7
	v_add_u32_e32 v6, 6, v7
	v_and_b32_e32 v3, 0xfffff, v50
	v_add_u32_e32 v36, v3, v16
	v_cmp_ne_u32_e32 vcc, 0, v6
                                        ; implicit-def: $vgpr16_vgpr17
                                        ; implicit-def: $vgpr3
	s_and_saveexec_b64 s[20:21], vcc
	s_xor_b64 s[20:21], exec, s[20:21]
; %bb.2570:                             ;   in Loop: Header=BB4_2553 Depth=2
	v_cmp_lt_u64_e32 vcc, s[60:61], v[36:37]
	v_add_u32_e32 v3, 7, v7
	v_cndmask_b32_e32 v3, v6, v3, vcc
	v_cndmask_b32_e64 v6, 0, 1, vcc
	v_lshrrev_b64 v[16:17], v6, v[36:37]
; %bb.2571:                             ;   in Loop: Header=BB4_2553 Depth=2
	s_andn2_saveexec_b64 s[20:21], s[20:21]
; %bb.2572:                             ;   in Loop: Header=BB4_2553 Depth=2
	v_mov_b32_e32 v16, v36
	v_bfe_u32 v3, v36, 23, 1
	v_mov_b32_e32 v17, v37
; %bb.2573:                             ;   in Loop: Header=BB4_2553 Depth=2
	s_or_b64 exec, exec, s[20:21]
	v_lshrrev_b64 v[6:7], 20, v[16:17]
	v_cmp_gt_i32_e32 vcc, 16, v3
	v_cndmask_b32_e32 v17, 0, v7, vcc
	v_cndmask_b32_e32 v16, 7, v6, vcc
	v_cmp_ne_u64_e32 vcc, 0, v[16:17]
	v_cmp_ne_u32_e64 s[20:21], 0, v3
	s_or_b64 s[20:21], s[20:21], vcc
                                        ; implicit-def: $vgpr6
	s_and_saveexec_b64 s[94:95], s[20:21]
	s_xor_b64 s[20:21], exec, s[94:95]
; %bb.2574:                             ;   in Loop: Header=BB4_2553 Depth=2
	v_min_i32_e32 v3, 15, v3
	v_lshl_or_b32 v2, v3, 3, v2
	v_and_or_b32 v6, v16, 7, v2
                                        ; implicit-def: $vgpr2
; %bb.2575:                             ;   in Loop: Header=BB4_2553 Depth=2
	s_andn2_saveexec_b64 s[20:21], s[20:21]
; %bb.2576:                             ;   in Loop: Header=BB4_2553 Depth=2
	v_mov_b32_e32 v6, v2
; %bb.2577:                             ;   in Loop: Header=BB4_2553 Depth=2
	s_or_b64 exec, exec, s[20:21]
.LBB4_2578:                             ;   in Loop: Header=BB4_2553 Depth=2
	s_or_b64 exec, exec, s[92:93]
                                        ; implicit-def: $vgpr2
.LBB4_2579:                             ;   in Loop: Header=BB4_2553 Depth=2
	s_andn2_saveexec_b64 s[20:21], s[90:91]
; %bb.2580:                             ;   in Loop: Header=BB4_2553 Depth=2
	v_or_b32_e32 v6, 0x7e, v2
; %bb.2581:                             ;   in Loop: Header=BB4_2553 Depth=2
	s_or_b64 exec, exec, s[20:21]
                                        ; implicit-def: $vgpr3
.LBB4_2582:                             ;   in Loop: Header=BB4_2553 Depth=2
	s_andn2_saveexec_b64 s[20:21], s[88:89]
; %bb.2583:                             ;   in Loop: Header=BB4_2553 Depth=2
	v_or_b32_sdwa v6, v3, s51 dst_sel:DWORD dst_unused:UNUSED_PAD src0_sel:BYTE_3 src1_sel:DWORD
; %bb.2584:                             ;   in Loop: Header=BB4_2553 Depth=2
	s_or_b64 exec, exec, s[20:21]
	flat_load_ubyte v2, v[10:11] offset:64 glc slc
	v_mov_b32_e32 v3, 0
	s_waitcnt vmcnt(0) lgkmcnt(0)
	v_cmp_ne_u16_e32 vcc, 0, v2
	s_and_saveexec_b64 s[20:21], vcc
	s_cbranch_execz .LBB4_2590
; %bb.2585:                             ;   in Loop: Header=BB4_2553 Depth=2
	v_cmp_ne_u16_e32 vcc, s53, v2
	v_bfrev_b32_e32 v3, 1
	s_and_saveexec_b64 s[88:89], vcc
	s_cbranch_execz .LBB4_2589
; %bb.2586:                             ;   in Loop: Header=BB4_2553 Depth=2
	v_and_b32_e32 v16, 0xffff, v2
	v_and_b32_e32 v7, 0x7f, v16
	v_cmp_ne_u32_e32 vcc, s51, v7
	v_mov_b32_e32 v3, 0x7f800001
	s_and_saveexec_b64 s[90:91], vcc
	s_cbranch_execz .LBB4_2588
; %bb.2587:                             ;   in Loop: Header=BB4_2553 Depth=2
	v_and_b32_e32 v3, 7, v16
	v_lshrrev_b32_e32 v9, 3, v7
	v_cmp_gt_u32_e32 vcc, 8, v7
	v_ffbh_u32_e32 v7, v3
	v_min_u32_e32 v17, 32, v7
	v_subrev_u32_e32 v7, 28, v17
	v_lshlrev_b64 v[7:8], v7, v[16:17]
	v_sub_u32_e32 v8, 29, v17
	v_and_b32_e32 v7, 7, v7
	v_cndmask_b32_e32 v8, v9, v8, vcc
	v_cndmask_b32_e32 v3, v3, v7, vcc
	v_lshlrev_b32_e32 v2, 24, v2
	v_lshlrev_b32_e32 v3, 20, v3
	v_and_b32_e32 v2, 0x80000000, v2
	v_lshl_add_u32 v7, v8, 23, v58
	v_or3_b32 v3, v2, v7, v3
.LBB4_2588:                             ;   in Loop: Header=BB4_2553 Depth=2
	s_or_b64 exec, exec, s[90:91]
.LBB4_2589:                             ;   in Loop: Header=BB4_2553 Depth=2
	s_or_b64 exec, exec, s[88:89]
.LBB4_2590:                             ;   in Loop: Header=BB4_2553 Depth=2
	s_or_b64 exec, exec, s[20:21]
	v_mul_f32_e32 v3, s30, v3
	v_and_b32_e32 v36, 0x7f800000, v3
	v_cmp_ne_u64_e32 vcc, s[56:57], v[36:37]
                                        ; implicit-def: $vgpr23
	s_and_saveexec_b64 s[20:21], vcc
	s_xor_b64 s[88:89], exec, s[20:21]
	s_cbranch_execz .LBB4_2608
; %bb.2591:                             ;   in Loop: Header=BB4_2553 Depth=2
	v_and_b32_e32 v36, 0x7fffffff, v3
	v_cmp_gt_u64_e32 vcc, s[58:59], v[36:37]
	v_and_b32_sdwa v2, v3, s53 dst_sel:DWORD dst_unused:UNUSED_PAD src0_sel:BYTE_3 src1_sel:DWORD
                                        ; implicit-def: $vgpr23
	s_and_saveexec_b64 s[20:21], vcc
	s_xor_b64 s[90:91], exec, s[20:21]
	s_cbranch_execz .LBB4_2605
; %bb.2592:                             ;   in Loop: Header=BB4_2553 Depth=2
	v_cmp_ne_u32_e32 vcc, 0, v3
	v_mov_b32_e32 v23, 0
	s_and_saveexec_b64 s[92:93], vcc
	s_cbranch_execz .LBB4_2604
; %bb.2593:                             ;   in Loop: Header=BB4_2553 Depth=2
	v_and_b32_e32 v8, 0x7fffff, v3
	v_bfe_u32 v3, v3, 23, 8
	v_cmp_gt_u32_e64 s[20:21], s54, v3
	v_sub_u32_e32 v7, 0x79, v3
	v_cmp_eq_u32_e32 vcc, 0, v3
	v_cndmask_b32_e64 v7, 0, v7, s[20:21]
	v_or_b32_e32 v9, 0x800000, v8
	v_cndmask_b32_e32 v7, v7, v31, vcc
	v_cndmask_b32_e32 v36, v9, v8, vcc
	v_add_u32_e32 v8, 20, v7
	v_lshlrev_b64 v[8:9], v8, -1
	v_add_u32_e32 v16, 19, v7
	v_lshlrev_b64 v[16:17], v16, 1
	v_bfi_b32 v9, v9, 0, 0
	v_bfi_b32 v8, v8, 0, v36
	v_cmp_eq_u64_e64 s[20:21], v[8:9], v[16:17]
	v_lshrrev_b64 v[16:17], v7, v[36:37]
	v_mov_b32_e32 v51, v17
	v_mov_b32_e32 v50, v16
	s_and_saveexec_b64 s[94:95], s[20:21]
; %bb.2594:                             ;   in Loop: Header=BB4_2553 Depth=2
	v_bfe_u32 v8, v16, 20, 1
	v_add_co_u32_e64 v8, s[20:21], v16, v8
	v_add_co_u32_e64 v50, s[20:21], -1, v8
; %bb.2595:                             ;   in Loop: Header=BB4_2553 Depth=2
	s_or_b64 exec, exec, s[94:95]
	v_add_u32_e32 v3, 0xffffff81, v3
	v_cndmask_b32_e32 v3, v3, v62, vcc
	v_lshrrev_b32_e32 v8, 23, v16
	v_add3_u32 v8, v7, v3, v8
	v_add_u32_e32 v7, 6, v8
	v_and_b32_e32 v3, 0xfffff, v50
	v_add_u32_e32 v36, v3, v16
	v_cmp_ne_u32_e32 vcc, 0, v7
                                        ; implicit-def: $vgpr16_vgpr17
                                        ; implicit-def: $vgpr3
	s_and_saveexec_b64 s[20:21], vcc
	s_xor_b64 s[20:21], exec, s[20:21]
; %bb.2596:                             ;   in Loop: Header=BB4_2553 Depth=2
	v_cmp_lt_u64_e32 vcc, s[60:61], v[36:37]
	v_add_u32_e32 v3, 7, v8
	v_cndmask_b32_e32 v3, v7, v3, vcc
	v_cndmask_b32_e64 v7, 0, 1, vcc
	v_lshrrev_b64 v[16:17], v7, v[36:37]
; %bb.2597:                             ;   in Loop: Header=BB4_2553 Depth=2
	s_andn2_saveexec_b64 s[20:21], s[20:21]
; %bb.2598:                             ;   in Loop: Header=BB4_2553 Depth=2
	v_mov_b32_e32 v16, v36
	v_bfe_u32 v3, v36, 23, 1
	v_mov_b32_e32 v17, v37
; %bb.2599:                             ;   in Loop: Header=BB4_2553 Depth=2
	s_or_b64 exec, exec, s[20:21]
	v_lshrrev_b64 v[7:8], 20, v[16:17]
	v_cmp_gt_i32_e32 vcc, 16, v3
	v_cndmask_b32_e32 v17, 0, v8, vcc
	v_cndmask_b32_e32 v16, 7, v7, vcc
	v_cmp_ne_u64_e32 vcc, 0, v[16:17]
	v_cmp_ne_u32_e64 s[20:21], 0, v3
	s_or_b64 s[20:21], s[20:21], vcc
                                        ; implicit-def: $vgpr23
	s_and_saveexec_b64 s[94:95], s[20:21]
	s_xor_b64 s[20:21], exec, s[94:95]
; %bb.2600:                             ;   in Loop: Header=BB4_2553 Depth=2
	v_min_i32_e32 v3, 15, v3
	v_lshl_or_b32 v2, v3, 3, v2
	v_and_or_b32 v23, v16, 7, v2
                                        ; implicit-def: $vgpr2
; %bb.2601:                             ;   in Loop: Header=BB4_2553 Depth=2
	s_andn2_saveexec_b64 s[20:21], s[20:21]
; %bb.2602:                             ;   in Loop: Header=BB4_2553 Depth=2
	v_mov_b32_e32 v23, v2
; %bb.2603:                             ;   in Loop: Header=BB4_2553 Depth=2
	s_or_b64 exec, exec, s[20:21]
.LBB4_2604:                             ;   in Loop: Header=BB4_2553 Depth=2
	s_or_b64 exec, exec, s[92:93]
                                        ; implicit-def: $vgpr2
.LBB4_2605:                             ;   in Loop: Header=BB4_2553 Depth=2
	s_andn2_saveexec_b64 s[20:21], s[90:91]
; %bb.2606:                             ;   in Loop: Header=BB4_2553 Depth=2
	v_or_b32_e32 v23, 0x7e, v2
; %bb.2607:                             ;   in Loop: Header=BB4_2553 Depth=2
	s_or_b64 exec, exec, s[20:21]
                                        ; implicit-def: $vgpr3
.LBB4_2608:                             ;   in Loop: Header=BB4_2553 Depth=2
	s_andn2_saveexec_b64 s[20:21], s[88:89]
; %bb.2609:                             ;   in Loop: Header=BB4_2553 Depth=2
	v_or_b32_sdwa v23, v3, s51 dst_sel:DWORD dst_unused:UNUSED_PAD src0_sel:BYTE_3 src1_sel:DWORD
; %bb.2610:                             ;   in Loop: Header=BB4_2553 Depth=2
	s_or_b64 exec, exec, s[20:21]
	flat_load_ubyte v2, v[10:11] offset:128 glc slc
	v_mov_b32_e32 v3, 0
	s_waitcnt vmcnt(0) lgkmcnt(0)
	v_cmp_ne_u16_e32 vcc, 0, v2
	s_and_saveexec_b64 s[20:21], vcc
	s_cbranch_execz .LBB4_2616
; %bb.2611:                             ;   in Loop: Header=BB4_2553 Depth=2
	v_cmp_ne_u16_e32 vcc, s53, v2
	v_bfrev_b32_e32 v3, 1
	s_and_saveexec_b64 s[88:89], vcc
	s_cbranch_execz .LBB4_2615
; %bb.2612:                             ;   in Loop: Header=BB4_2553 Depth=2
	v_and_b32_e32 v16, 0xffff, v2
	v_and_b32_e32 v7, 0x7f, v16
	v_cmp_ne_u32_e32 vcc, s51, v7
	v_mov_b32_e32 v3, 0x7f800001
	s_and_saveexec_b64 s[90:91], vcc
	s_cbranch_execz .LBB4_2614
; %bb.2613:                             ;   in Loop: Header=BB4_2553 Depth=2
	v_and_b32_e32 v3, 7, v16
	v_lshrrev_b32_e32 v9, 3, v7
	v_cmp_gt_u32_e32 vcc, 8, v7
	v_ffbh_u32_e32 v7, v3
	v_min_u32_e32 v17, 32, v7
	v_subrev_u32_e32 v7, 28, v17
	v_lshlrev_b64 v[7:8], v7, v[16:17]
	v_sub_u32_e32 v8, 29, v17
	v_and_b32_e32 v7, 7, v7
	v_cndmask_b32_e32 v8, v9, v8, vcc
	v_cndmask_b32_e32 v3, v3, v7, vcc
	v_lshlrev_b32_e32 v2, 24, v2
	v_lshlrev_b32_e32 v3, 20, v3
	v_and_b32_e32 v2, 0x80000000, v2
	v_lshl_add_u32 v7, v8, 23, v58
	v_or3_b32 v3, v2, v7, v3
.LBB4_2614:                             ;   in Loop: Header=BB4_2553 Depth=2
	s_or_b64 exec, exec, s[90:91]
.LBB4_2615:                             ;   in Loop: Header=BB4_2553 Depth=2
	s_or_b64 exec, exec, s[88:89]
.LBB4_2616:                             ;   in Loop: Header=BB4_2553 Depth=2
	s_or_b64 exec, exec, s[20:21]
	v_mul_f32_e32 v3, s30, v3
	v_and_b32_e32 v36, 0x7f800000, v3
	v_cmp_ne_u64_e32 vcc, s[56:57], v[36:37]
                                        ; implicit-def: $vgpr34
	s_and_saveexec_b64 s[20:21], vcc
	s_xor_b64 s[88:89], exec, s[20:21]
	s_cbranch_execz .LBB4_2634
; %bb.2617:                             ;   in Loop: Header=BB4_2553 Depth=2
	v_and_b32_e32 v36, 0x7fffffff, v3
	v_cmp_gt_u64_e32 vcc, s[58:59], v[36:37]
	v_and_b32_sdwa v2, v3, s53 dst_sel:DWORD dst_unused:UNUSED_PAD src0_sel:BYTE_3 src1_sel:DWORD
                                        ; implicit-def: $vgpr34
	s_and_saveexec_b64 s[20:21], vcc
	s_xor_b64 s[90:91], exec, s[20:21]
	s_cbranch_execz .LBB4_2631
; %bb.2618:                             ;   in Loop: Header=BB4_2553 Depth=2
	v_cmp_ne_u32_e32 vcc, 0, v3
	v_mov_b32_e32 v34, 0
	s_and_saveexec_b64 s[92:93], vcc
	s_cbranch_execz .LBB4_2630
; %bb.2619:                             ;   in Loop: Header=BB4_2553 Depth=2
	v_and_b32_e32 v8, 0x7fffff, v3
	v_bfe_u32 v3, v3, 23, 8
	v_cmp_gt_u32_e64 s[20:21], s54, v3
	v_sub_u32_e32 v7, 0x79, v3
	v_cmp_eq_u32_e32 vcc, 0, v3
	v_cndmask_b32_e64 v7, 0, v7, s[20:21]
	v_or_b32_e32 v9, 0x800000, v8
	v_cndmask_b32_e32 v7, v7, v31, vcc
	v_cndmask_b32_e32 v36, v9, v8, vcc
	v_add_u32_e32 v8, 20, v7
	v_lshlrev_b64 v[8:9], v8, -1
	v_add_u32_e32 v16, 19, v7
	v_lshlrev_b64 v[16:17], v16, 1
	v_bfi_b32 v9, v9, 0, 0
	v_bfi_b32 v8, v8, 0, v36
	v_cmp_eq_u64_e64 s[20:21], v[8:9], v[16:17]
	v_lshrrev_b64 v[16:17], v7, v[36:37]
	v_mov_b32_e32 v51, v17
	v_mov_b32_e32 v50, v16
	s_and_saveexec_b64 s[94:95], s[20:21]
; %bb.2620:                             ;   in Loop: Header=BB4_2553 Depth=2
	v_bfe_u32 v8, v16, 20, 1
	v_add_co_u32_e64 v8, s[20:21], v16, v8
	v_add_co_u32_e64 v50, s[20:21], -1, v8
; %bb.2621:                             ;   in Loop: Header=BB4_2553 Depth=2
	s_or_b64 exec, exec, s[94:95]
	v_add_u32_e32 v3, 0xffffff81, v3
	v_cndmask_b32_e32 v3, v3, v62, vcc
	v_lshrrev_b32_e32 v8, 23, v16
	v_add3_u32 v8, v7, v3, v8
	v_add_u32_e32 v7, 6, v8
	v_and_b32_e32 v3, 0xfffff, v50
	v_add_u32_e32 v36, v3, v16
	v_cmp_ne_u32_e32 vcc, 0, v7
                                        ; implicit-def: $vgpr16_vgpr17
                                        ; implicit-def: $vgpr3
	s_and_saveexec_b64 s[20:21], vcc
	s_xor_b64 s[20:21], exec, s[20:21]
; %bb.2622:                             ;   in Loop: Header=BB4_2553 Depth=2
	v_cmp_lt_u64_e32 vcc, s[60:61], v[36:37]
	v_add_u32_e32 v3, 7, v8
	v_cndmask_b32_e32 v3, v7, v3, vcc
	v_cndmask_b32_e64 v7, 0, 1, vcc
	v_lshrrev_b64 v[16:17], v7, v[36:37]
; %bb.2623:                             ;   in Loop: Header=BB4_2553 Depth=2
	s_andn2_saveexec_b64 s[20:21], s[20:21]
; %bb.2624:                             ;   in Loop: Header=BB4_2553 Depth=2
	v_mov_b32_e32 v16, v36
	v_bfe_u32 v3, v36, 23, 1
	v_mov_b32_e32 v17, v37
; %bb.2625:                             ;   in Loop: Header=BB4_2553 Depth=2
	s_or_b64 exec, exec, s[20:21]
	v_lshrrev_b64 v[7:8], 20, v[16:17]
	v_cmp_gt_i32_e32 vcc, 16, v3
	v_cndmask_b32_e32 v17, 0, v8, vcc
	v_cndmask_b32_e32 v16, 7, v7, vcc
	v_cmp_ne_u64_e32 vcc, 0, v[16:17]
	v_cmp_ne_u32_e64 s[20:21], 0, v3
	s_or_b64 s[20:21], s[20:21], vcc
                                        ; implicit-def: $vgpr34
	s_and_saveexec_b64 s[94:95], s[20:21]
	s_xor_b64 s[20:21], exec, s[94:95]
; %bb.2626:                             ;   in Loop: Header=BB4_2553 Depth=2
	v_min_i32_e32 v3, 15, v3
	v_lshl_or_b32 v2, v3, 3, v2
	v_and_or_b32 v34, v16, 7, v2
                                        ; implicit-def: $vgpr2
; %bb.2627:                             ;   in Loop: Header=BB4_2553 Depth=2
	s_andn2_saveexec_b64 s[20:21], s[20:21]
; %bb.2628:                             ;   in Loop: Header=BB4_2553 Depth=2
	v_mov_b32_e32 v34, v2
; %bb.2629:                             ;   in Loop: Header=BB4_2553 Depth=2
	s_or_b64 exec, exec, s[20:21]
.LBB4_2630:                             ;   in Loop: Header=BB4_2553 Depth=2
	s_or_b64 exec, exec, s[92:93]
                                        ; implicit-def: $vgpr2
.LBB4_2631:                             ;   in Loop: Header=BB4_2553 Depth=2
	s_andn2_saveexec_b64 s[20:21], s[90:91]
; %bb.2632:                             ;   in Loop: Header=BB4_2553 Depth=2
	v_or_b32_e32 v34, 0x7e, v2
; %bb.2633:                             ;   in Loop: Header=BB4_2553 Depth=2
	s_or_b64 exec, exec, s[20:21]
                                        ; implicit-def: $vgpr3
.LBB4_2634:                             ;   in Loop: Header=BB4_2553 Depth=2
	s_andn2_saveexec_b64 s[20:21], s[88:89]
; %bb.2635:                             ;   in Loop: Header=BB4_2553 Depth=2
	v_or_b32_sdwa v34, v3, s51 dst_sel:DWORD dst_unused:UNUSED_PAD src0_sel:BYTE_3 src1_sel:DWORD
; %bb.2636:                             ;   in Loop: Header=BB4_2553 Depth=2
	s_or_b64 exec, exec, s[20:21]
	flat_load_ubyte v2, v[10:11] offset:192 glc slc
	v_mov_b32_e32 v3, 0
	s_waitcnt vmcnt(0) lgkmcnt(0)
	v_cmp_ne_u16_e32 vcc, 0, v2
	s_and_saveexec_b64 s[20:21], vcc
	s_cbranch_execz .LBB4_2642
; %bb.2637:                             ;   in Loop: Header=BB4_2553 Depth=2
	v_cmp_ne_u16_e32 vcc, s53, v2
	v_bfrev_b32_e32 v3, 1
	s_and_saveexec_b64 s[88:89], vcc
	s_cbranch_execz .LBB4_2641
; %bb.2638:                             ;   in Loop: Header=BB4_2553 Depth=2
	v_and_b32_e32 v16, 0xffff, v2
	v_and_b32_e32 v7, 0x7f, v16
	v_cmp_ne_u32_e32 vcc, s51, v7
	v_mov_b32_e32 v3, 0x7f800001
	s_and_saveexec_b64 s[90:91], vcc
	s_cbranch_execz .LBB4_2640
; %bb.2639:                             ;   in Loop: Header=BB4_2553 Depth=2
	v_and_b32_e32 v3, 7, v16
	v_lshrrev_b32_e32 v9, 3, v7
	v_cmp_gt_u32_e32 vcc, 8, v7
	v_ffbh_u32_e32 v7, v3
	v_min_u32_e32 v17, 32, v7
	v_subrev_u32_e32 v7, 28, v17
	v_lshlrev_b64 v[7:8], v7, v[16:17]
	v_sub_u32_e32 v8, 29, v17
	v_and_b32_e32 v7, 7, v7
	v_cndmask_b32_e32 v8, v9, v8, vcc
	v_cndmask_b32_e32 v3, v3, v7, vcc
	v_lshlrev_b32_e32 v2, 24, v2
	v_lshlrev_b32_e32 v3, 20, v3
	v_and_b32_e32 v2, 0x80000000, v2
	v_lshl_add_u32 v7, v8, 23, v58
	v_or3_b32 v3, v2, v7, v3
.LBB4_2640:                             ;   in Loop: Header=BB4_2553 Depth=2
	s_or_b64 exec, exec, s[90:91]
.LBB4_2641:                             ;   in Loop: Header=BB4_2553 Depth=2
	s_or_b64 exec, exec, s[88:89]
.LBB4_2642:                             ;   in Loop: Header=BB4_2553 Depth=2
	s_or_b64 exec, exec, s[20:21]
	v_mul_f32_e32 v3, s30, v3
	v_and_b32_e32 v36, 0x7f800000, v3
	v_cmp_ne_u64_e32 vcc, s[56:57], v[36:37]
                                        ; implicit-def: $vgpr32
	s_and_saveexec_b64 s[20:21], vcc
	s_xor_b64 s[88:89], exec, s[20:21]
	s_cbranch_execz .LBB4_2660
; %bb.2643:                             ;   in Loop: Header=BB4_2553 Depth=2
	v_and_b32_e32 v36, 0x7fffffff, v3
	v_cmp_gt_u64_e32 vcc, s[58:59], v[36:37]
	v_and_b32_sdwa v2, v3, s53 dst_sel:DWORD dst_unused:UNUSED_PAD src0_sel:BYTE_3 src1_sel:DWORD
                                        ; implicit-def: $vgpr32
	s_and_saveexec_b64 s[20:21], vcc
	s_xor_b64 s[90:91], exec, s[20:21]
	s_cbranch_execz .LBB4_2657
; %bb.2644:                             ;   in Loop: Header=BB4_2553 Depth=2
	v_cmp_ne_u32_e32 vcc, 0, v3
	v_mov_b32_e32 v32, 0
	s_and_saveexec_b64 s[92:93], vcc
	s_cbranch_execz .LBB4_2656
; %bb.2645:                             ;   in Loop: Header=BB4_2553 Depth=2
	v_and_b32_e32 v8, 0x7fffff, v3
	v_bfe_u32 v3, v3, 23, 8
	v_cmp_gt_u32_e64 s[20:21], s54, v3
	v_sub_u32_e32 v7, 0x79, v3
	v_cmp_eq_u32_e32 vcc, 0, v3
	v_cndmask_b32_e64 v7, 0, v7, s[20:21]
	v_or_b32_e32 v9, 0x800000, v8
	v_cndmask_b32_e32 v7, v7, v31, vcc
	v_cndmask_b32_e32 v36, v9, v8, vcc
	v_add_u32_e32 v8, 20, v7
	v_lshlrev_b64 v[8:9], v8, -1
	v_add_u32_e32 v16, 19, v7
	v_lshlrev_b64 v[16:17], v16, 1
	v_bfi_b32 v9, v9, 0, 0
	v_bfi_b32 v8, v8, 0, v36
	v_cmp_eq_u64_e64 s[20:21], v[8:9], v[16:17]
	v_lshrrev_b64 v[16:17], v7, v[36:37]
	v_mov_b32_e32 v51, v17
	v_mov_b32_e32 v50, v16
	s_and_saveexec_b64 s[94:95], s[20:21]
; %bb.2646:                             ;   in Loop: Header=BB4_2553 Depth=2
	v_bfe_u32 v8, v16, 20, 1
	v_add_co_u32_e64 v8, s[20:21], v16, v8
	v_add_co_u32_e64 v50, s[20:21], -1, v8
; %bb.2647:                             ;   in Loop: Header=BB4_2553 Depth=2
	s_or_b64 exec, exec, s[94:95]
	v_add_u32_e32 v3, 0xffffff81, v3
	v_cndmask_b32_e32 v3, v3, v62, vcc
	v_lshrrev_b32_e32 v8, 23, v16
	v_add3_u32 v8, v7, v3, v8
	v_add_u32_e32 v7, 6, v8
	v_and_b32_e32 v3, 0xfffff, v50
	v_add_u32_e32 v36, v3, v16
	v_cmp_ne_u32_e32 vcc, 0, v7
                                        ; implicit-def: $vgpr16_vgpr17
                                        ; implicit-def: $vgpr3
	s_and_saveexec_b64 s[20:21], vcc
	s_xor_b64 s[20:21], exec, s[20:21]
; %bb.2648:                             ;   in Loop: Header=BB4_2553 Depth=2
	v_cmp_lt_u64_e32 vcc, s[60:61], v[36:37]
	v_add_u32_e32 v3, 7, v8
	v_cndmask_b32_e32 v3, v7, v3, vcc
	v_cndmask_b32_e64 v7, 0, 1, vcc
	v_lshrrev_b64 v[16:17], v7, v[36:37]
; %bb.2649:                             ;   in Loop: Header=BB4_2553 Depth=2
	s_andn2_saveexec_b64 s[20:21], s[20:21]
; %bb.2650:                             ;   in Loop: Header=BB4_2553 Depth=2
	v_mov_b32_e32 v16, v36
	v_bfe_u32 v3, v36, 23, 1
	v_mov_b32_e32 v17, v37
; %bb.2651:                             ;   in Loop: Header=BB4_2553 Depth=2
	s_or_b64 exec, exec, s[20:21]
	v_lshrrev_b64 v[7:8], 20, v[16:17]
	v_cmp_gt_i32_e32 vcc, 16, v3
	v_cndmask_b32_e32 v17, 0, v8, vcc
	v_cndmask_b32_e32 v16, 7, v7, vcc
	v_cmp_ne_u64_e32 vcc, 0, v[16:17]
	v_cmp_ne_u32_e64 s[20:21], 0, v3
	s_or_b64 s[20:21], s[20:21], vcc
                                        ; implicit-def: $vgpr32
	s_and_saveexec_b64 s[94:95], s[20:21]
	s_xor_b64 s[20:21], exec, s[94:95]
; %bb.2652:                             ;   in Loop: Header=BB4_2553 Depth=2
	v_min_i32_e32 v3, 15, v3
	v_lshl_or_b32 v2, v3, 3, v2
	v_and_or_b32 v32, v16, 7, v2
                                        ; implicit-def: $vgpr2
; %bb.2653:                             ;   in Loop: Header=BB4_2553 Depth=2
	s_andn2_saveexec_b64 s[20:21], s[20:21]
; %bb.2654:                             ;   in Loop: Header=BB4_2553 Depth=2
	v_mov_b32_e32 v32, v2
; %bb.2655:                             ;   in Loop: Header=BB4_2553 Depth=2
	s_or_b64 exec, exec, s[20:21]
.LBB4_2656:                             ;   in Loop: Header=BB4_2553 Depth=2
	s_or_b64 exec, exec, s[92:93]
                                        ; implicit-def: $vgpr2
.LBB4_2657:                             ;   in Loop: Header=BB4_2553 Depth=2
	s_andn2_saveexec_b64 s[20:21], s[90:91]
; %bb.2658:                             ;   in Loop: Header=BB4_2553 Depth=2
	v_or_b32_e32 v32, 0x7e, v2
; %bb.2659:                             ;   in Loop: Header=BB4_2553 Depth=2
	s_or_b64 exec, exec, s[20:21]
                                        ; implicit-def: $vgpr3
.LBB4_2660:                             ;   in Loop: Header=BB4_2553 Depth=2
	s_andn2_saveexec_b64 s[20:21], s[88:89]
; %bb.2661:                             ;   in Loop: Header=BB4_2553 Depth=2
	v_or_b32_sdwa v32, v3, s51 dst_sel:DWORD dst_unused:UNUSED_PAD src0_sel:BYTE_3 src1_sel:DWORD
; %bb.2662:                             ;   in Loop: Header=BB4_2553 Depth=2
	s_or_b64 exec, exec, s[20:21]
	flat_load_ubyte v2, v[10:11] offset:256 glc slc
	v_mov_b32_e32 v3, 0
	s_waitcnt vmcnt(0) lgkmcnt(0)
	v_cmp_ne_u16_e32 vcc, 0, v2
	s_and_saveexec_b64 s[20:21], vcc
	s_cbranch_execz .LBB4_2668
; %bb.2663:                             ;   in Loop: Header=BB4_2553 Depth=2
	v_cmp_ne_u16_e32 vcc, s53, v2
	v_bfrev_b32_e32 v3, 1
	s_and_saveexec_b64 s[88:89], vcc
	s_cbranch_execz .LBB4_2667
; %bb.2664:                             ;   in Loop: Header=BB4_2553 Depth=2
	v_and_b32_e32 v16, 0xffff, v2
	v_and_b32_e32 v7, 0x7f, v16
	v_cmp_ne_u32_e32 vcc, s51, v7
	v_mov_b32_e32 v3, 0x7f800001
	s_and_saveexec_b64 s[90:91], vcc
	s_cbranch_execz .LBB4_2666
; %bb.2665:                             ;   in Loop: Header=BB4_2553 Depth=2
	v_and_b32_e32 v3, 7, v16
	v_lshrrev_b32_e32 v9, 3, v7
	v_cmp_gt_u32_e32 vcc, 8, v7
	v_ffbh_u32_e32 v7, v3
	v_min_u32_e32 v17, 32, v7
	v_subrev_u32_e32 v7, 28, v17
	v_lshlrev_b64 v[7:8], v7, v[16:17]
	v_sub_u32_e32 v8, 29, v17
	v_and_b32_e32 v7, 7, v7
	v_cndmask_b32_e32 v8, v9, v8, vcc
	v_cndmask_b32_e32 v3, v3, v7, vcc
	v_lshlrev_b32_e32 v2, 24, v2
	v_lshlrev_b32_e32 v3, 20, v3
	v_and_b32_e32 v2, 0x80000000, v2
	v_lshl_add_u32 v7, v8, 23, v58
	v_or3_b32 v3, v2, v7, v3
.LBB4_2666:                             ;   in Loop: Header=BB4_2553 Depth=2
	s_or_b64 exec, exec, s[90:91]
.LBB4_2667:                             ;   in Loop: Header=BB4_2553 Depth=2
	s_or_b64 exec, exec, s[88:89]
.LBB4_2668:                             ;   in Loop: Header=BB4_2553 Depth=2
	s_or_b64 exec, exec, s[20:21]
	v_mul_f32_e32 v3, s30, v3
	v_and_b32_e32 v36, 0x7f800000, v3
	v_cmp_ne_u64_e32 vcc, s[56:57], v[36:37]
                                        ; implicit-def: $vgpr30
	s_and_saveexec_b64 s[20:21], vcc
	s_xor_b64 s[88:89], exec, s[20:21]
	s_cbranch_execz .LBB4_2686
; %bb.2669:                             ;   in Loop: Header=BB4_2553 Depth=2
	v_and_b32_e32 v36, 0x7fffffff, v3
	v_cmp_gt_u64_e32 vcc, s[58:59], v[36:37]
	v_and_b32_sdwa v2, v3, s53 dst_sel:DWORD dst_unused:UNUSED_PAD src0_sel:BYTE_3 src1_sel:DWORD
                                        ; implicit-def: $vgpr30
	s_and_saveexec_b64 s[20:21], vcc
	s_xor_b64 s[90:91], exec, s[20:21]
	s_cbranch_execz .LBB4_2683
; %bb.2670:                             ;   in Loop: Header=BB4_2553 Depth=2
	v_cmp_ne_u32_e32 vcc, 0, v3
	v_mov_b32_e32 v30, 0
	s_and_saveexec_b64 s[92:93], vcc
	s_cbranch_execz .LBB4_2682
; %bb.2671:                             ;   in Loop: Header=BB4_2553 Depth=2
	v_and_b32_e32 v8, 0x7fffff, v3
	v_bfe_u32 v3, v3, 23, 8
	v_cmp_gt_u32_e64 s[20:21], s54, v3
	v_sub_u32_e32 v7, 0x79, v3
	v_cmp_eq_u32_e32 vcc, 0, v3
	v_cndmask_b32_e64 v7, 0, v7, s[20:21]
	v_or_b32_e32 v9, 0x800000, v8
	v_cndmask_b32_e32 v7, v7, v31, vcc
	v_cndmask_b32_e32 v36, v9, v8, vcc
	v_add_u32_e32 v8, 20, v7
	v_lshlrev_b64 v[8:9], v8, -1
	v_add_u32_e32 v16, 19, v7
	v_lshlrev_b64 v[16:17], v16, 1
	v_bfi_b32 v9, v9, 0, 0
	v_bfi_b32 v8, v8, 0, v36
	v_cmp_eq_u64_e64 s[20:21], v[8:9], v[16:17]
	v_lshrrev_b64 v[16:17], v7, v[36:37]
	v_mov_b32_e32 v51, v17
	v_mov_b32_e32 v50, v16
	s_and_saveexec_b64 s[94:95], s[20:21]
; %bb.2672:                             ;   in Loop: Header=BB4_2553 Depth=2
	v_bfe_u32 v8, v16, 20, 1
	v_add_co_u32_e64 v8, s[20:21], v16, v8
	v_add_co_u32_e64 v50, s[20:21], -1, v8
; %bb.2673:                             ;   in Loop: Header=BB4_2553 Depth=2
	s_or_b64 exec, exec, s[94:95]
	v_add_u32_e32 v3, 0xffffff81, v3
	v_cndmask_b32_e32 v3, v3, v62, vcc
	v_lshrrev_b32_e32 v8, 23, v16
	v_add3_u32 v8, v7, v3, v8
	v_add_u32_e32 v7, 6, v8
	v_and_b32_e32 v3, 0xfffff, v50
	v_add_u32_e32 v36, v3, v16
	v_cmp_ne_u32_e32 vcc, 0, v7
                                        ; implicit-def: $vgpr16_vgpr17
                                        ; implicit-def: $vgpr3
	s_and_saveexec_b64 s[20:21], vcc
	s_xor_b64 s[20:21], exec, s[20:21]
; %bb.2674:                             ;   in Loop: Header=BB4_2553 Depth=2
	v_cmp_lt_u64_e32 vcc, s[60:61], v[36:37]
	v_add_u32_e32 v3, 7, v8
	v_cndmask_b32_e32 v3, v7, v3, vcc
	v_cndmask_b32_e64 v7, 0, 1, vcc
	v_lshrrev_b64 v[16:17], v7, v[36:37]
; %bb.2675:                             ;   in Loop: Header=BB4_2553 Depth=2
	s_andn2_saveexec_b64 s[20:21], s[20:21]
; %bb.2676:                             ;   in Loop: Header=BB4_2553 Depth=2
	v_mov_b32_e32 v16, v36
	v_bfe_u32 v3, v36, 23, 1
	v_mov_b32_e32 v17, v37
; %bb.2677:                             ;   in Loop: Header=BB4_2553 Depth=2
	s_or_b64 exec, exec, s[20:21]
	v_lshrrev_b64 v[7:8], 20, v[16:17]
	v_cmp_gt_i32_e32 vcc, 16, v3
	v_cndmask_b32_e32 v17, 0, v8, vcc
	v_cndmask_b32_e32 v16, 7, v7, vcc
	v_cmp_ne_u64_e32 vcc, 0, v[16:17]
	v_cmp_ne_u32_e64 s[20:21], 0, v3
	s_or_b64 s[20:21], s[20:21], vcc
                                        ; implicit-def: $vgpr30
	s_and_saveexec_b64 s[94:95], s[20:21]
	s_xor_b64 s[20:21], exec, s[94:95]
; %bb.2678:                             ;   in Loop: Header=BB4_2553 Depth=2
	v_min_i32_e32 v3, 15, v3
	v_lshl_or_b32 v2, v3, 3, v2
	v_and_or_b32 v30, v16, 7, v2
                                        ; implicit-def: $vgpr2
; %bb.2679:                             ;   in Loop: Header=BB4_2553 Depth=2
	s_andn2_saveexec_b64 s[20:21], s[20:21]
; %bb.2680:                             ;   in Loop: Header=BB4_2553 Depth=2
	v_mov_b32_e32 v30, v2
; %bb.2681:                             ;   in Loop: Header=BB4_2553 Depth=2
	s_or_b64 exec, exec, s[20:21]
.LBB4_2682:                             ;   in Loop: Header=BB4_2553 Depth=2
	s_or_b64 exec, exec, s[92:93]
                                        ; implicit-def: $vgpr2
.LBB4_2683:                             ;   in Loop: Header=BB4_2553 Depth=2
	s_andn2_saveexec_b64 s[20:21], s[90:91]
; %bb.2684:                             ;   in Loop: Header=BB4_2553 Depth=2
	v_or_b32_e32 v30, 0x7e, v2
; %bb.2685:                             ;   in Loop: Header=BB4_2553 Depth=2
	s_or_b64 exec, exec, s[20:21]
                                        ; implicit-def: $vgpr3
.LBB4_2686:                             ;   in Loop: Header=BB4_2553 Depth=2
	s_andn2_saveexec_b64 s[20:21], s[88:89]
; %bb.2687:                             ;   in Loop: Header=BB4_2553 Depth=2
	v_or_b32_sdwa v30, v3, s51 dst_sel:DWORD dst_unused:UNUSED_PAD src0_sel:BYTE_3 src1_sel:DWORD
; %bb.2688:                             ;   in Loop: Header=BB4_2553 Depth=2
	s_or_b64 exec, exec, s[20:21]
	flat_load_ubyte v2, v[10:11] offset:320 glc slc
	v_mov_b32_e32 v3, 0
	s_waitcnt vmcnt(0) lgkmcnt(0)
	v_cmp_ne_u16_e32 vcc, 0, v2
	s_and_saveexec_b64 s[20:21], vcc
	s_cbranch_execz .LBB4_2694
; %bb.2689:                             ;   in Loop: Header=BB4_2553 Depth=2
	v_cmp_ne_u16_e32 vcc, s53, v2
	v_bfrev_b32_e32 v3, 1
	s_and_saveexec_b64 s[88:89], vcc
	s_cbranch_execz .LBB4_2693
; %bb.2690:                             ;   in Loop: Header=BB4_2553 Depth=2
	v_and_b32_e32 v16, 0xffff, v2
	v_and_b32_e32 v7, 0x7f, v16
	v_cmp_ne_u32_e32 vcc, s51, v7
	v_mov_b32_e32 v3, 0x7f800001
	s_and_saveexec_b64 s[90:91], vcc
	s_cbranch_execz .LBB4_2692
; %bb.2691:                             ;   in Loop: Header=BB4_2553 Depth=2
	v_and_b32_e32 v3, 7, v16
	v_lshrrev_b32_e32 v9, 3, v7
	v_cmp_gt_u32_e32 vcc, 8, v7
	v_ffbh_u32_e32 v7, v3
	v_min_u32_e32 v17, 32, v7
	v_subrev_u32_e32 v7, 28, v17
	v_lshlrev_b64 v[7:8], v7, v[16:17]
	v_sub_u32_e32 v8, 29, v17
	v_and_b32_e32 v7, 7, v7
	v_cndmask_b32_e32 v8, v9, v8, vcc
	v_cndmask_b32_e32 v3, v3, v7, vcc
	v_lshlrev_b32_e32 v2, 24, v2
	v_lshlrev_b32_e32 v3, 20, v3
	v_and_b32_e32 v2, 0x80000000, v2
	v_lshl_add_u32 v7, v8, 23, v58
	v_or3_b32 v3, v2, v7, v3
.LBB4_2692:                             ;   in Loop: Header=BB4_2553 Depth=2
	s_or_b64 exec, exec, s[90:91]
.LBB4_2693:                             ;   in Loop: Header=BB4_2553 Depth=2
	s_or_b64 exec, exec, s[88:89]
.LBB4_2694:                             ;   in Loop: Header=BB4_2553 Depth=2
	s_or_b64 exec, exec, s[20:21]
	v_mul_f32_e32 v3, s30, v3
	v_and_b32_e32 v36, 0x7f800000, v3
	v_cmp_ne_u64_e32 vcc, s[56:57], v[36:37]
                                        ; implicit-def: $vgpr27
	s_and_saveexec_b64 s[20:21], vcc
	s_xor_b64 s[88:89], exec, s[20:21]
	s_cbranch_execz .LBB4_2712
; %bb.2695:                             ;   in Loop: Header=BB4_2553 Depth=2
	v_and_b32_e32 v36, 0x7fffffff, v3
	v_cmp_gt_u64_e32 vcc, s[58:59], v[36:37]
	v_and_b32_sdwa v2, v3, s53 dst_sel:DWORD dst_unused:UNUSED_PAD src0_sel:BYTE_3 src1_sel:DWORD
                                        ; implicit-def: $vgpr27
	s_and_saveexec_b64 s[20:21], vcc
	s_xor_b64 s[90:91], exec, s[20:21]
	s_cbranch_execz .LBB4_2709
; %bb.2696:                             ;   in Loop: Header=BB4_2553 Depth=2
	v_cmp_ne_u32_e32 vcc, 0, v3
	v_mov_b32_e32 v27, 0
	s_and_saveexec_b64 s[92:93], vcc
	s_cbranch_execz .LBB4_2708
; %bb.2697:                             ;   in Loop: Header=BB4_2553 Depth=2
	v_and_b32_e32 v8, 0x7fffff, v3
	v_bfe_u32 v3, v3, 23, 8
	v_cmp_gt_u32_e64 s[20:21], s54, v3
	v_sub_u32_e32 v7, 0x79, v3
	v_cmp_eq_u32_e32 vcc, 0, v3
	v_cndmask_b32_e64 v7, 0, v7, s[20:21]
	v_or_b32_e32 v9, 0x800000, v8
	v_cndmask_b32_e32 v7, v7, v31, vcc
	v_cndmask_b32_e32 v36, v9, v8, vcc
	v_add_u32_e32 v8, 20, v7
	v_lshlrev_b64 v[8:9], v8, -1
	v_add_u32_e32 v16, 19, v7
	v_lshlrev_b64 v[16:17], v16, 1
	v_bfi_b32 v9, v9, 0, 0
	v_bfi_b32 v8, v8, 0, v36
	v_cmp_eq_u64_e64 s[20:21], v[8:9], v[16:17]
	v_lshrrev_b64 v[16:17], v7, v[36:37]
	v_mov_b32_e32 v51, v17
	v_mov_b32_e32 v50, v16
	s_and_saveexec_b64 s[94:95], s[20:21]
; %bb.2698:                             ;   in Loop: Header=BB4_2553 Depth=2
	v_bfe_u32 v8, v16, 20, 1
	v_add_co_u32_e64 v8, s[20:21], v16, v8
	v_add_co_u32_e64 v50, s[20:21], -1, v8
; %bb.2699:                             ;   in Loop: Header=BB4_2553 Depth=2
	s_or_b64 exec, exec, s[94:95]
	v_add_u32_e32 v3, 0xffffff81, v3
	v_cndmask_b32_e32 v3, v3, v62, vcc
	v_lshrrev_b32_e32 v8, 23, v16
	v_add3_u32 v8, v7, v3, v8
	v_add_u32_e32 v7, 6, v8
	v_and_b32_e32 v3, 0xfffff, v50
	v_add_u32_e32 v36, v3, v16
	v_cmp_ne_u32_e32 vcc, 0, v7
                                        ; implicit-def: $vgpr16_vgpr17
                                        ; implicit-def: $vgpr3
	s_and_saveexec_b64 s[20:21], vcc
	s_xor_b64 s[20:21], exec, s[20:21]
; %bb.2700:                             ;   in Loop: Header=BB4_2553 Depth=2
	v_cmp_lt_u64_e32 vcc, s[60:61], v[36:37]
	v_add_u32_e32 v3, 7, v8
	v_cndmask_b32_e32 v3, v7, v3, vcc
	v_cndmask_b32_e64 v7, 0, 1, vcc
	v_lshrrev_b64 v[16:17], v7, v[36:37]
; %bb.2701:                             ;   in Loop: Header=BB4_2553 Depth=2
	s_andn2_saveexec_b64 s[20:21], s[20:21]
; %bb.2702:                             ;   in Loop: Header=BB4_2553 Depth=2
	v_mov_b32_e32 v16, v36
	v_bfe_u32 v3, v36, 23, 1
	v_mov_b32_e32 v17, v37
; %bb.2703:                             ;   in Loop: Header=BB4_2553 Depth=2
	s_or_b64 exec, exec, s[20:21]
	v_lshrrev_b64 v[7:8], 20, v[16:17]
	v_cmp_gt_i32_e32 vcc, 16, v3
	v_cndmask_b32_e32 v17, 0, v8, vcc
	v_cndmask_b32_e32 v16, 7, v7, vcc
	v_cmp_ne_u64_e32 vcc, 0, v[16:17]
	v_cmp_ne_u32_e64 s[20:21], 0, v3
	s_or_b64 s[20:21], s[20:21], vcc
                                        ; implicit-def: $vgpr27
	s_and_saveexec_b64 s[94:95], s[20:21]
	s_xor_b64 s[20:21], exec, s[94:95]
; %bb.2704:                             ;   in Loop: Header=BB4_2553 Depth=2
	v_min_i32_e32 v3, 15, v3
	v_lshl_or_b32 v2, v3, 3, v2
	v_and_or_b32 v27, v16, 7, v2
                                        ; implicit-def: $vgpr2
; %bb.2705:                             ;   in Loop: Header=BB4_2553 Depth=2
	s_andn2_saveexec_b64 s[20:21], s[20:21]
; %bb.2706:                             ;   in Loop: Header=BB4_2553 Depth=2
	v_mov_b32_e32 v27, v2
; %bb.2707:                             ;   in Loop: Header=BB4_2553 Depth=2
	s_or_b64 exec, exec, s[20:21]
.LBB4_2708:                             ;   in Loop: Header=BB4_2553 Depth=2
	s_or_b64 exec, exec, s[92:93]
                                        ; implicit-def: $vgpr2
.LBB4_2709:                             ;   in Loop: Header=BB4_2553 Depth=2
	s_andn2_saveexec_b64 s[20:21], s[90:91]
; %bb.2710:                             ;   in Loop: Header=BB4_2553 Depth=2
	v_or_b32_e32 v27, 0x7e, v2
; %bb.2711:                             ;   in Loop: Header=BB4_2553 Depth=2
	s_or_b64 exec, exec, s[20:21]
                                        ; implicit-def: $vgpr3
.LBB4_2712:                             ;   in Loop: Header=BB4_2553 Depth=2
	s_andn2_saveexec_b64 s[20:21], s[88:89]
; %bb.2713:                             ;   in Loop: Header=BB4_2553 Depth=2
	v_or_b32_sdwa v27, v3, s51 dst_sel:DWORD dst_unused:UNUSED_PAD src0_sel:BYTE_3 src1_sel:DWORD
; %bb.2714:                             ;   in Loop: Header=BB4_2553 Depth=2
	s_or_b64 exec, exec, s[20:21]
	flat_load_ubyte v2, v[10:11] offset:384 glc slc
	v_mov_b32_e32 v3, 0
	s_waitcnt vmcnt(0) lgkmcnt(0)
	v_cmp_ne_u16_e32 vcc, 0, v2
	s_and_saveexec_b64 s[20:21], vcc
	s_cbranch_execz .LBB4_2720
; %bb.2715:                             ;   in Loop: Header=BB4_2553 Depth=2
	v_cmp_ne_u16_e32 vcc, s53, v2
	v_bfrev_b32_e32 v3, 1
	s_and_saveexec_b64 s[88:89], vcc
	s_cbranch_execz .LBB4_2719
; %bb.2716:                             ;   in Loop: Header=BB4_2553 Depth=2
	v_and_b32_e32 v16, 0xffff, v2
	v_and_b32_e32 v7, 0x7f, v16
	v_cmp_ne_u32_e32 vcc, s51, v7
	v_mov_b32_e32 v3, 0x7f800001
	s_and_saveexec_b64 s[90:91], vcc
	s_cbranch_execz .LBB4_2718
; %bb.2717:                             ;   in Loop: Header=BB4_2553 Depth=2
	v_and_b32_e32 v3, 7, v16
	v_lshrrev_b32_e32 v9, 3, v7
	v_cmp_gt_u32_e32 vcc, 8, v7
	v_ffbh_u32_e32 v7, v3
	v_min_u32_e32 v17, 32, v7
	v_subrev_u32_e32 v7, 28, v17
	v_lshlrev_b64 v[7:8], v7, v[16:17]
	v_sub_u32_e32 v8, 29, v17
	v_and_b32_e32 v7, 7, v7
	v_cndmask_b32_e32 v8, v9, v8, vcc
	v_cndmask_b32_e32 v3, v3, v7, vcc
	v_lshlrev_b32_e32 v2, 24, v2
	v_lshlrev_b32_e32 v3, 20, v3
	v_and_b32_e32 v2, 0x80000000, v2
	v_lshl_add_u32 v7, v8, 23, v58
	v_or3_b32 v3, v2, v7, v3
.LBB4_2718:                             ;   in Loop: Header=BB4_2553 Depth=2
	s_or_b64 exec, exec, s[90:91]
.LBB4_2719:                             ;   in Loop: Header=BB4_2553 Depth=2
	s_or_b64 exec, exec, s[88:89]
.LBB4_2720:                             ;   in Loop: Header=BB4_2553 Depth=2
	s_or_b64 exec, exec, s[20:21]
	v_mul_f32_e32 v3, s30, v3
	v_and_b32_e32 v36, 0x7f800000, v3
	v_cmp_ne_u64_e32 vcc, s[56:57], v[36:37]
                                        ; implicit-def: $vgpr26
	s_and_saveexec_b64 s[20:21], vcc
	s_xor_b64 s[88:89], exec, s[20:21]
	s_cbranch_execz .LBB4_2738
; %bb.2721:                             ;   in Loop: Header=BB4_2553 Depth=2
	v_and_b32_e32 v36, 0x7fffffff, v3
	v_cmp_gt_u64_e32 vcc, s[58:59], v[36:37]
	v_and_b32_sdwa v2, v3, s53 dst_sel:DWORD dst_unused:UNUSED_PAD src0_sel:BYTE_3 src1_sel:DWORD
                                        ; implicit-def: $vgpr26
	s_and_saveexec_b64 s[20:21], vcc
	s_xor_b64 s[90:91], exec, s[20:21]
	s_cbranch_execz .LBB4_2735
; %bb.2722:                             ;   in Loop: Header=BB4_2553 Depth=2
	v_cmp_ne_u32_e32 vcc, 0, v3
	v_mov_b32_e32 v26, 0
	s_and_saveexec_b64 s[92:93], vcc
	s_cbranch_execz .LBB4_2734
; %bb.2723:                             ;   in Loop: Header=BB4_2553 Depth=2
	v_and_b32_e32 v8, 0x7fffff, v3
	v_bfe_u32 v3, v3, 23, 8
	v_cmp_gt_u32_e64 s[20:21], s54, v3
	v_sub_u32_e32 v7, 0x79, v3
	v_cmp_eq_u32_e32 vcc, 0, v3
	v_cndmask_b32_e64 v7, 0, v7, s[20:21]
	v_or_b32_e32 v9, 0x800000, v8
	v_cndmask_b32_e32 v7, v7, v31, vcc
	v_cndmask_b32_e32 v36, v9, v8, vcc
	v_add_u32_e32 v8, 20, v7
	v_lshlrev_b64 v[8:9], v8, -1
	v_add_u32_e32 v16, 19, v7
	v_lshlrev_b64 v[16:17], v16, 1
	v_bfi_b32 v9, v9, 0, 0
	v_bfi_b32 v8, v8, 0, v36
	v_cmp_eq_u64_e64 s[20:21], v[8:9], v[16:17]
	v_lshrrev_b64 v[16:17], v7, v[36:37]
	v_mov_b32_e32 v51, v17
	v_mov_b32_e32 v50, v16
	s_and_saveexec_b64 s[94:95], s[20:21]
; %bb.2724:                             ;   in Loop: Header=BB4_2553 Depth=2
	v_bfe_u32 v8, v16, 20, 1
	v_add_co_u32_e64 v8, s[20:21], v16, v8
	v_add_co_u32_e64 v50, s[20:21], -1, v8
; %bb.2725:                             ;   in Loop: Header=BB4_2553 Depth=2
	s_or_b64 exec, exec, s[94:95]
	v_add_u32_e32 v3, 0xffffff81, v3
	v_cndmask_b32_e32 v3, v3, v62, vcc
	v_lshrrev_b32_e32 v8, 23, v16
	v_add3_u32 v8, v7, v3, v8
	v_add_u32_e32 v7, 6, v8
	v_and_b32_e32 v3, 0xfffff, v50
	v_add_u32_e32 v36, v3, v16
	v_cmp_ne_u32_e32 vcc, 0, v7
                                        ; implicit-def: $vgpr16_vgpr17
                                        ; implicit-def: $vgpr3
	s_and_saveexec_b64 s[20:21], vcc
	s_xor_b64 s[20:21], exec, s[20:21]
; %bb.2726:                             ;   in Loop: Header=BB4_2553 Depth=2
	v_cmp_lt_u64_e32 vcc, s[60:61], v[36:37]
	v_add_u32_e32 v3, 7, v8
	v_cndmask_b32_e32 v3, v7, v3, vcc
	v_cndmask_b32_e64 v7, 0, 1, vcc
	v_lshrrev_b64 v[16:17], v7, v[36:37]
; %bb.2727:                             ;   in Loop: Header=BB4_2553 Depth=2
	s_andn2_saveexec_b64 s[20:21], s[20:21]
; %bb.2728:                             ;   in Loop: Header=BB4_2553 Depth=2
	v_mov_b32_e32 v16, v36
	v_bfe_u32 v3, v36, 23, 1
	v_mov_b32_e32 v17, v37
; %bb.2729:                             ;   in Loop: Header=BB4_2553 Depth=2
	s_or_b64 exec, exec, s[20:21]
	v_lshrrev_b64 v[7:8], 20, v[16:17]
	v_cmp_gt_i32_e32 vcc, 16, v3
	v_cndmask_b32_e32 v17, 0, v8, vcc
	v_cndmask_b32_e32 v16, 7, v7, vcc
	v_cmp_ne_u64_e32 vcc, 0, v[16:17]
	v_cmp_ne_u32_e64 s[20:21], 0, v3
	s_or_b64 s[20:21], s[20:21], vcc
                                        ; implicit-def: $vgpr26
	s_and_saveexec_b64 s[94:95], s[20:21]
	s_xor_b64 s[20:21], exec, s[94:95]
; %bb.2730:                             ;   in Loop: Header=BB4_2553 Depth=2
	v_min_i32_e32 v3, 15, v3
	v_lshl_or_b32 v2, v3, 3, v2
	v_and_or_b32 v26, v16, 7, v2
                                        ; implicit-def: $vgpr2
; %bb.2731:                             ;   in Loop: Header=BB4_2553 Depth=2
	s_andn2_saveexec_b64 s[20:21], s[20:21]
; %bb.2732:                             ;   in Loop: Header=BB4_2553 Depth=2
	v_mov_b32_e32 v26, v2
; %bb.2733:                             ;   in Loop: Header=BB4_2553 Depth=2
	s_or_b64 exec, exec, s[20:21]
.LBB4_2734:                             ;   in Loop: Header=BB4_2553 Depth=2
	s_or_b64 exec, exec, s[92:93]
                                        ; implicit-def: $vgpr2
.LBB4_2735:                             ;   in Loop: Header=BB4_2553 Depth=2
	s_andn2_saveexec_b64 s[20:21], s[90:91]
; %bb.2736:                             ;   in Loop: Header=BB4_2553 Depth=2
	v_or_b32_e32 v26, 0x7e, v2
; %bb.2737:                             ;   in Loop: Header=BB4_2553 Depth=2
	s_or_b64 exec, exec, s[20:21]
                                        ; implicit-def: $vgpr3
.LBB4_2738:                             ;   in Loop: Header=BB4_2553 Depth=2
	s_andn2_saveexec_b64 s[20:21], s[88:89]
; %bb.2739:                             ;   in Loop: Header=BB4_2553 Depth=2
	v_or_b32_sdwa v26, v3, s51 dst_sel:DWORD dst_unused:UNUSED_PAD src0_sel:BYTE_3 src1_sel:DWORD
; %bb.2740:                             ;   in Loop: Header=BB4_2553 Depth=2
	s_or_b64 exec, exec, s[20:21]
	flat_load_ubyte v2, v[10:11] offset:448 glc slc
	v_mov_b32_e32 v3, 0
	s_waitcnt vmcnt(0) lgkmcnt(0)
	v_cmp_ne_u16_e32 vcc, 0, v2
	s_and_saveexec_b64 s[20:21], vcc
	s_cbranch_execz .LBB4_2746
; %bb.2741:                             ;   in Loop: Header=BB4_2553 Depth=2
	v_cmp_ne_u16_e32 vcc, s53, v2
	v_bfrev_b32_e32 v3, 1
	s_and_saveexec_b64 s[88:89], vcc
	s_cbranch_execz .LBB4_2745
; %bb.2742:                             ;   in Loop: Header=BB4_2553 Depth=2
	v_and_b32_e32 v16, 0xffff, v2
	v_and_b32_e32 v7, 0x7f, v16
	v_cmp_ne_u32_e32 vcc, s51, v7
	v_mov_b32_e32 v3, 0x7f800001
	s_and_saveexec_b64 s[90:91], vcc
	s_cbranch_execz .LBB4_2744
; %bb.2743:                             ;   in Loop: Header=BB4_2553 Depth=2
	v_and_b32_e32 v3, 7, v16
	v_lshrrev_b32_e32 v9, 3, v7
	v_cmp_gt_u32_e32 vcc, 8, v7
	v_ffbh_u32_e32 v7, v3
	v_min_u32_e32 v17, 32, v7
	v_subrev_u32_e32 v7, 28, v17
	v_lshlrev_b64 v[7:8], v7, v[16:17]
	v_sub_u32_e32 v8, 29, v17
	v_and_b32_e32 v7, 7, v7
	v_cndmask_b32_e32 v8, v9, v8, vcc
	v_cndmask_b32_e32 v3, v3, v7, vcc
	v_lshlrev_b32_e32 v2, 24, v2
	v_lshlrev_b32_e32 v3, 20, v3
	v_and_b32_e32 v2, 0x80000000, v2
	v_lshl_add_u32 v7, v8, 23, v58
	v_or3_b32 v3, v2, v7, v3
.LBB4_2744:                             ;   in Loop: Header=BB4_2553 Depth=2
	s_or_b64 exec, exec, s[90:91]
.LBB4_2745:                             ;   in Loop: Header=BB4_2553 Depth=2
	s_or_b64 exec, exec, s[88:89]
.LBB4_2746:                             ;   in Loop: Header=BB4_2553 Depth=2
	s_or_b64 exec, exec, s[20:21]
	v_mul_f32_e32 v3, s30, v3
	v_and_b32_e32 v36, 0x7f800000, v3
	v_cmp_ne_u64_e32 vcc, s[56:57], v[36:37]
                                        ; implicit-def: $vgpr25
	s_and_saveexec_b64 s[20:21], vcc
	s_xor_b64 s[88:89], exec, s[20:21]
	s_cbranch_execz .LBB4_2764
; %bb.2747:                             ;   in Loop: Header=BB4_2553 Depth=2
	v_and_b32_e32 v36, 0x7fffffff, v3
	v_cmp_gt_u64_e32 vcc, s[58:59], v[36:37]
	v_and_b32_sdwa v2, v3, s53 dst_sel:DWORD dst_unused:UNUSED_PAD src0_sel:BYTE_3 src1_sel:DWORD
                                        ; implicit-def: $vgpr25
	s_and_saveexec_b64 s[20:21], vcc
	s_xor_b64 s[90:91], exec, s[20:21]
	s_cbranch_execz .LBB4_2761
; %bb.2748:                             ;   in Loop: Header=BB4_2553 Depth=2
	v_cmp_ne_u32_e32 vcc, 0, v3
	v_mov_b32_e32 v25, 0
	s_and_saveexec_b64 s[92:93], vcc
	s_cbranch_execz .LBB4_2760
; %bb.2749:                             ;   in Loop: Header=BB4_2553 Depth=2
	v_and_b32_e32 v8, 0x7fffff, v3
	v_bfe_u32 v3, v3, 23, 8
	v_cmp_gt_u32_e64 s[20:21], s54, v3
	v_sub_u32_e32 v7, 0x79, v3
	v_cmp_eq_u32_e32 vcc, 0, v3
	v_cndmask_b32_e64 v7, 0, v7, s[20:21]
	v_or_b32_e32 v9, 0x800000, v8
	v_cndmask_b32_e32 v7, v7, v31, vcc
	v_cndmask_b32_e32 v36, v9, v8, vcc
	v_add_u32_e32 v8, 20, v7
	v_lshlrev_b64 v[8:9], v8, -1
	v_add_u32_e32 v16, 19, v7
	v_lshlrev_b64 v[16:17], v16, 1
	v_bfi_b32 v9, v9, 0, 0
	v_bfi_b32 v8, v8, 0, v36
	v_cmp_eq_u64_e64 s[20:21], v[8:9], v[16:17]
	v_lshrrev_b64 v[16:17], v7, v[36:37]
	v_mov_b32_e32 v51, v17
	v_mov_b32_e32 v50, v16
	s_and_saveexec_b64 s[94:95], s[20:21]
; %bb.2750:                             ;   in Loop: Header=BB4_2553 Depth=2
	v_bfe_u32 v8, v16, 20, 1
	v_add_co_u32_e64 v8, s[20:21], v16, v8
	v_add_co_u32_e64 v50, s[20:21], -1, v8
; %bb.2751:                             ;   in Loop: Header=BB4_2553 Depth=2
	s_or_b64 exec, exec, s[94:95]
	v_add_u32_e32 v3, 0xffffff81, v3
	v_cndmask_b32_e32 v3, v3, v62, vcc
	v_lshrrev_b32_e32 v8, 23, v16
	v_add3_u32 v8, v7, v3, v8
	v_add_u32_e32 v7, 6, v8
	v_and_b32_e32 v3, 0xfffff, v50
	v_add_u32_e32 v36, v3, v16
	v_cmp_ne_u32_e32 vcc, 0, v7
                                        ; implicit-def: $vgpr16_vgpr17
                                        ; implicit-def: $vgpr3
	s_and_saveexec_b64 s[20:21], vcc
	s_xor_b64 s[20:21], exec, s[20:21]
; %bb.2752:                             ;   in Loop: Header=BB4_2553 Depth=2
	v_cmp_lt_u64_e32 vcc, s[60:61], v[36:37]
	v_add_u32_e32 v3, 7, v8
	v_cndmask_b32_e32 v3, v7, v3, vcc
	v_cndmask_b32_e64 v7, 0, 1, vcc
	v_lshrrev_b64 v[16:17], v7, v[36:37]
; %bb.2753:                             ;   in Loop: Header=BB4_2553 Depth=2
	s_andn2_saveexec_b64 s[20:21], s[20:21]
; %bb.2754:                             ;   in Loop: Header=BB4_2553 Depth=2
	v_mov_b32_e32 v16, v36
	v_bfe_u32 v3, v36, 23, 1
	v_mov_b32_e32 v17, v37
; %bb.2755:                             ;   in Loop: Header=BB4_2553 Depth=2
	s_or_b64 exec, exec, s[20:21]
	v_lshrrev_b64 v[7:8], 20, v[16:17]
	v_cmp_gt_i32_e32 vcc, 16, v3
	v_cndmask_b32_e32 v17, 0, v8, vcc
	v_cndmask_b32_e32 v16, 7, v7, vcc
	v_cmp_ne_u64_e32 vcc, 0, v[16:17]
	v_cmp_ne_u32_e64 s[20:21], 0, v3
	s_or_b64 s[20:21], s[20:21], vcc
                                        ; implicit-def: $vgpr25
	s_and_saveexec_b64 s[94:95], s[20:21]
	s_xor_b64 s[20:21], exec, s[94:95]
; %bb.2756:                             ;   in Loop: Header=BB4_2553 Depth=2
	v_min_i32_e32 v3, 15, v3
	v_lshl_or_b32 v2, v3, 3, v2
	v_and_or_b32 v25, v16, 7, v2
                                        ; implicit-def: $vgpr2
; %bb.2757:                             ;   in Loop: Header=BB4_2553 Depth=2
	s_andn2_saveexec_b64 s[20:21], s[20:21]
; %bb.2758:                             ;   in Loop: Header=BB4_2553 Depth=2
	v_mov_b32_e32 v25, v2
; %bb.2759:                             ;   in Loop: Header=BB4_2553 Depth=2
	s_or_b64 exec, exec, s[20:21]
.LBB4_2760:                             ;   in Loop: Header=BB4_2553 Depth=2
	s_or_b64 exec, exec, s[92:93]
                                        ; implicit-def: $vgpr2
.LBB4_2761:                             ;   in Loop: Header=BB4_2553 Depth=2
	s_andn2_saveexec_b64 s[20:21], s[90:91]
; %bb.2762:                             ;   in Loop: Header=BB4_2553 Depth=2
	v_or_b32_e32 v25, 0x7e, v2
; %bb.2763:                             ;   in Loop: Header=BB4_2553 Depth=2
	s_or_b64 exec, exec, s[20:21]
                                        ; implicit-def: $vgpr3
.LBB4_2764:                             ;   in Loop: Header=BB4_2553 Depth=2
	s_andn2_saveexec_b64 s[20:21], s[88:89]
; %bb.2765:                             ;   in Loop: Header=BB4_2553 Depth=2
	v_or_b32_sdwa v25, v3, s51 dst_sel:DWORD dst_unused:UNUSED_PAD src0_sel:BYTE_3 src1_sel:DWORD
; %bb.2766:                             ;   in Loop: Header=BB4_2553 Depth=2
	s_or_b64 exec, exec, s[20:21]
	flat_load_ubyte v2, v[10:11] offset:512 glc slc
	v_mov_b32_e32 v3, 0
	s_waitcnt vmcnt(0) lgkmcnt(0)
	v_cmp_ne_u16_e32 vcc, 0, v2
	s_and_saveexec_b64 s[20:21], vcc
	s_cbranch_execz .LBB4_2772
; %bb.2767:                             ;   in Loop: Header=BB4_2553 Depth=2
	v_cmp_ne_u16_e32 vcc, s53, v2
	v_bfrev_b32_e32 v3, 1
	s_and_saveexec_b64 s[88:89], vcc
	s_cbranch_execz .LBB4_2771
; %bb.2768:                             ;   in Loop: Header=BB4_2553 Depth=2
	v_and_b32_e32 v16, 0xffff, v2
	v_and_b32_e32 v7, 0x7f, v16
	v_cmp_ne_u32_e32 vcc, s51, v7
	v_mov_b32_e32 v3, 0x7f800001
	s_and_saveexec_b64 s[90:91], vcc
	s_cbranch_execz .LBB4_2770
; %bb.2769:                             ;   in Loop: Header=BB4_2553 Depth=2
	v_and_b32_e32 v3, 7, v16
	v_lshrrev_b32_e32 v9, 3, v7
	v_cmp_gt_u32_e32 vcc, 8, v7
	v_ffbh_u32_e32 v7, v3
	v_min_u32_e32 v17, 32, v7
	v_subrev_u32_e32 v7, 28, v17
	v_lshlrev_b64 v[7:8], v7, v[16:17]
	v_sub_u32_e32 v8, 29, v17
	v_and_b32_e32 v7, 7, v7
	v_cndmask_b32_e32 v8, v9, v8, vcc
	v_cndmask_b32_e32 v3, v3, v7, vcc
	v_lshlrev_b32_e32 v2, 24, v2
	v_lshlrev_b32_e32 v3, 20, v3
	v_and_b32_e32 v2, 0x80000000, v2
	v_lshl_add_u32 v7, v8, 23, v58
	v_or3_b32 v3, v2, v7, v3
.LBB4_2770:                             ;   in Loop: Header=BB4_2553 Depth=2
	s_or_b64 exec, exec, s[90:91]
.LBB4_2771:                             ;   in Loop: Header=BB4_2553 Depth=2
	s_or_b64 exec, exec, s[88:89]
.LBB4_2772:                             ;   in Loop: Header=BB4_2553 Depth=2
	s_or_b64 exec, exec, s[20:21]
	v_mul_f32_e32 v3, s30, v3
	v_and_b32_e32 v36, 0x7f800000, v3
	v_cmp_ne_u64_e32 vcc, s[56:57], v[36:37]
                                        ; implicit-def: $vgpr24
	s_and_saveexec_b64 s[20:21], vcc
	s_xor_b64 s[88:89], exec, s[20:21]
	s_cbranch_execz .LBB4_2790
; %bb.2773:                             ;   in Loop: Header=BB4_2553 Depth=2
	v_and_b32_e32 v36, 0x7fffffff, v3
	v_cmp_gt_u64_e32 vcc, s[58:59], v[36:37]
	v_and_b32_sdwa v2, v3, s53 dst_sel:DWORD dst_unused:UNUSED_PAD src0_sel:BYTE_3 src1_sel:DWORD
                                        ; implicit-def: $vgpr24
	s_and_saveexec_b64 s[20:21], vcc
	s_xor_b64 s[90:91], exec, s[20:21]
	s_cbranch_execz .LBB4_2787
; %bb.2774:                             ;   in Loop: Header=BB4_2553 Depth=2
	v_cmp_ne_u32_e32 vcc, 0, v3
	v_mov_b32_e32 v24, 0
	s_and_saveexec_b64 s[92:93], vcc
	s_cbranch_execz .LBB4_2786
; %bb.2775:                             ;   in Loop: Header=BB4_2553 Depth=2
	v_and_b32_e32 v8, 0x7fffff, v3
	v_bfe_u32 v3, v3, 23, 8
	v_cmp_gt_u32_e64 s[20:21], s54, v3
	v_sub_u32_e32 v7, 0x79, v3
	v_cmp_eq_u32_e32 vcc, 0, v3
	v_cndmask_b32_e64 v7, 0, v7, s[20:21]
	v_or_b32_e32 v9, 0x800000, v8
	v_cndmask_b32_e32 v7, v7, v31, vcc
	v_cndmask_b32_e32 v36, v9, v8, vcc
	v_add_u32_e32 v8, 20, v7
	v_lshlrev_b64 v[8:9], v8, -1
	v_add_u32_e32 v16, 19, v7
	v_lshlrev_b64 v[16:17], v16, 1
	v_bfi_b32 v9, v9, 0, 0
	v_bfi_b32 v8, v8, 0, v36
	v_cmp_eq_u64_e64 s[20:21], v[8:9], v[16:17]
	v_lshrrev_b64 v[16:17], v7, v[36:37]
	v_mov_b32_e32 v51, v17
	v_mov_b32_e32 v50, v16
	s_and_saveexec_b64 s[94:95], s[20:21]
; %bb.2776:                             ;   in Loop: Header=BB4_2553 Depth=2
	v_bfe_u32 v8, v16, 20, 1
	v_add_co_u32_e64 v8, s[20:21], v16, v8
	v_add_co_u32_e64 v50, s[20:21], -1, v8
; %bb.2777:                             ;   in Loop: Header=BB4_2553 Depth=2
	s_or_b64 exec, exec, s[94:95]
	v_add_u32_e32 v3, 0xffffff81, v3
	v_cndmask_b32_e32 v3, v3, v62, vcc
	v_lshrrev_b32_e32 v8, 23, v16
	v_add3_u32 v8, v7, v3, v8
	v_add_u32_e32 v7, 6, v8
	v_and_b32_e32 v3, 0xfffff, v50
	v_add_u32_e32 v36, v3, v16
	v_cmp_ne_u32_e32 vcc, 0, v7
                                        ; implicit-def: $vgpr16_vgpr17
                                        ; implicit-def: $vgpr3
	s_and_saveexec_b64 s[20:21], vcc
	s_xor_b64 s[20:21], exec, s[20:21]
; %bb.2778:                             ;   in Loop: Header=BB4_2553 Depth=2
	v_cmp_lt_u64_e32 vcc, s[60:61], v[36:37]
	v_add_u32_e32 v3, 7, v8
	v_cndmask_b32_e32 v3, v7, v3, vcc
	v_cndmask_b32_e64 v7, 0, 1, vcc
	v_lshrrev_b64 v[16:17], v7, v[36:37]
; %bb.2779:                             ;   in Loop: Header=BB4_2553 Depth=2
	s_andn2_saveexec_b64 s[20:21], s[20:21]
; %bb.2780:                             ;   in Loop: Header=BB4_2553 Depth=2
	v_mov_b32_e32 v16, v36
	v_bfe_u32 v3, v36, 23, 1
	v_mov_b32_e32 v17, v37
; %bb.2781:                             ;   in Loop: Header=BB4_2553 Depth=2
	s_or_b64 exec, exec, s[20:21]
	v_lshrrev_b64 v[7:8], 20, v[16:17]
	v_cmp_gt_i32_e32 vcc, 16, v3
	v_cndmask_b32_e32 v17, 0, v8, vcc
	v_cndmask_b32_e32 v16, 7, v7, vcc
	v_cmp_ne_u64_e32 vcc, 0, v[16:17]
	v_cmp_ne_u32_e64 s[20:21], 0, v3
	s_or_b64 s[20:21], s[20:21], vcc
                                        ; implicit-def: $vgpr24
	s_and_saveexec_b64 s[94:95], s[20:21]
	s_xor_b64 s[20:21], exec, s[94:95]
; %bb.2782:                             ;   in Loop: Header=BB4_2553 Depth=2
	v_min_i32_e32 v3, 15, v3
	v_lshl_or_b32 v2, v3, 3, v2
	v_and_or_b32 v24, v16, 7, v2
                                        ; implicit-def: $vgpr2
; %bb.2783:                             ;   in Loop: Header=BB4_2553 Depth=2
	s_andn2_saveexec_b64 s[20:21], s[20:21]
; %bb.2784:                             ;   in Loop: Header=BB4_2553 Depth=2
	v_mov_b32_e32 v24, v2
; %bb.2785:                             ;   in Loop: Header=BB4_2553 Depth=2
	s_or_b64 exec, exec, s[20:21]
.LBB4_2786:                             ;   in Loop: Header=BB4_2553 Depth=2
	s_or_b64 exec, exec, s[92:93]
                                        ; implicit-def: $vgpr2
.LBB4_2787:                             ;   in Loop: Header=BB4_2553 Depth=2
	s_andn2_saveexec_b64 s[20:21], s[90:91]
; %bb.2788:                             ;   in Loop: Header=BB4_2553 Depth=2
	v_or_b32_e32 v24, 0x7e, v2
; %bb.2789:                             ;   in Loop: Header=BB4_2553 Depth=2
	s_or_b64 exec, exec, s[20:21]
                                        ; implicit-def: $vgpr3
.LBB4_2790:                             ;   in Loop: Header=BB4_2553 Depth=2
	s_andn2_saveexec_b64 s[20:21], s[88:89]
; %bb.2791:                             ;   in Loop: Header=BB4_2553 Depth=2
	v_or_b32_sdwa v24, v3, s51 dst_sel:DWORD dst_unused:UNUSED_PAD src0_sel:BYTE_3 src1_sel:DWORD
; %bb.2792:                             ;   in Loop: Header=BB4_2553 Depth=2
	s_or_b64 exec, exec, s[20:21]
	flat_load_ubyte v2, v[10:11] offset:576 glc slc
	v_mov_b32_e32 v3, 0
	s_waitcnt vmcnt(0) lgkmcnt(0)
	v_cmp_ne_u16_e32 vcc, 0, v2
	s_and_saveexec_b64 s[20:21], vcc
	s_cbranch_execz .LBB4_2798
; %bb.2793:                             ;   in Loop: Header=BB4_2553 Depth=2
	v_cmp_ne_u16_e32 vcc, s53, v2
	v_bfrev_b32_e32 v3, 1
	s_and_saveexec_b64 s[88:89], vcc
	s_cbranch_execz .LBB4_2797
; %bb.2794:                             ;   in Loop: Header=BB4_2553 Depth=2
	v_and_b32_e32 v16, 0xffff, v2
	v_and_b32_e32 v7, 0x7f, v16
	v_cmp_ne_u32_e32 vcc, s51, v7
	v_mov_b32_e32 v3, 0x7f800001
	s_and_saveexec_b64 s[90:91], vcc
	s_cbranch_execz .LBB4_2796
; %bb.2795:                             ;   in Loop: Header=BB4_2553 Depth=2
	v_and_b32_e32 v3, 7, v16
	v_lshrrev_b32_e32 v9, 3, v7
	v_cmp_gt_u32_e32 vcc, 8, v7
	v_ffbh_u32_e32 v7, v3
	v_min_u32_e32 v17, 32, v7
	v_subrev_u32_e32 v7, 28, v17
	v_lshlrev_b64 v[7:8], v7, v[16:17]
	v_sub_u32_e32 v8, 29, v17
	v_and_b32_e32 v7, 7, v7
	v_cndmask_b32_e32 v8, v9, v8, vcc
	v_cndmask_b32_e32 v3, v3, v7, vcc
	v_lshlrev_b32_e32 v2, 24, v2
	v_lshlrev_b32_e32 v3, 20, v3
	v_and_b32_e32 v2, 0x80000000, v2
	v_lshl_add_u32 v7, v8, 23, v58
	v_or3_b32 v3, v2, v7, v3
.LBB4_2796:                             ;   in Loop: Header=BB4_2553 Depth=2
	s_or_b64 exec, exec, s[90:91]
.LBB4_2797:                             ;   in Loop: Header=BB4_2553 Depth=2
	s_or_b64 exec, exec, s[88:89]
.LBB4_2798:                             ;   in Loop: Header=BB4_2553 Depth=2
	s_or_b64 exec, exec, s[20:21]
	v_mul_f32_e32 v3, s30, v3
	v_and_b32_e32 v36, 0x7f800000, v3
	v_cmp_ne_u64_e32 vcc, s[56:57], v[36:37]
                                        ; implicit-def: $vgpr21
	s_and_saveexec_b64 s[20:21], vcc
	s_xor_b64 s[88:89], exec, s[20:21]
	s_cbranch_execz .LBB4_2816
; %bb.2799:                             ;   in Loop: Header=BB4_2553 Depth=2
	v_and_b32_e32 v36, 0x7fffffff, v3
	v_cmp_gt_u64_e32 vcc, s[58:59], v[36:37]
	v_and_b32_sdwa v2, v3, s53 dst_sel:DWORD dst_unused:UNUSED_PAD src0_sel:BYTE_3 src1_sel:DWORD
                                        ; implicit-def: $vgpr21
	s_and_saveexec_b64 s[20:21], vcc
	s_xor_b64 s[90:91], exec, s[20:21]
	s_cbranch_execz .LBB4_2813
; %bb.2800:                             ;   in Loop: Header=BB4_2553 Depth=2
	v_cmp_ne_u32_e32 vcc, 0, v3
	v_mov_b32_e32 v21, 0
	s_and_saveexec_b64 s[92:93], vcc
	s_cbranch_execz .LBB4_2812
; %bb.2801:                             ;   in Loop: Header=BB4_2553 Depth=2
	v_and_b32_e32 v8, 0x7fffff, v3
	v_bfe_u32 v3, v3, 23, 8
	v_cmp_gt_u32_e64 s[20:21], s54, v3
	v_sub_u32_e32 v7, 0x79, v3
	v_cmp_eq_u32_e32 vcc, 0, v3
	v_cndmask_b32_e64 v7, 0, v7, s[20:21]
	v_or_b32_e32 v9, 0x800000, v8
	v_cndmask_b32_e32 v7, v7, v31, vcc
	v_cndmask_b32_e32 v36, v9, v8, vcc
	v_add_u32_e32 v8, 20, v7
	v_lshlrev_b64 v[8:9], v8, -1
	v_add_u32_e32 v16, 19, v7
	v_lshlrev_b64 v[16:17], v16, 1
	v_bfi_b32 v9, v9, 0, 0
	v_bfi_b32 v8, v8, 0, v36
	v_cmp_eq_u64_e64 s[20:21], v[8:9], v[16:17]
	v_lshrrev_b64 v[16:17], v7, v[36:37]
	v_mov_b32_e32 v51, v17
	v_mov_b32_e32 v50, v16
	s_and_saveexec_b64 s[94:95], s[20:21]
; %bb.2802:                             ;   in Loop: Header=BB4_2553 Depth=2
	v_bfe_u32 v8, v16, 20, 1
	v_add_co_u32_e64 v8, s[20:21], v16, v8
	v_add_co_u32_e64 v50, s[20:21], -1, v8
; %bb.2803:                             ;   in Loop: Header=BB4_2553 Depth=2
	s_or_b64 exec, exec, s[94:95]
	v_add_u32_e32 v3, 0xffffff81, v3
	v_cndmask_b32_e32 v3, v3, v62, vcc
	v_lshrrev_b32_e32 v8, 23, v16
	v_add3_u32 v8, v7, v3, v8
	v_add_u32_e32 v7, 6, v8
	v_and_b32_e32 v3, 0xfffff, v50
	v_add_u32_e32 v36, v3, v16
	v_cmp_ne_u32_e32 vcc, 0, v7
                                        ; implicit-def: $vgpr16_vgpr17
                                        ; implicit-def: $vgpr3
	s_and_saveexec_b64 s[20:21], vcc
	s_xor_b64 s[20:21], exec, s[20:21]
; %bb.2804:                             ;   in Loop: Header=BB4_2553 Depth=2
	v_cmp_lt_u64_e32 vcc, s[60:61], v[36:37]
	v_add_u32_e32 v3, 7, v8
	v_cndmask_b32_e32 v3, v7, v3, vcc
	v_cndmask_b32_e64 v7, 0, 1, vcc
	v_lshrrev_b64 v[16:17], v7, v[36:37]
; %bb.2805:                             ;   in Loop: Header=BB4_2553 Depth=2
	s_andn2_saveexec_b64 s[20:21], s[20:21]
; %bb.2806:                             ;   in Loop: Header=BB4_2553 Depth=2
	v_mov_b32_e32 v16, v36
	v_bfe_u32 v3, v36, 23, 1
	v_mov_b32_e32 v17, v37
; %bb.2807:                             ;   in Loop: Header=BB4_2553 Depth=2
	s_or_b64 exec, exec, s[20:21]
	v_lshrrev_b64 v[7:8], 20, v[16:17]
	v_cmp_gt_i32_e32 vcc, 16, v3
	v_cndmask_b32_e32 v17, 0, v8, vcc
	v_cndmask_b32_e32 v16, 7, v7, vcc
	v_cmp_ne_u64_e32 vcc, 0, v[16:17]
	v_cmp_ne_u32_e64 s[20:21], 0, v3
	s_or_b64 s[20:21], s[20:21], vcc
                                        ; implicit-def: $vgpr21
	s_and_saveexec_b64 s[94:95], s[20:21]
	s_xor_b64 s[20:21], exec, s[94:95]
; %bb.2808:                             ;   in Loop: Header=BB4_2553 Depth=2
	v_min_i32_e32 v3, 15, v3
	v_lshl_or_b32 v2, v3, 3, v2
	v_and_or_b32 v21, v16, 7, v2
                                        ; implicit-def: $vgpr2
; %bb.2809:                             ;   in Loop: Header=BB4_2553 Depth=2
	s_andn2_saveexec_b64 s[20:21], s[20:21]
; %bb.2810:                             ;   in Loop: Header=BB4_2553 Depth=2
	v_mov_b32_e32 v21, v2
; %bb.2811:                             ;   in Loop: Header=BB4_2553 Depth=2
	s_or_b64 exec, exec, s[20:21]
.LBB4_2812:                             ;   in Loop: Header=BB4_2553 Depth=2
	s_or_b64 exec, exec, s[92:93]
                                        ; implicit-def: $vgpr2
.LBB4_2813:                             ;   in Loop: Header=BB4_2553 Depth=2
	s_andn2_saveexec_b64 s[20:21], s[90:91]
; %bb.2814:                             ;   in Loop: Header=BB4_2553 Depth=2
	v_or_b32_e32 v21, 0x7e, v2
; %bb.2815:                             ;   in Loop: Header=BB4_2553 Depth=2
	s_or_b64 exec, exec, s[20:21]
                                        ; implicit-def: $vgpr3
.LBB4_2816:                             ;   in Loop: Header=BB4_2553 Depth=2
	s_andn2_saveexec_b64 s[20:21], s[88:89]
; %bb.2817:                             ;   in Loop: Header=BB4_2553 Depth=2
	v_or_b32_sdwa v21, v3, s51 dst_sel:DWORD dst_unused:UNUSED_PAD src0_sel:BYTE_3 src1_sel:DWORD
; %bb.2818:                             ;   in Loop: Header=BB4_2553 Depth=2
	s_or_b64 exec, exec, s[20:21]
	flat_load_ubyte v2, v[10:11] offset:640 glc slc
	v_mov_b32_e32 v3, 0
	s_waitcnt vmcnt(0) lgkmcnt(0)
	v_cmp_ne_u16_e32 vcc, 0, v2
	s_and_saveexec_b64 s[20:21], vcc
	s_cbranch_execz .LBB4_2824
; %bb.2819:                             ;   in Loop: Header=BB4_2553 Depth=2
	v_cmp_ne_u16_e32 vcc, s53, v2
	v_bfrev_b32_e32 v3, 1
	s_and_saveexec_b64 s[88:89], vcc
	s_cbranch_execz .LBB4_2823
; %bb.2820:                             ;   in Loop: Header=BB4_2553 Depth=2
	v_and_b32_e32 v16, 0xffff, v2
	v_and_b32_e32 v7, 0x7f, v16
	v_cmp_ne_u32_e32 vcc, s51, v7
	v_mov_b32_e32 v3, 0x7f800001
	s_and_saveexec_b64 s[90:91], vcc
	s_cbranch_execz .LBB4_2822
; %bb.2821:                             ;   in Loop: Header=BB4_2553 Depth=2
	v_and_b32_e32 v3, 7, v16
	v_lshrrev_b32_e32 v9, 3, v7
	v_cmp_gt_u32_e32 vcc, 8, v7
	v_ffbh_u32_e32 v7, v3
	v_min_u32_e32 v17, 32, v7
	v_subrev_u32_e32 v7, 28, v17
	v_lshlrev_b64 v[7:8], v7, v[16:17]
	v_sub_u32_e32 v8, 29, v17
	v_and_b32_e32 v7, 7, v7
	v_cndmask_b32_e32 v8, v9, v8, vcc
	v_cndmask_b32_e32 v3, v3, v7, vcc
	v_lshlrev_b32_e32 v2, 24, v2
	v_lshlrev_b32_e32 v3, 20, v3
	v_and_b32_e32 v2, 0x80000000, v2
	v_lshl_add_u32 v7, v8, 23, v58
	v_or3_b32 v3, v2, v7, v3
.LBB4_2822:                             ;   in Loop: Header=BB4_2553 Depth=2
	s_or_b64 exec, exec, s[90:91]
.LBB4_2823:                             ;   in Loop: Header=BB4_2553 Depth=2
	s_or_b64 exec, exec, s[88:89]
.LBB4_2824:                             ;   in Loop: Header=BB4_2553 Depth=2
	s_or_b64 exec, exec, s[20:21]
	v_mul_f32_e32 v3, s30, v3
	v_and_b32_e32 v36, 0x7f800000, v3
	v_cmp_ne_u64_e32 vcc, s[56:57], v[36:37]
                                        ; implicit-def: $vgpr20
	s_and_saveexec_b64 s[20:21], vcc
	s_xor_b64 s[88:89], exec, s[20:21]
	s_cbranch_execz .LBB4_2842
; %bb.2825:                             ;   in Loop: Header=BB4_2553 Depth=2
	v_and_b32_e32 v36, 0x7fffffff, v3
	v_cmp_gt_u64_e32 vcc, s[58:59], v[36:37]
	v_and_b32_sdwa v2, v3, s53 dst_sel:DWORD dst_unused:UNUSED_PAD src0_sel:BYTE_3 src1_sel:DWORD
                                        ; implicit-def: $vgpr20
	s_and_saveexec_b64 s[20:21], vcc
	s_xor_b64 s[90:91], exec, s[20:21]
	s_cbranch_execz .LBB4_2839
; %bb.2826:                             ;   in Loop: Header=BB4_2553 Depth=2
	v_cmp_ne_u32_e32 vcc, 0, v3
	v_mov_b32_e32 v20, 0
	s_and_saveexec_b64 s[92:93], vcc
	s_cbranch_execz .LBB4_2838
; %bb.2827:                             ;   in Loop: Header=BB4_2553 Depth=2
	v_and_b32_e32 v8, 0x7fffff, v3
	v_bfe_u32 v3, v3, 23, 8
	v_cmp_gt_u32_e64 s[20:21], s54, v3
	v_sub_u32_e32 v7, 0x79, v3
	v_cmp_eq_u32_e32 vcc, 0, v3
	v_cndmask_b32_e64 v7, 0, v7, s[20:21]
	v_or_b32_e32 v9, 0x800000, v8
	v_cndmask_b32_e32 v7, v7, v31, vcc
	v_cndmask_b32_e32 v36, v9, v8, vcc
	v_add_u32_e32 v8, 20, v7
	v_lshlrev_b64 v[8:9], v8, -1
	v_add_u32_e32 v16, 19, v7
	v_lshlrev_b64 v[16:17], v16, 1
	v_bfi_b32 v9, v9, 0, 0
	v_bfi_b32 v8, v8, 0, v36
	v_cmp_eq_u64_e64 s[20:21], v[8:9], v[16:17]
	v_lshrrev_b64 v[16:17], v7, v[36:37]
	v_mov_b32_e32 v51, v17
	v_mov_b32_e32 v50, v16
	s_and_saveexec_b64 s[94:95], s[20:21]
; %bb.2828:                             ;   in Loop: Header=BB4_2553 Depth=2
	v_bfe_u32 v8, v16, 20, 1
	v_add_co_u32_e64 v8, s[20:21], v16, v8
	v_add_co_u32_e64 v50, s[20:21], -1, v8
; %bb.2829:                             ;   in Loop: Header=BB4_2553 Depth=2
	s_or_b64 exec, exec, s[94:95]
	v_add_u32_e32 v3, 0xffffff81, v3
	v_cndmask_b32_e32 v3, v3, v62, vcc
	v_lshrrev_b32_e32 v8, 23, v16
	v_add3_u32 v8, v7, v3, v8
	v_add_u32_e32 v7, 6, v8
	v_and_b32_e32 v3, 0xfffff, v50
	v_add_u32_e32 v36, v3, v16
	v_cmp_ne_u32_e32 vcc, 0, v7
                                        ; implicit-def: $vgpr16_vgpr17
                                        ; implicit-def: $vgpr3
	s_and_saveexec_b64 s[20:21], vcc
	s_xor_b64 s[20:21], exec, s[20:21]
; %bb.2830:                             ;   in Loop: Header=BB4_2553 Depth=2
	v_cmp_lt_u64_e32 vcc, s[60:61], v[36:37]
	v_add_u32_e32 v3, 7, v8
	v_cndmask_b32_e32 v3, v7, v3, vcc
	v_cndmask_b32_e64 v7, 0, 1, vcc
	v_lshrrev_b64 v[16:17], v7, v[36:37]
; %bb.2831:                             ;   in Loop: Header=BB4_2553 Depth=2
	s_andn2_saveexec_b64 s[20:21], s[20:21]
; %bb.2832:                             ;   in Loop: Header=BB4_2553 Depth=2
	v_mov_b32_e32 v16, v36
	v_bfe_u32 v3, v36, 23, 1
	v_mov_b32_e32 v17, v37
; %bb.2833:                             ;   in Loop: Header=BB4_2553 Depth=2
	s_or_b64 exec, exec, s[20:21]
	v_lshrrev_b64 v[7:8], 20, v[16:17]
	v_cmp_gt_i32_e32 vcc, 16, v3
	v_cndmask_b32_e32 v17, 0, v8, vcc
	v_cndmask_b32_e32 v16, 7, v7, vcc
	v_cmp_ne_u64_e32 vcc, 0, v[16:17]
	v_cmp_ne_u32_e64 s[20:21], 0, v3
	s_or_b64 s[20:21], s[20:21], vcc
                                        ; implicit-def: $vgpr20
	s_and_saveexec_b64 s[94:95], s[20:21]
	s_xor_b64 s[20:21], exec, s[94:95]
; %bb.2834:                             ;   in Loop: Header=BB4_2553 Depth=2
	v_min_i32_e32 v3, 15, v3
	v_lshl_or_b32 v2, v3, 3, v2
	v_and_or_b32 v20, v16, 7, v2
                                        ; implicit-def: $vgpr2
; %bb.2835:                             ;   in Loop: Header=BB4_2553 Depth=2
	s_andn2_saveexec_b64 s[20:21], s[20:21]
; %bb.2836:                             ;   in Loop: Header=BB4_2553 Depth=2
	v_mov_b32_e32 v20, v2
; %bb.2837:                             ;   in Loop: Header=BB4_2553 Depth=2
	s_or_b64 exec, exec, s[20:21]
.LBB4_2838:                             ;   in Loop: Header=BB4_2553 Depth=2
	s_or_b64 exec, exec, s[92:93]
                                        ; implicit-def: $vgpr2
.LBB4_2839:                             ;   in Loop: Header=BB4_2553 Depth=2
	s_andn2_saveexec_b64 s[20:21], s[90:91]
; %bb.2840:                             ;   in Loop: Header=BB4_2553 Depth=2
	v_or_b32_e32 v20, 0x7e, v2
; %bb.2841:                             ;   in Loop: Header=BB4_2553 Depth=2
	s_or_b64 exec, exec, s[20:21]
                                        ; implicit-def: $vgpr3
.LBB4_2842:                             ;   in Loop: Header=BB4_2553 Depth=2
	s_andn2_saveexec_b64 s[20:21], s[88:89]
; %bb.2843:                             ;   in Loop: Header=BB4_2553 Depth=2
	v_or_b32_sdwa v20, v3, s51 dst_sel:DWORD dst_unused:UNUSED_PAD src0_sel:BYTE_3 src1_sel:DWORD
; %bb.2844:                             ;   in Loop: Header=BB4_2553 Depth=2
	s_or_b64 exec, exec, s[20:21]
	flat_load_ubyte v2, v[10:11] offset:704 glc slc
	v_mov_b32_e32 v3, 0
	s_waitcnt vmcnt(0) lgkmcnt(0)
	v_cmp_ne_u16_e32 vcc, 0, v2
	s_and_saveexec_b64 s[20:21], vcc
	s_cbranch_execz .LBB4_2850
; %bb.2845:                             ;   in Loop: Header=BB4_2553 Depth=2
	v_cmp_ne_u16_e32 vcc, s53, v2
	v_bfrev_b32_e32 v3, 1
	s_and_saveexec_b64 s[88:89], vcc
	s_cbranch_execz .LBB4_2849
; %bb.2846:                             ;   in Loop: Header=BB4_2553 Depth=2
	v_and_b32_e32 v16, 0xffff, v2
	v_and_b32_e32 v7, 0x7f, v16
	v_cmp_ne_u32_e32 vcc, s51, v7
	v_mov_b32_e32 v3, 0x7f800001
	s_and_saveexec_b64 s[90:91], vcc
	s_cbranch_execz .LBB4_2848
; %bb.2847:                             ;   in Loop: Header=BB4_2553 Depth=2
	v_and_b32_e32 v3, 7, v16
	v_lshrrev_b32_e32 v9, 3, v7
	v_cmp_gt_u32_e32 vcc, 8, v7
	v_ffbh_u32_e32 v7, v3
	v_min_u32_e32 v17, 32, v7
	v_subrev_u32_e32 v7, 28, v17
	v_lshlrev_b64 v[7:8], v7, v[16:17]
	v_sub_u32_e32 v8, 29, v17
	v_and_b32_e32 v7, 7, v7
	v_cndmask_b32_e32 v8, v9, v8, vcc
	v_cndmask_b32_e32 v3, v3, v7, vcc
	v_lshlrev_b32_e32 v2, 24, v2
	v_lshlrev_b32_e32 v3, 20, v3
	v_and_b32_e32 v2, 0x80000000, v2
	v_lshl_add_u32 v7, v8, 23, v58
	v_or3_b32 v3, v2, v7, v3
.LBB4_2848:                             ;   in Loop: Header=BB4_2553 Depth=2
	s_or_b64 exec, exec, s[90:91]
.LBB4_2849:                             ;   in Loop: Header=BB4_2553 Depth=2
	s_or_b64 exec, exec, s[88:89]
.LBB4_2850:                             ;   in Loop: Header=BB4_2553 Depth=2
	s_or_b64 exec, exec, s[20:21]
	v_mul_f32_e32 v3, s30, v3
	v_and_b32_e32 v36, 0x7f800000, v3
	v_cmp_ne_u64_e32 vcc, s[56:57], v[36:37]
                                        ; implicit-def: $vgpr19
	s_and_saveexec_b64 s[20:21], vcc
	s_xor_b64 s[88:89], exec, s[20:21]
	s_cbranch_execz .LBB4_2868
; %bb.2851:                             ;   in Loop: Header=BB4_2553 Depth=2
	v_and_b32_e32 v36, 0x7fffffff, v3
	v_cmp_gt_u64_e32 vcc, s[58:59], v[36:37]
	v_and_b32_sdwa v2, v3, s53 dst_sel:DWORD dst_unused:UNUSED_PAD src0_sel:BYTE_3 src1_sel:DWORD
                                        ; implicit-def: $vgpr19
	s_and_saveexec_b64 s[20:21], vcc
	s_xor_b64 s[90:91], exec, s[20:21]
	s_cbranch_execz .LBB4_2865
; %bb.2852:                             ;   in Loop: Header=BB4_2553 Depth=2
	v_cmp_ne_u32_e32 vcc, 0, v3
	v_mov_b32_e32 v19, 0
	s_and_saveexec_b64 s[92:93], vcc
	s_cbranch_execz .LBB4_2864
; %bb.2853:                             ;   in Loop: Header=BB4_2553 Depth=2
	v_and_b32_e32 v8, 0x7fffff, v3
	v_bfe_u32 v3, v3, 23, 8
	v_cmp_gt_u32_e64 s[20:21], s54, v3
	v_sub_u32_e32 v7, 0x79, v3
	v_cmp_eq_u32_e32 vcc, 0, v3
	v_cndmask_b32_e64 v7, 0, v7, s[20:21]
	v_or_b32_e32 v9, 0x800000, v8
	v_cndmask_b32_e32 v7, v7, v31, vcc
	v_cndmask_b32_e32 v36, v9, v8, vcc
	v_add_u32_e32 v8, 20, v7
	v_lshlrev_b64 v[8:9], v8, -1
	v_add_u32_e32 v16, 19, v7
	v_lshlrev_b64 v[16:17], v16, 1
	v_bfi_b32 v9, v9, 0, 0
	v_bfi_b32 v8, v8, 0, v36
	v_cmp_eq_u64_e64 s[20:21], v[8:9], v[16:17]
	v_lshrrev_b64 v[16:17], v7, v[36:37]
	v_mov_b32_e32 v51, v17
	v_mov_b32_e32 v50, v16
	s_and_saveexec_b64 s[94:95], s[20:21]
; %bb.2854:                             ;   in Loop: Header=BB4_2553 Depth=2
	v_bfe_u32 v8, v16, 20, 1
	v_add_co_u32_e64 v8, s[20:21], v16, v8
	v_add_co_u32_e64 v50, s[20:21], -1, v8
; %bb.2855:                             ;   in Loop: Header=BB4_2553 Depth=2
	s_or_b64 exec, exec, s[94:95]
	v_add_u32_e32 v3, 0xffffff81, v3
	v_cndmask_b32_e32 v3, v3, v62, vcc
	v_lshrrev_b32_e32 v8, 23, v16
	v_add3_u32 v8, v7, v3, v8
	v_add_u32_e32 v7, 6, v8
	v_and_b32_e32 v3, 0xfffff, v50
	v_add_u32_e32 v36, v3, v16
	v_cmp_ne_u32_e32 vcc, 0, v7
                                        ; implicit-def: $vgpr16_vgpr17
                                        ; implicit-def: $vgpr3
	s_and_saveexec_b64 s[20:21], vcc
	s_xor_b64 s[20:21], exec, s[20:21]
; %bb.2856:                             ;   in Loop: Header=BB4_2553 Depth=2
	v_cmp_lt_u64_e32 vcc, s[60:61], v[36:37]
	v_add_u32_e32 v3, 7, v8
	v_cndmask_b32_e32 v3, v7, v3, vcc
	v_cndmask_b32_e64 v7, 0, 1, vcc
	v_lshrrev_b64 v[16:17], v7, v[36:37]
; %bb.2857:                             ;   in Loop: Header=BB4_2553 Depth=2
	s_andn2_saveexec_b64 s[20:21], s[20:21]
; %bb.2858:                             ;   in Loop: Header=BB4_2553 Depth=2
	v_mov_b32_e32 v16, v36
	v_bfe_u32 v3, v36, 23, 1
	v_mov_b32_e32 v17, v37
; %bb.2859:                             ;   in Loop: Header=BB4_2553 Depth=2
	s_or_b64 exec, exec, s[20:21]
	v_lshrrev_b64 v[7:8], 20, v[16:17]
	v_cmp_gt_i32_e32 vcc, 16, v3
	v_cndmask_b32_e32 v17, 0, v8, vcc
	v_cndmask_b32_e32 v16, 7, v7, vcc
	v_cmp_ne_u64_e32 vcc, 0, v[16:17]
	v_cmp_ne_u32_e64 s[20:21], 0, v3
	s_or_b64 s[20:21], s[20:21], vcc
                                        ; implicit-def: $vgpr19
	s_and_saveexec_b64 s[94:95], s[20:21]
	s_xor_b64 s[20:21], exec, s[94:95]
; %bb.2860:                             ;   in Loop: Header=BB4_2553 Depth=2
	v_min_i32_e32 v3, 15, v3
	v_lshl_or_b32 v2, v3, 3, v2
	v_and_or_b32 v19, v16, 7, v2
                                        ; implicit-def: $vgpr2
; %bb.2861:                             ;   in Loop: Header=BB4_2553 Depth=2
	s_andn2_saveexec_b64 s[20:21], s[20:21]
; %bb.2862:                             ;   in Loop: Header=BB4_2553 Depth=2
	v_mov_b32_e32 v19, v2
; %bb.2863:                             ;   in Loop: Header=BB4_2553 Depth=2
	s_or_b64 exec, exec, s[20:21]
.LBB4_2864:                             ;   in Loop: Header=BB4_2553 Depth=2
	s_or_b64 exec, exec, s[92:93]
                                        ; implicit-def: $vgpr2
.LBB4_2865:                             ;   in Loop: Header=BB4_2553 Depth=2
	s_andn2_saveexec_b64 s[20:21], s[90:91]
; %bb.2866:                             ;   in Loop: Header=BB4_2553 Depth=2
	v_or_b32_e32 v19, 0x7e, v2
; %bb.2867:                             ;   in Loop: Header=BB4_2553 Depth=2
	s_or_b64 exec, exec, s[20:21]
                                        ; implicit-def: $vgpr3
.LBB4_2868:                             ;   in Loop: Header=BB4_2553 Depth=2
	s_andn2_saveexec_b64 s[20:21], s[88:89]
; %bb.2869:                             ;   in Loop: Header=BB4_2553 Depth=2
	v_or_b32_sdwa v19, v3, s51 dst_sel:DWORD dst_unused:UNUSED_PAD src0_sel:BYTE_3 src1_sel:DWORD
; %bb.2870:                             ;   in Loop: Header=BB4_2553 Depth=2
	s_or_b64 exec, exec, s[20:21]
	flat_load_ubyte v2, v[10:11] offset:768 glc slc
	v_mov_b32_e32 v3, 0
	s_waitcnt vmcnt(0) lgkmcnt(0)
	v_cmp_ne_u16_e32 vcc, 0, v2
	s_and_saveexec_b64 s[20:21], vcc
	s_cbranch_execz .LBB4_2876
; %bb.2871:                             ;   in Loop: Header=BB4_2553 Depth=2
	v_cmp_ne_u16_e32 vcc, s53, v2
	v_bfrev_b32_e32 v3, 1
	s_and_saveexec_b64 s[88:89], vcc
	s_cbranch_execz .LBB4_2875
; %bb.2872:                             ;   in Loop: Header=BB4_2553 Depth=2
	v_and_b32_e32 v16, 0xffff, v2
	v_and_b32_e32 v7, 0x7f, v16
	v_cmp_ne_u32_e32 vcc, s51, v7
	v_mov_b32_e32 v3, 0x7f800001
	s_and_saveexec_b64 s[90:91], vcc
	s_cbranch_execz .LBB4_2874
; %bb.2873:                             ;   in Loop: Header=BB4_2553 Depth=2
	v_and_b32_e32 v3, 7, v16
	v_lshrrev_b32_e32 v9, 3, v7
	v_cmp_gt_u32_e32 vcc, 8, v7
	v_ffbh_u32_e32 v7, v3
	v_min_u32_e32 v17, 32, v7
	v_subrev_u32_e32 v7, 28, v17
	v_lshlrev_b64 v[7:8], v7, v[16:17]
	v_sub_u32_e32 v8, 29, v17
	v_and_b32_e32 v7, 7, v7
	v_cndmask_b32_e32 v8, v9, v8, vcc
	v_cndmask_b32_e32 v3, v3, v7, vcc
	v_lshlrev_b32_e32 v2, 24, v2
	v_lshlrev_b32_e32 v3, 20, v3
	v_and_b32_e32 v2, 0x80000000, v2
	v_lshl_add_u32 v7, v8, 23, v58
	v_or3_b32 v3, v2, v7, v3
.LBB4_2874:                             ;   in Loop: Header=BB4_2553 Depth=2
	s_or_b64 exec, exec, s[90:91]
.LBB4_2875:                             ;   in Loop: Header=BB4_2553 Depth=2
	s_or_b64 exec, exec, s[88:89]
.LBB4_2876:                             ;   in Loop: Header=BB4_2553 Depth=2
	s_or_b64 exec, exec, s[20:21]
	v_mul_f32_e32 v3, s30, v3
	v_and_b32_e32 v36, 0x7f800000, v3
	v_cmp_ne_u64_e32 vcc, s[56:57], v[36:37]
                                        ; implicit-def: $vgpr9
	s_and_saveexec_b64 s[20:21], vcc
	s_xor_b64 s[88:89], exec, s[20:21]
	s_cbranch_execz .LBB4_2894
; %bb.2877:                             ;   in Loop: Header=BB4_2553 Depth=2
	v_and_b32_e32 v36, 0x7fffffff, v3
	v_cmp_gt_u64_e32 vcc, s[58:59], v[36:37]
	v_and_b32_sdwa v2, v3, s53 dst_sel:DWORD dst_unused:UNUSED_PAD src0_sel:BYTE_3 src1_sel:DWORD
                                        ; implicit-def: $vgpr9
	s_and_saveexec_b64 s[20:21], vcc
	s_xor_b64 s[90:91], exec, s[20:21]
	s_cbranch_execz .LBB4_2891
; %bb.2878:                             ;   in Loop: Header=BB4_2553 Depth=2
	v_cmp_ne_u32_e32 vcc, 0, v3
	v_mov_b32_e32 v9, 0
	s_and_saveexec_b64 s[92:93], vcc
	s_cbranch_execz .LBB4_2890
; %bb.2879:                             ;   in Loop: Header=BB4_2553 Depth=2
	v_and_b32_e32 v8, 0x7fffff, v3
	v_bfe_u32 v3, v3, 23, 8
	v_cmp_gt_u32_e64 s[20:21], s54, v3
	v_sub_u32_e32 v7, 0x79, v3
	v_cmp_eq_u32_e32 vcc, 0, v3
	v_cndmask_b32_e64 v7, 0, v7, s[20:21]
	v_or_b32_e32 v9, 0x800000, v8
	v_cndmask_b32_e32 v7, v7, v31, vcc
	v_cndmask_b32_e32 v36, v9, v8, vcc
	v_add_u32_e32 v8, 20, v7
	v_lshlrev_b64 v[8:9], v8, -1
	v_add_u32_e32 v16, 19, v7
	v_lshlrev_b64 v[16:17], v16, 1
	v_bfi_b32 v9, v9, 0, 0
	v_bfi_b32 v8, v8, 0, v36
	v_cmp_eq_u64_e64 s[20:21], v[8:9], v[16:17]
	v_lshrrev_b64 v[16:17], v7, v[36:37]
	v_mov_b32_e32 v51, v17
	v_mov_b32_e32 v50, v16
	s_and_saveexec_b64 s[94:95], s[20:21]
; %bb.2880:                             ;   in Loop: Header=BB4_2553 Depth=2
	v_bfe_u32 v8, v16, 20, 1
	v_add_co_u32_e64 v8, s[20:21], v16, v8
	v_add_co_u32_e64 v50, s[20:21], -1, v8
; %bb.2881:                             ;   in Loop: Header=BB4_2553 Depth=2
	s_or_b64 exec, exec, s[94:95]
	v_add_u32_e32 v3, 0xffffff81, v3
	v_cndmask_b32_e32 v3, v3, v62, vcc
	v_lshrrev_b32_e32 v8, 23, v16
	v_add3_u32 v8, v7, v3, v8
	v_add_u32_e32 v7, 6, v8
	v_and_b32_e32 v3, 0xfffff, v50
	v_add_u32_e32 v36, v3, v16
	v_cmp_ne_u32_e32 vcc, 0, v7
                                        ; implicit-def: $vgpr16_vgpr17
                                        ; implicit-def: $vgpr3
	s_and_saveexec_b64 s[20:21], vcc
	s_xor_b64 s[20:21], exec, s[20:21]
; %bb.2882:                             ;   in Loop: Header=BB4_2553 Depth=2
	v_cmp_lt_u64_e32 vcc, s[60:61], v[36:37]
	v_add_u32_e32 v3, 7, v8
	v_cndmask_b32_e32 v3, v7, v3, vcc
	v_cndmask_b32_e64 v7, 0, 1, vcc
	v_lshrrev_b64 v[16:17], v7, v[36:37]
; %bb.2883:                             ;   in Loop: Header=BB4_2553 Depth=2
	s_andn2_saveexec_b64 s[20:21], s[20:21]
; %bb.2884:                             ;   in Loop: Header=BB4_2553 Depth=2
	v_mov_b32_e32 v16, v36
	v_bfe_u32 v3, v36, 23, 1
	v_mov_b32_e32 v17, v37
; %bb.2885:                             ;   in Loop: Header=BB4_2553 Depth=2
	s_or_b64 exec, exec, s[20:21]
	v_lshrrev_b64 v[7:8], 20, v[16:17]
	v_cmp_gt_i32_e32 vcc, 16, v3
	v_cndmask_b32_e32 v17, 0, v8, vcc
	v_cndmask_b32_e32 v16, 7, v7, vcc
	v_cmp_ne_u64_e32 vcc, 0, v[16:17]
	v_cmp_ne_u32_e64 s[20:21], 0, v3
	s_or_b64 s[20:21], s[20:21], vcc
                                        ; implicit-def: $vgpr9
	s_and_saveexec_b64 s[94:95], s[20:21]
	s_xor_b64 s[20:21], exec, s[94:95]
; %bb.2886:                             ;   in Loop: Header=BB4_2553 Depth=2
	v_min_i32_e32 v3, 15, v3
	v_lshl_or_b32 v2, v3, 3, v2
	v_and_or_b32 v9, v16, 7, v2
                                        ; implicit-def: $vgpr2
; %bb.2887:                             ;   in Loop: Header=BB4_2553 Depth=2
	s_andn2_saveexec_b64 s[20:21], s[20:21]
; %bb.2888:                             ;   in Loop: Header=BB4_2553 Depth=2
	v_mov_b32_e32 v9, v2
; %bb.2889:                             ;   in Loop: Header=BB4_2553 Depth=2
	s_or_b64 exec, exec, s[20:21]
.LBB4_2890:                             ;   in Loop: Header=BB4_2553 Depth=2
	s_or_b64 exec, exec, s[92:93]
                                        ; implicit-def: $vgpr2
.LBB4_2891:                             ;   in Loop: Header=BB4_2553 Depth=2
	s_andn2_saveexec_b64 s[20:21], s[90:91]
; %bb.2892:                             ;   in Loop: Header=BB4_2553 Depth=2
	v_or_b32_e32 v9, 0x7e, v2
; %bb.2893:                             ;   in Loop: Header=BB4_2553 Depth=2
	s_or_b64 exec, exec, s[20:21]
                                        ; implicit-def: $vgpr3
.LBB4_2894:                             ;   in Loop: Header=BB4_2553 Depth=2
	s_andn2_saveexec_b64 s[20:21], s[88:89]
; %bb.2895:                             ;   in Loop: Header=BB4_2553 Depth=2
	v_or_b32_sdwa v9, v3, s51 dst_sel:DWORD dst_unused:UNUSED_PAD src0_sel:BYTE_3 src1_sel:DWORD
; %bb.2896:                             ;   in Loop: Header=BB4_2553 Depth=2
	s_or_b64 exec, exec, s[20:21]
	flat_load_ubyte v2, v[10:11] offset:832 glc slc
	v_mov_b32_e32 v3, 0
	s_waitcnt vmcnt(0) lgkmcnt(0)
	v_cmp_ne_u16_e32 vcc, 0, v2
	s_and_saveexec_b64 s[20:21], vcc
	s_cbranch_execz .LBB4_2902
; %bb.2897:                             ;   in Loop: Header=BB4_2553 Depth=2
	v_cmp_ne_u16_e32 vcc, s53, v2
	v_bfrev_b32_e32 v3, 1
	s_and_saveexec_b64 s[88:89], vcc
	s_cbranch_execz .LBB4_2901
; %bb.2898:                             ;   in Loop: Header=BB4_2553 Depth=2
	v_and_b32_e32 v16, 0xffff, v2
	v_and_b32_e32 v7, 0x7f, v16
	v_cmp_ne_u32_e32 vcc, s51, v7
	v_mov_b32_e32 v3, 0x7f800001
	s_and_saveexec_b64 s[90:91], vcc
	s_cbranch_execz .LBB4_2900
; %bb.2899:                             ;   in Loop: Header=BB4_2553 Depth=2
	v_and_b32_e32 v3, 7, v16
	v_lshrrev_b32_e32 v17, 3, v7
	v_cmp_gt_u32_e32 vcc, 8, v7
	v_ffbh_u32_e32 v7, v3
	v_min_u32_e32 v22, 32, v7
	v_subrev_u32_e32 v7, 28, v22
	v_lshlrev_b64 v[7:8], v7, v[16:17]
	v_sub_u32_e32 v8, 29, v22
	v_and_b32_e32 v7, 7, v7
	v_cndmask_b32_e32 v8, v17, v8, vcc
	v_cndmask_b32_e32 v3, v3, v7, vcc
	v_lshlrev_b32_e32 v2, 24, v2
	v_lshlrev_b32_e32 v3, 20, v3
	v_and_b32_e32 v2, 0x80000000, v2
	v_lshl_add_u32 v7, v8, 23, v58
	v_or3_b32 v3, v2, v7, v3
.LBB4_2900:                             ;   in Loop: Header=BB4_2553 Depth=2
	s_or_b64 exec, exec, s[90:91]
.LBB4_2901:                             ;   in Loop: Header=BB4_2553 Depth=2
	s_or_b64 exec, exec, s[88:89]
.LBB4_2902:                             ;   in Loop: Header=BB4_2553 Depth=2
	s_or_b64 exec, exec, s[20:21]
	v_mul_f32_e32 v3, s30, v3
	v_and_b32_e32 v36, 0x7f800000, v3
	v_cmp_ne_u64_e32 vcc, s[56:57], v[36:37]
                                        ; implicit-def: $vgpr8
	s_and_saveexec_b64 s[20:21], vcc
	s_xor_b64 s[88:89], exec, s[20:21]
	s_cbranch_execz .LBB4_2920
; %bb.2903:                             ;   in Loop: Header=BB4_2553 Depth=2
	v_and_b32_e32 v36, 0x7fffffff, v3
	v_cmp_gt_u64_e32 vcc, s[58:59], v[36:37]
	v_and_b32_sdwa v2, v3, s53 dst_sel:DWORD dst_unused:UNUSED_PAD src0_sel:BYTE_3 src1_sel:DWORD
                                        ; implicit-def: $vgpr8
	s_and_saveexec_b64 s[20:21], vcc
	s_xor_b64 s[90:91], exec, s[20:21]
	s_cbranch_execz .LBB4_2917
; %bb.2904:                             ;   in Loop: Header=BB4_2553 Depth=2
	v_cmp_ne_u32_e32 vcc, 0, v3
	v_mov_b32_e32 v8, 0
	s_and_saveexec_b64 s[92:93], vcc
	s_cbranch_execz .LBB4_2916
; %bb.2905:                             ;   in Loop: Header=BB4_2553 Depth=2
	v_and_b32_e32 v8, 0x7fffff, v3
	v_bfe_u32 v3, v3, 23, 8
	v_cmp_gt_u32_e64 s[20:21], s54, v3
	v_sub_u32_e32 v7, 0x79, v3
	v_cmp_eq_u32_e32 vcc, 0, v3
	v_cndmask_b32_e64 v7, 0, v7, s[20:21]
	v_or_b32_e32 v16, 0x800000, v8
	v_cndmask_b32_e32 v7, v7, v31, vcc
	v_cndmask_b32_e32 v36, v16, v8, vcc
	v_add_u32_e32 v8, 20, v7
	v_lshlrev_b64 v[16:17], v8, -1
	v_add_u32_e32 v8, 19, v7
	v_lshlrev_b64 v[28:29], v8, 1
	v_bfi_b32 v17, v17, 0, 0
	v_bfi_b32 v16, v16, 0, v36
	v_cmp_eq_u64_e64 s[20:21], v[16:17], v[28:29]
	v_lshrrev_b64 v[16:17], v7, v[36:37]
	v_mov_b32_e32 v51, v17
	v_mov_b32_e32 v50, v16
	s_and_saveexec_b64 s[94:95], s[20:21]
; %bb.2906:                             ;   in Loop: Header=BB4_2553 Depth=2
	v_bfe_u32 v8, v16, 20, 1
	v_add_co_u32_e64 v8, s[20:21], v16, v8
	v_add_co_u32_e64 v50, s[20:21], -1, v8
; %bb.2907:                             ;   in Loop: Header=BB4_2553 Depth=2
	s_or_b64 exec, exec, s[94:95]
	v_add_u32_e32 v3, 0xffffff81, v3
	v_cndmask_b32_e32 v3, v3, v62, vcc
	v_lshrrev_b32_e32 v8, 23, v16
	v_add3_u32 v8, v7, v3, v8
	v_add_u32_e32 v7, 6, v8
	v_and_b32_e32 v3, 0xfffff, v50
	v_add_u32_e32 v36, v3, v16
	v_cmp_ne_u32_e32 vcc, 0, v7
                                        ; implicit-def: $vgpr16_vgpr17
                                        ; implicit-def: $vgpr3
	s_and_saveexec_b64 s[20:21], vcc
	s_xor_b64 s[20:21], exec, s[20:21]
; %bb.2908:                             ;   in Loop: Header=BB4_2553 Depth=2
	v_cmp_lt_u64_e32 vcc, s[60:61], v[36:37]
	v_add_u32_e32 v3, 7, v8
	v_cndmask_b32_e32 v3, v7, v3, vcc
	v_cndmask_b32_e64 v7, 0, 1, vcc
	v_lshrrev_b64 v[16:17], v7, v[36:37]
; %bb.2909:                             ;   in Loop: Header=BB4_2553 Depth=2
	s_andn2_saveexec_b64 s[20:21], s[20:21]
; %bb.2910:                             ;   in Loop: Header=BB4_2553 Depth=2
	v_mov_b32_e32 v16, v36
	v_bfe_u32 v3, v36, 23, 1
	v_mov_b32_e32 v17, v37
; %bb.2911:                             ;   in Loop: Header=BB4_2553 Depth=2
	s_or_b64 exec, exec, s[20:21]
	v_lshrrev_b64 v[7:8], 20, v[16:17]
	v_cmp_gt_i32_e32 vcc, 16, v3
	v_cndmask_b32_e32 v17, 0, v8, vcc
	v_cndmask_b32_e32 v16, 7, v7, vcc
	v_cmp_ne_u64_e32 vcc, 0, v[16:17]
	v_cmp_ne_u32_e64 s[20:21], 0, v3
	s_or_b64 s[20:21], s[20:21], vcc
                                        ; implicit-def: $vgpr8
	s_and_saveexec_b64 s[94:95], s[20:21]
	s_xor_b64 s[20:21], exec, s[94:95]
; %bb.2912:                             ;   in Loop: Header=BB4_2553 Depth=2
	v_min_i32_e32 v3, 15, v3
	v_lshl_or_b32 v2, v3, 3, v2
	v_and_or_b32 v8, v16, 7, v2
                                        ; implicit-def: $vgpr2
; %bb.2913:                             ;   in Loop: Header=BB4_2553 Depth=2
	s_andn2_saveexec_b64 s[20:21], s[20:21]
; %bb.2914:                             ;   in Loop: Header=BB4_2553 Depth=2
	v_mov_b32_e32 v8, v2
; %bb.2915:                             ;   in Loop: Header=BB4_2553 Depth=2
	s_or_b64 exec, exec, s[20:21]
.LBB4_2916:                             ;   in Loop: Header=BB4_2553 Depth=2
	s_or_b64 exec, exec, s[92:93]
                                        ; implicit-def: $vgpr2
.LBB4_2917:                             ;   in Loop: Header=BB4_2553 Depth=2
	s_andn2_saveexec_b64 s[20:21], s[90:91]
; %bb.2918:                             ;   in Loop: Header=BB4_2553 Depth=2
	v_or_b32_e32 v8, 0x7e, v2
; %bb.2919:                             ;   in Loop: Header=BB4_2553 Depth=2
	s_or_b64 exec, exec, s[20:21]
                                        ; implicit-def: $vgpr3
.LBB4_2920:                             ;   in Loop: Header=BB4_2553 Depth=2
	s_andn2_saveexec_b64 s[20:21], s[88:89]
; %bb.2921:                             ;   in Loop: Header=BB4_2553 Depth=2
	v_or_b32_sdwa v8, v3, s51 dst_sel:DWORD dst_unused:UNUSED_PAD src0_sel:BYTE_3 src1_sel:DWORD
; %bb.2922:                             ;   in Loop: Header=BB4_2553 Depth=2
	s_or_b64 exec, exec, s[20:21]
	flat_load_ubyte v2, v[10:11] offset:896 glc slc
	v_mov_b32_e32 v3, 0
	s_waitcnt vmcnt(0) lgkmcnt(0)
	v_cmp_ne_u16_e32 vcc, 0, v2
	s_and_saveexec_b64 s[20:21], vcc
	s_cbranch_execz .LBB4_2928
; %bb.2923:                             ;   in Loop: Header=BB4_2553 Depth=2
	v_cmp_ne_u16_e32 vcc, s53, v2
	v_bfrev_b32_e32 v3, 1
	s_and_saveexec_b64 s[88:89], vcc
	s_cbranch_execz .LBB4_2927
; %bb.2924:                             ;   in Loop: Header=BB4_2553 Depth=2
	v_and_b32_e32 v16, 0xffff, v2
	v_and_b32_e32 v7, 0x7f, v16
	v_cmp_ne_u32_e32 vcc, s51, v7
	v_mov_b32_e32 v3, 0x7f800001
	s_and_saveexec_b64 s[90:91], vcc
	s_cbranch_execz .LBB4_2926
; %bb.2925:                             ;   in Loop: Header=BB4_2553 Depth=2
	v_and_b32_e32 v3, 7, v16
	v_lshrrev_b32_e32 v22, 3, v7
	v_cmp_gt_u32_e32 vcc, 8, v7
	v_ffbh_u32_e32 v7, v3
	v_min_u32_e32 v7, 32, v7
	v_subrev_u32_e32 v17, 28, v7
	v_lshlrev_b64 v[16:17], v17, v[16:17]
	v_sub_u32_e32 v7, 29, v7
	v_and_b32_e32 v16, 7, v16
	v_cndmask_b32_e32 v7, v22, v7, vcc
	v_cndmask_b32_e32 v3, v3, v16, vcc
	v_lshlrev_b32_e32 v2, 24, v2
	v_lshlrev_b32_e32 v3, 20, v3
	v_and_b32_e32 v2, 0x80000000, v2
	v_lshl_add_u32 v7, v7, 23, v58
	v_or3_b32 v3, v2, v7, v3
.LBB4_2926:                             ;   in Loop: Header=BB4_2553 Depth=2
	s_or_b64 exec, exec, s[90:91]
.LBB4_2927:                             ;   in Loop: Header=BB4_2553 Depth=2
	s_or_b64 exec, exec, s[88:89]
.LBB4_2928:                             ;   in Loop: Header=BB4_2553 Depth=2
	s_or_b64 exec, exec, s[20:21]
	v_mul_f32_e32 v3, s30, v3
	v_and_b32_e32 v36, 0x7f800000, v3
	v_cmp_ne_u64_e32 vcc, s[56:57], v[36:37]
                                        ; implicit-def: $vgpr7
	s_and_saveexec_b64 s[20:21], vcc
	s_xor_b64 s[88:89], exec, s[20:21]
	s_cbranch_execz .LBB4_2946
; %bb.2929:                             ;   in Loop: Header=BB4_2553 Depth=2
	v_and_b32_e32 v36, 0x7fffffff, v3
	v_cmp_gt_u64_e32 vcc, s[58:59], v[36:37]
	v_and_b32_sdwa v2, v3, s53 dst_sel:DWORD dst_unused:UNUSED_PAD src0_sel:BYTE_3 src1_sel:DWORD
                                        ; implicit-def: $vgpr7
	s_and_saveexec_b64 s[20:21], vcc
	s_xor_b64 s[90:91], exec, s[20:21]
	s_cbranch_execz .LBB4_2943
; %bb.2930:                             ;   in Loop: Header=BB4_2553 Depth=2
	v_cmp_ne_u32_e32 vcc, 0, v3
	v_mov_b32_e32 v7, 0
	s_and_saveexec_b64 s[92:93], vcc
	s_cbranch_execz .LBB4_2942
; %bb.2931:                             ;   in Loop: Header=BB4_2553 Depth=2
	v_and_b32_e32 v16, 0x7fffff, v3
	v_bfe_u32 v3, v3, 23, 8
	v_cmp_gt_u32_e64 s[20:21], s54, v3
	v_sub_u32_e32 v7, 0x79, v3
	v_cmp_eq_u32_e32 vcc, 0, v3
	v_cndmask_b32_e64 v7, 0, v7, s[20:21]
	v_or_b32_e32 v17, 0x800000, v16
	v_cndmask_b32_e32 v7, v7, v31, vcc
	v_cndmask_b32_e32 v36, v17, v16, vcc
	v_add_u32_e32 v16, 20, v7
	v_lshlrev_b64 v[16:17], v16, -1
	v_add_u32_e32 v22, 19, v7
	v_lshlrev_b64 v[28:29], v22, 1
	v_bfi_b32 v17, v17, 0, 0
	v_bfi_b32 v16, v16, 0, v36
	v_cmp_eq_u64_e64 s[20:21], v[16:17], v[28:29]
	v_lshrrev_b64 v[16:17], v7, v[36:37]
	v_mov_b32_e32 v51, v17
	v_mov_b32_e32 v50, v16
	s_and_saveexec_b64 s[94:95], s[20:21]
; %bb.2932:                             ;   in Loop: Header=BB4_2553 Depth=2
	v_bfe_u32 v17, v16, 20, 1
	v_add_co_u32_e64 v17, s[20:21], v16, v17
	v_add_co_u32_e64 v50, s[20:21], -1, v17
; %bb.2933:                             ;   in Loop: Header=BB4_2553 Depth=2
	s_or_b64 exec, exec, s[94:95]
	v_add_u32_e32 v3, 0xffffff81, v3
	v_cndmask_b32_e32 v3, v3, v62, vcc
	v_lshrrev_b32_e32 v17, 23, v16
	v_add3_u32 v22, v7, v3, v17
	v_add_u32_e32 v7, 6, v22
	v_and_b32_e32 v3, 0xfffff, v50
	v_add_u32_e32 v36, v3, v16
	v_cmp_ne_u32_e32 vcc, 0, v7
                                        ; implicit-def: $vgpr16_vgpr17
                                        ; implicit-def: $vgpr3
	s_and_saveexec_b64 s[20:21], vcc
	s_xor_b64 s[20:21], exec, s[20:21]
; %bb.2934:                             ;   in Loop: Header=BB4_2553 Depth=2
	v_cmp_lt_u64_e32 vcc, s[60:61], v[36:37]
	v_add_u32_e32 v3, 7, v22
	v_cndmask_b32_e32 v3, v7, v3, vcc
	v_cndmask_b32_e64 v7, 0, 1, vcc
	v_lshrrev_b64 v[16:17], v7, v[36:37]
; %bb.2935:                             ;   in Loop: Header=BB4_2553 Depth=2
	s_andn2_saveexec_b64 s[20:21], s[20:21]
; %bb.2936:                             ;   in Loop: Header=BB4_2553 Depth=2
	v_mov_b32_e32 v16, v36
	v_bfe_u32 v3, v36, 23, 1
	v_mov_b32_e32 v17, v37
; %bb.2937:                             ;   in Loop: Header=BB4_2553 Depth=2
	s_or_b64 exec, exec, s[20:21]
	v_lshrrev_b64 v[16:17], 20, v[16:17]
	v_cmp_gt_i32_e32 vcc, 16, v3
	v_cndmask_b32_e32 v17, 0, v17, vcc
	v_cndmask_b32_e32 v16, 7, v16, vcc
	v_cmp_ne_u64_e32 vcc, 0, v[16:17]
	v_cmp_ne_u32_e64 s[20:21], 0, v3
	s_or_b64 s[20:21], s[20:21], vcc
                                        ; implicit-def: $vgpr7
	s_and_saveexec_b64 s[94:95], s[20:21]
	s_xor_b64 s[20:21], exec, s[94:95]
; %bb.2938:                             ;   in Loop: Header=BB4_2553 Depth=2
	v_min_i32_e32 v3, 15, v3
	v_lshl_or_b32 v2, v3, 3, v2
	v_and_or_b32 v7, v16, 7, v2
                                        ; implicit-def: $vgpr2
; %bb.2939:                             ;   in Loop: Header=BB4_2553 Depth=2
	s_andn2_saveexec_b64 s[20:21], s[20:21]
; %bb.2940:                             ;   in Loop: Header=BB4_2553 Depth=2
	v_mov_b32_e32 v7, v2
; %bb.2941:                             ;   in Loop: Header=BB4_2553 Depth=2
	s_or_b64 exec, exec, s[20:21]
.LBB4_2942:                             ;   in Loop: Header=BB4_2553 Depth=2
	s_or_b64 exec, exec, s[92:93]
                                        ; implicit-def: $vgpr2
.LBB4_2943:                             ;   in Loop: Header=BB4_2553 Depth=2
	s_andn2_saveexec_b64 s[20:21], s[90:91]
; %bb.2944:                             ;   in Loop: Header=BB4_2553 Depth=2
	v_or_b32_e32 v7, 0x7e, v2
; %bb.2945:                             ;   in Loop: Header=BB4_2553 Depth=2
	s_or_b64 exec, exec, s[20:21]
                                        ; implicit-def: $vgpr3
.LBB4_2946:                             ;   in Loop: Header=BB4_2553 Depth=2
	s_andn2_saveexec_b64 s[20:21], s[88:89]
; %bb.2947:                             ;   in Loop: Header=BB4_2553 Depth=2
	v_or_b32_sdwa v7, v3, s51 dst_sel:DWORD dst_unused:UNUSED_PAD src0_sel:BYTE_3 src1_sel:DWORD
; %bb.2948:                             ;   in Loop: Header=BB4_2553 Depth=2
	s_or_b64 exec, exec, s[20:21]
	flat_load_ubyte v2, v[10:11] offset:960 glc slc
	v_mov_b32_e32 v3, 0
	s_waitcnt vmcnt(0) lgkmcnt(0)
	v_cmp_ne_u16_e32 vcc, 0, v2
	s_and_saveexec_b64 s[20:21], vcc
	s_cbranch_execz .LBB4_2954
; %bb.2949:                             ;   in Loop: Header=BB4_2553 Depth=2
	v_cmp_ne_u16_e32 vcc, s53, v2
	v_bfrev_b32_e32 v3, 1
	s_and_saveexec_b64 s[88:89], vcc
	s_cbranch_execz .LBB4_2953
; %bb.2950:                             ;   in Loop: Header=BB4_2553 Depth=2
	v_and_b32_e32 v16, 0xffff, v2
	v_and_b32_e32 v17, 0x7f, v16
	v_cmp_ne_u32_e32 vcc, s51, v17
	v_mov_b32_e32 v3, 0x7f800001
	s_and_saveexec_b64 s[90:91], vcc
	s_cbranch_execz .LBB4_2952
; %bb.2951:                             ;   in Loop: Header=BB4_2553 Depth=2
	v_and_b32_e32 v3, 7, v16
	v_lshrrev_b32_e32 v22, 3, v17
	v_cmp_gt_u32_e32 vcc, 8, v17
	v_ffbh_u32_e32 v17, v3
	v_min_u32_e32 v28, 32, v17
	v_subrev_u32_e32 v17, 28, v28
	v_lshlrev_b64 v[16:17], v17, v[16:17]
	v_sub_u32_e32 v17, 29, v28
	v_and_b32_e32 v16, 7, v16
	v_cndmask_b32_e32 v17, v22, v17, vcc
	v_cndmask_b32_e32 v3, v3, v16, vcc
	v_lshlrev_b32_e32 v2, 24, v2
	v_lshlrev_b32_e32 v3, 20, v3
	v_and_b32_e32 v2, 0x80000000, v2
	v_lshl_add_u32 v16, v17, 23, v58
	v_or3_b32 v3, v2, v16, v3
.LBB4_2952:                             ;   in Loop: Header=BB4_2553 Depth=2
	s_or_b64 exec, exec, s[90:91]
.LBB4_2953:                             ;   in Loop: Header=BB4_2553 Depth=2
	s_or_b64 exec, exec, s[88:89]
.LBB4_2954:                             ;   in Loop: Header=BB4_2553 Depth=2
	s_or_b64 exec, exec, s[20:21]
	v_mul_f32_e32 v16, s30, v3
	v_and_b32_e32 v36, 0x7f800000, v16
	v_cmp_ne_u64_e32 vcc, s[56:57], v[36:37]
                                        ; implicit-def: $vgpr2
	s_and_saveexec_b64 s[20:21], vcc
	s_xor_b64 s[88:89], exec, s[20:21]
	s_cbranch_execz .LBB4_2972
; %bb.2955:                             ;   in Loop: Header=BB4_2553 Depth=2
	v_and_b32_e32 v36, 0x7fffffff, v16
	v_cmp_gt_u64_e32 vcc, s[58:59], v[36:37]
	v_and_b32_sdwa v3, v16, s53 dst_sel:DWORD dst_unused:UNUSED_PAD src0_sel:BYTE_3 src1_sel:DWORD
                                        ; implicit-def: $vgpr2
	s_and_saveexec_b64 s[20:21], vcc
	s_xor_b64 s[90:91], exec, s[20:21]
	s_cbranch_execz .LBB4_2969
; %bb.2956:                             ;   in Loop: Header=BB4_2553 Depth=2
	v_cmp_ne_u32_e32 vcc, 0, v16
	v_mov_b32_e32 v2, 0
	s_and_saveexec_b64 s[92:93], vcc
	s_cbranch_execz .LBB4_2968
; %bb.2957:                             ;   in Loop: Header=BB4_2553 Depth=2
	v_bfe_u32 v2, v16, 23, 8
	v_and_b32_e32 v17, 0x7fffff, v16
	v_cmp_gt_u32_e64 s[20:21], s54, v2
	v_sub_u32_e32 v16, 0x79, v2
	v_cmp_eq_u32_e32 vcc, 0, v2
	v_cndmask_b32_e64 v16, 0, v16, s[20:21]
	v_cndmask_b32_e32 v22, v16, v31, vcc
	v_or_b32_e32 v28, 0x800000, v17
	v_add_u32_e32 v16, 20, v22
	v_cndmask_b32_e32 v36, v28, v17, vcc
	v_lshlrev_b64 v[16:17], v16, -1
	v_add_u32_e32 v28, 19, v22
	v_lshlrev_b64 v[28:29], v28, 1
	v_bfi_b32 v17, v17, 0, 0
	v_bfi_b32 v16, v16, 0, v36
	v_cmp_eq_u64_e64 s[20:21], v[16:17], v[28:29]
	v_lshrrev_b64 v[16:17], v22, v[36:37]
	v_mov_b32_e32 v51, v17
	v_mov_b32_e32 v50, v16
	s_and_saveexec_b64 s[94:95], s[20:21]
; %bb.2958:                             ;   in Loop: Header=BB4_2553 Depth=2
	v_bfe_u32 v17, v16, 20, 1
	v_add_co_u32_e64 v17, s[20:21], v16, v17
	v_add_co_u32_e64 v50, s[20:21], -1, v17
; %bb.2959:                             ;   in Loop: Header=BB4_2553 Depth=2
	s_or_b64 exec, exec, s[94:95]
	v_add_u32_e32 v2, 0xffffff81, v2
	v_cndmask_b32_e32 v2, v2, v62, vcc
	v_lshrrev_b32_e32 v17, 23, v16
	v_add3_u32 v28, v22, v2, v17
	v_add_u32_e32 v2, 6, v28
	v_and_b32_e32 v17, 0xfffff, v50
	v_add_u32_e32 v36, v17, v16
	v_cmp_ne_u32_e32 vcc, 0, v2
                                        ; implicit-def: $vgpr16_vgpr17
                                        ; implicit-def: $vgpr22
	s_and_saveexec_b64 s[20:21], vcc
	s_xor_b64 s[20:21], exec, s[20:21]
; %bb.2960:                             ;   in Loop: Header=BB4_2553 Depth=2
	v_cmp_lt_u64_e32 vcc, s[60:61], v[36:37]
	v_add_u32_e32 v16, 7, v28
	v_cndmask_b32_e32 v22, v2, v16, vcc
	v_cndmask_b32_e64 v2, 0, 1, vcc
	v_lshrrev_b64 v[16:17], v2, v[36:37]
; %bb.2961:                             ;   in Loop: Header=BB4_2553 Depth=2
	s_andn2_saveexec_b64 s[20:21], s[20:21]
; %bb.2962:                             ;   in Loop: Header=BB4_2553 Depth=2
	v_mov_b32_e32 v16, v36
	v_bfe_u32 v22, v36, 23, 1
	v_mov_b32_e32 v17, v37
; %bb.2963:                             ;   in Loop: Header=BB4_2553 Depth=2
	s_or_b64 exec, exec, s[20:21]
	v_lshrrev_b64 v[16:17], 20, v[16:17]
	v_cmp_gt_i32_e32 vcc, 16, v22
	v_cndmask_b32_e32 v17, 0, v17, vcc
	v_cndmask_b32_e32 v16, 7, v16, vcc
	v_cmp_ne_u64_e32 vcc, 0, v[16:17]
	v_cmp_ne_u32_e64 s[20:21], 0, v22
	s_or_b64 s[20:21], s[20:21], vcc
                                        ; implicit-def: $vgpr2
	s_and_saveexec_b64 s[94:95], s[20:21]
	s_xor_b64 s[20:21], exec, s[94:95]
; %bb.2964:                             ;   in Loop: Header=BB4_2553 Depth=2
	v_min_i32_e32 v2, 15, v22
	v_lshl_or_b32 v2, v2, 3, v3
	v_and_or_b32 v2, v16, 7, v2
                                        ; implicit-def: $vgpr3
; %bb.2965:                             ;   in Loop: Header=BB4_2553 Depth=2
	s_andn2_saveexec_b64 s[20:21], s[20:21]
; %bb.2966:                             ;   in Loop: Header=BB4_2553 Depth=2
	v_mov_b32_e32 v2, v3
; %bb.2967:                             ;   in Loop: Header=BB4_2553 Depth=2
	s_or_b64 exec, exec, s[20:21]
.LBB4_2968:                             ;   in Loop: Header=BB4_2553 Depth=2
	s_or_b64 exec, exec, s[92:93]
                                        ; implicit-def: $vgpr3
.LBB4_2969:                             ;   in Loop: Header=BB4_2553 Depth=2
	s_andn2_saveexec_b64 s[20:21], s[90:91]
; %bb.2970:                             ;   in Loop: Header=BB4_2553 Depth=2
	v_or_b32_e32 v2, 0x7e, v3
; %bb.2971:                             ;   in Loop: Header=BB4_2553 Depth=2
	s_or_b64 exec, exec, s[20:21]
                                        ; implicit-def: $vgpr16
.LBB4_2972:                             ;   in Loop: Header=BB4_2553 Depth=2
	s_andn2_saveexec_b64 s[20:21], s[88:89]
; %bb.2973:                             ;   in Loop: Header=BB4_2553 Depth=2
	v_or_b32_sdwa v2, v16, s51 dst_sel:DWORD dst_unused:UNUSED_PAD src0_sel:BYTE_3 src1_sel:DWORD
; %bb.2974:                             ;   in Loop: Header=BB4_2553 Depth=2
	s_or_b64 exec, exec, s[20:21]
	flat_load_ubyte v17, v[12:13] glc slc
	flat_load_ubyte v44, v[12:13] offset:64 glc slc
	flat_load_ubyte v29, v[12:13] offset:128 glc slc
	;; [unrolled: 1-line block ×15, first 2 shown]
	v_and_b32_e32 v16, 0xff, v6
	v_cmp_ne_u16_e32 vcc, 0, v16
	v_mov_b32_e32 v36, 0
	v_mov_b32_e32 v50, 0
	s_and_saveexec_b64 s[20:21], vcc
	s_cbranch_execz .LBB4_2980
; %bb.2975:                             ;   in Loop: Header=BB4_2553 Depth=2
	v_cmp_ne_u16_e32 vcc, s53, v16
	v_bfrev_b32_e32 v50, 1
	s_and_saveexec_b64 s[88:89], vcc
	s_cbranch_execz .LBB4_2979
; %bb.2976:                             ;   in Loop: Header=BB4_2553 Depth=2
	v_and_b32_e32 v51, 0x7f, v6
	v_cmp_ne_u32_e32 vcc, s51, v51
	v_mov_b32_e32 v50, 0x7f800001
	s_and_saveexec_b64 s[90:91], vcc
	s_cbranch_execz .LBB4_2978
; %bb.2977:                             ;   in Loop: Header=BB4_2553 Depth=2
	v_and_b32_e32 v50, 7, v16
	v_ffbh_u32_e32 v48, v50
	v_lshrrev_b32_e32 v45, 3, v51
	v_cmp_gt_u32_e32 vcc, 8, v51
	v_min_u32_e32 v51, 32, v48
	v_subrev_u32_e32 v48, 28, v51
	s_waitcnt vmcnt(0) lgkmcnt(0)
	v_lshlrev_b64 v[48:49], v48, v[16:17]
	v_sub_u32_e32 v16, 29, v51
	v_and_b32_e32 v48, 7, v48
	v_cndmask_b32_e32 v16, v45, v16, vcc
	v_cndmask_b32_e32 v48, v50, v48, vcc
	v_lshlrev_b32_e32 v6, 24, v6
	v_lshlrev_b32_e32 v48, 20, v48
	v_and_b32_e32 v6, 0x80000000, v6
	v_lshl_add_u32 v16, v16, 23, v58
	v_or3_b32 v50, v6, v16, v48
.LBB4_2978:                             ;   in Loop: Header=BB4_2553 Depth=2
	s_or_b64 exec, exec, s[90:91]
.LBB4_2979:                             ;   in Loop: Header=BB4_2553 Depth=2
	s_or_b64 exec, exec, s[88:89]
.LBB4_2980:                             ;   in Loop: Header=BB4_2553 Depth=2
	s_or_b64 exec, exec, s[20:21]
	s_waitcnt vmcnt(0) lgkmcnt(0)
	v_and_b32_e32 v16, 0xff, v17
	v_cmp_ne_u16_e32 vcc, 0, v16
	s_and_saveexec_b64 s[20:21], vcc
	s_cbranch_execz .LBB4_2986
; %bb.2981:                             ;   in Loop: Header=BB4_2553 Depth=2
	v_cmp_ne_u16_e32 vcc, s53, v16
	v_bfrev_b32_e32 v36, 1
	s_and_saveexec_b64 s[88:89], vcc
	s_cbranch_execz .LBB4_2985
; %bb.2982:                             ;   in Loop: Header=BB4_2553 Depth=2
	v_and_b32_e32 v6, 0x7f, v17
	v_cmp_ne_u32_e32 vcc, s51, v6
	v_mov_b32_e32 v36, 0x7f800001
	s_and_saveexec_b64 s[90:91], vcc
	s_cbranch_execz .LBB4_2984
; %bb.2983:                             ;   in Loop: Header=BB4_2553 Depth=2
	v_and_b32_e32 v36, 7, v16
	v_lshrrev_b32_e32 v51, 3, v6
	v_cmp_gt_u32_e32 vcc, 8, v6
	v_ffbh_u32_e32 v6, v36
	v_min_u32_e32 v6, 32, v6
	v_subrev_u32_e32 v48, 28, v6
	v_lshlrev_b64 v[48:49], v48, v[16:17]
	v_sub_u32_e32 v6, 29, v6
	v_and_b32_e32 v16, 7, v48
	v_cndmask_b32_e32 v6, v51, v6, vcc
	v_cndmask_b32_e32 v16, v36, v16, vcc
	v_lshlrev_b32_e32 v17, 24, v17
	v_lshlrev_b32_e32 v16, 20, v16
	v_and_b32_e32 v17, 0x80000000, v17
	v_lshl_add_u32 v6, v6, 23, v58
	v_or3_b32 v36, v17, v6, v16
.LBB4_2984:                             ;   in Loop: Header=BB4_2553 Depth=2
	s_or_b64 exec, exec, s[90:91]
.LBB4_2985:                             ;   in Loop: Header=BB4_2553 Depth=2
	s_or_b64 exec, exec, s[88:89]
.LBB4_2986:                             ;   in Loop: Header=BB4_2553 Depth=2
	s_or_b64 exec, exec, s[20:21]
	v_add_f32_e32 v16, v50, v36
	v_and_b32_e32 v36, 0x7f800000, v16
	v_cmp_ne_u64_e32 vcc, s[56:57], v[36:37]
                                        ; implicit-def: $vgpr6
	s_and_saveexec_b64 s[20:21], vcc
	s_xor_b64 s[88:89], exec, s[20:21]
	s_cbranch_execz .LBB4_3004
; %bb.2987:                             ;   in Loop: Header=BB4_2553 Depth=2
	v_and_b32_e32 v36, 0x7fffffff, v16
	v_cmp_gt_u64_e32 vcc, s[58:59], v[36:37]
	v_and_b32_sdwa v45, v16, s53 dst_sel:DWORD dst_unused:UNUSED_PAD src0_sel:BYTE_3 src1_sel:DWORD
                                        ; implicit-def: $vgpr6
	s_and_saveexec_b64 s[20:21], vcc
	s_xor_b64 s[90:91], exec, s[20:21]
	s_cbranch_execz .LBB4_3001
; %bb.2988:                             ;   in Loop: Header=BB4_2553 Depth=2
	v_cmp_ne_u32_e32 vcc, 0, v16
	v_mov_b32_e32 v6, 0
	s_and_saveexec_b64 s[92:93], vcc
	s_cbranch_execz .LBB4_3000
; %bb.2989:                             ;   in Loop: Header=BB4_2553 Depth=2
	v_bfe_u32 v6, v16, 23, 8
	v_and_b32_e32 v17, 0x7fffff, v16
	v_cmp_gt_u32_e64 s[20:21], s54, v6
	v_sub_u32_e32 v16, 0x79, v6
	v_cmp_eq_u32_e32 vcc, 0, v6
	v_cndmask_b32_e64 v16, 0, v16, s[20:21]
	v_cndmask_b32_e32 v46, v16, v31, vcc
	v_or_b32_e32 v36, 0x800000, v17
	v_add_u32_e32 v16, 20, v46
	v_cndmask_b32_e32 v36, v36, v17, vcc
	v_lshlrev_b64 v[16:17], v16, -1
	v_add_u32_e32 v48, 19, v46
	v_lshlrev_b64 v[48:49], v48, 1
	v_bfi_b32 v17, v17, 0, 0
	v_bfi_b32 v16, v16, 0, v36
	v_cmp_eq_u64_e64 s[20:21], v[16:17], v[48:49]
	v_lshrrev_b64 v[16:17], v46, v[36:37]
	v_mov_b32_e32 v51, v17
	v_mov_b32_e32 v50, v16
	s_and_saveexec_b64 s[94:95], s[20:21]
; %bb.2990:                             ;   in Loop: Header=BB4_2553 Depth=2
	v_bfe_u32 v17, v16, 20, 1
	v_add_co_u32_e64 v17, s[20:21], v16, v17
	v_add_co_u32_e64 v50, s[20:21], -1, v17
; %bb.2991:                             ;   in Loop: Header=BB4_2553 Depth=2
	s_or_b64 exec, exec, s[94:95]
	v_add_u32_e32 v6, 0xffffff81, v6
	v_cndmask_b32_e32 v6, v6, v62, vcc
	v_lshrrev_b32_e32 v17, 23, v16
	v_add3_u32 v51, v46, v6, v17
	v_add_u32_e32 v6, 6, v51
	v_and_b32_e32 v17, 0xfffff, v50
	v_add_u32_e32 v36, v17, v16
	v_cmp_ne_u32_e32 vcc, 0, v6
                                        ; implicit-def: $vgpr16_vgpr17
                                        ; implicit-def: $vgpr50
	s_and_saveexec_b64 s[20:21], vcc
	s_xor_b64 s[20:21], exec, s[20:21]
; %bb.2992:                             ;   in Loop: Header=BB4_2553 Depth=2
	v_cmp_lt_u64_e32 vcc, s[60:61], v[36:37]
	v_add_u32_e32 v16, 7, v51
	v_cndmask_b32_e32 v50, v6, v16, vcc
	v_cndmask_b32_e64 v6, 0, 1, vcc
	v_lshrrev_b64 v[16:17], v6, v[36:37]
; %bb.2993:                             ;   in Loop: Header=BB4_2553 Depth=2
	s_andn2_saveexec_b64 s[20:21], s[20:21]
; %bb.2994:                             ;   in Loop: Header=BB4_2553 Depth=2
	v_mov_b32_e32 v16, v36
	v_bfe_u32 v50, v36, 23, 1
	v_mov_b32_e32 v17, v37
; %bb.2995:                             ;   in Loop: Header=BB4_2553 Depth=2
	s_or_b64 exec, exec, s[20:21]
	v_lshrrev_b64 v[16:17], 20, v[16:17]
	v_cmp_gt_i32_e32 vcc, 16, v50
	v_cndmask_b32_e32 v17, 0, v17, vcc
	v_cndmask_b32_e32 v16, 7, v16, vcc
	v_cmp_ne_u64_e32 vcc, 0, v[16:17]
	v_cmp_ne_u32_e64 s[20:21], 0, v50
	s_or_b64 s[20:21], s[20:21], vcc
                                        ; implicit-def: $vgpr6
	s_and_saveexec_b64 s[94:95], s[20:21]
	s_xor_b64 s[20:21], exec, s[94:95]
; %bb.2996:                             ;   in Loop: Header=BB4_2553 Depth=2
	v_min_i32_e32 v6, 15, v50
	v_lshl_or_b32 v6, v6, 3, v45
	v_and_or_b32 v6, v16, 7, v6
                                        ; implicit-def: $vgpr45
; %bb.2997:                             ;   in Loop: Header=BB4_2553 Depth=2
	s_andn2_saveexec_b64 s[20:21], s[20:21]
; %bb.2998:                             ;   in Loop: Header=BB4_2553 Depth=2
	v_mov_b32_e32 v6, v45
; %bb.2999:                             ;   in Loop: Header=BB4_2553 Depth=2
	s_or_b64 exec, exec, s[20:21]
.LBB4_3000:                             ;   in Loop: Header=BB4_2553 Depth=2
	s_or_b64 exec, exec, s[92:93]
                                        ; implicit-def: $vgpr45
.LBB4_3001:                             ;   in Loop: Header=BB4_2553 Depth=2
	s_andn2_saveexec_b64 s[20:21], s[90:91]
; %bb.3002:                             ;   in Loop: Header=BB4_2553 Depth=2
	v_or_b32_e32 v6, 0x7e, v45
; %bb.3003:                             ;   in Loop: Header=BB4_2553 Depth=2
	s_or_b64 exec, exec, s[20:21]
                                        ; implicit-def: $vgpr16
.LBB4_3004:                             ;   in Loop: Header=BB4_2553 Depth=2
	s_andn2_saveexec_b64 s[20:21], s[88:89]
; %bb.3005:                             ;   in Loop: Header=BB4_2553 Depth=2
	v_or_b32_sdwa v6, v16, s51 dst_sel:DWORD dst_unused:UNUSED_PAD src0_sel:BYTE_3 src1_sel:DWORD
; %bb.3006:                             ;   in Loop: Header=BB4_2553 Depth=2
	s_or_b64 exec, exec, s[20:21]
	v_and_b32_e32 v16, 0xff, v23
	v_cmp_ne_u16_e32 vcc, 0, v16
	v_mov_b32_e32 v17, 0
	v_mov_b32_e32 v36, 0
	s_and_saveexec_b64 s[20:21], vcc
	s_cbranch_execz .LBB4_3012
; %bb.3007:                             ;   in Loop: Header=BB4_2553 Depth=2
	v_cmp_ne_u16_e32 vcc, s53, v16
	v_bfrev_b32_e32 v36, 1
	s_and_saveexec_b64 s[88:89], vcc
	s_cbranch_execz .LBB4_3011
; %bb.3008:                             ;   in Loop: Header=BB4_2553 Depth=2
	v_and_b32_e32 v50, 0x7f, v23
	v_cmp_ne_u32_e32 vcc, s51, v50
	v_mov_b32_e32 v36, 0x7f800001
	s_and_saveexec_b64 s[90:91], vcc
	s_cbranch_execz .LBB4_3010
; %bb.3009:                             ;   in Loop: Header=BB4_2553 Depth=2
	v_and_b32_e32 v36, 7, v16
	v_ffbh_u32_e32 v48, v36
	v_lshrrev_b32_e32 v51, 3, v50
	v_cmp_gt_u32_e32 vcc, 8, v50
	v_min_u32_e32 v50, 32, v48
	v_subrev_u32_e32 v48, 28, v50
	v_lshlrev_b64 v[48:49], v48, v[16:17]
	v_sub_u32_e32 v16, 29, v50
	v_and_b32_e32 v48, 7, v48
	v_cndmask_b32_e32 v16, v51, v16, vcc
	v_cndmask_b32_e32 v36, v36, v48, vcc
	v_lshlrev_b32_e32 v23, 24, v23
	v_lshlrev_b32_e32 v36, 20, v36
	v_and_b32_e32 v23, 0x80000000, v23
	v_lshl_add_u32 v16, v16, 23, v58
	v_or3_b32 v36, v23, v16, v36
.LBB4_3010:                             ;   in Loop: Header=BB4_2553 Depth=2
	s_or_b64 exec, exec, s[90:91]
.LBB4_3011:                             ;   in Loop: Header=BB4_2553 Depth=2
	s_or_b64 exec, exec, s[88:89]
.LBB4_3012:                             ;   in Loop: Header=BB4_2553 Depth=2
	s_or_b64 exec, exec, s[20:21]
	v_and_b32_e32 v16, 0xff, v44
	v_cmp_ne_u16_e32 vcc, 0, v16
	s_and_saveexec_b64 s[20:21], vcc
	s_cbranch_execz .LBB4_3018
; %bb.3013:                             ;   in Loop: Header=BB4_2553 Depth=2
	v_cmp_ne_u16_e32 vcc, s53, v16
	v_bfrev_b32_e32 v17, 1
	s_and_saveexec_b64 s[88:89], vcc
	s_cbranch_execz .LBB4_3017
; %bb.3014:                             ;   in Loop: Header=BB4_2553 Depth=2
	v_and_b32_e32 v23, 0x7f, v44
	v_cmp_ne_u32_e32 vcc, s51, v23
	v_mov_b32_e32 v17, 0x7f800001
	s_and_saveexec_b64 s[90:91], vcc
	s_cbranch_execz .LBB4_3016
; %bb.3015:                             ;   in Loop: Header=BB4_2553 Depth=2
	v_and_b32_e32 v48, 7, v16
	v_ffbh_u32_e32 v17, v48
	v_lshrrev_b32_e32 v49, 3, v23
	v_cmp_gt_u32_e32 vcc, 8, v23
	v_min_u32_e32 v23, 32, v17
	v_subrev_u32_e32 v17, 28, v23
	v_lshlrev_b64 v[16:17], v17, v[16:17]
	v_sub_u32_e32 v17, 29, v23
	v_and_b32_e32 v16, 7, v16
	v_cndmask_b32_e32 v17, v49, v17, vcc
	v_cndmask_b32_e32 v16, v48, v16, vcc
	v_lshlrev_b32_e32 v23, 24, v44
	v_lshlrev_b32_e32 v16, 20, v16
	v_and_b32_e32 v23, 0x80000000, v23
	v_lshl_add_u32 v17, v17, 23, v58
	v_or3_b32 v17, v23, v17, v16
.LBB4_3016:                             ;   in Loop: Header=BB4_2553 Depth=2
	s_or_b64 exec, exec, s[90:91]
.LBB4_3017:                             ;   in Loop: Header=BB4_2553 Depth=2
	s_or_b64 exec, exec, s[88:89]
.LBB4_3018:                             ;   in Loop: Header=BB4_2553 Depth=2
	s_or_b64 exec, exec, s[20:21]
	v_add_f32_e32 v16, v36, v17
	v_and_b32_e32 v36, 0x7f800000, v16
	v_cmp_ne_u64_e32 vcc, s[56:57], v[36:37]
                                        ; implicit-def: $vgpr23
	s_and_saveexec_b64 s[20:21], vcc
	s_xor_b64 s[88:89], exec, s[20:21]
	s_cbranch_execz .LBB4_3036
; %bb.3019:                             ;   in Loop: Header=BB4_2553 Depth=2
	v_and_b32_e32 v36, 0x7fffffff, v16
	v_cmp_gt_u64_e32 vcc, s[58:59], v[36:37]
	v_and_b32_sdwa v44, v16, s53 dst_sel:DWORD dst_unused:UNUSED_PAD src0_sel:BYTE_3 src1_sel:DWORD
                                        ; implicit-def: $vgpr23
	s_and_saveexec_b64 s[20:21], vcc
	s_xor_b64 s[90:91], exec, s[20:21]
	s_cbranch_execz .LBB4_3033
; %bb.3020:                             ;   in Loop: Header=BB4_2553 Depth=2
	v_cmp_ne_u32_e32 vcc, 0, v16
	v_mov_b32_e32 v23, 0
	s_and_saveexec_b64 s[92:93], vcc
	s_cbranch_execz .LBB4_3032
; %bb.3021:                             ;   in Loop: Header=BB4_2553 Depth=2
	v_bfe_u32 v23, v16, 23, 8
	v_and_b32_e32 v17, 0x7fffff, v16
	v_cmp_gt_u32_e64 s[20:21], s54, v23
	v_sub_u32_e32 v16, 0x79, v23
	v_cmp_eq_u32_e32 vcc, 0, v23
	v_cndmask_b32_e64 v16, 0, v16, s[20:21]
	v_cndmask_b32_e32 v45, v16, v31, vcc
	v_or_b32_e32 v36, 0x800000, v17
	v_add_u32_e32 v16, 20, v45
	v_cndmask_b32_e32 v36, v36, v17, vcc
	v_lshlrev_b64 v[16:17], v16, -1
	v_add_u32_e32 v48, 19, v45
	v_lshlrev_b64 v[48:49], v48, 1
	v_bfi_b32 v17, v17, 0, 0
	v_bfi_b32 v16, v16, 0, v36
	v_cmp_eq_u64_e64 s[20:21], v[16:17], v[48:49]
	v_lshrrev_b64 v[16:17], v45, v[36:37]
	v_mov_b32_e32 v51, v17
	v_mov_b32_e32 v50, v16
	s_and_saveexec_b64 s[94:95], s[20:21]
; %bb.3022:                             ;   in Loop: Header=BB4_2553 Depth=2
	v_bfe_u32 v17, v16, 20, 1
	v_add_co_u32_e64 v17, s[20:21], v16, v17
	v_add_co_u32_e64 v50, s[20:21], -1, v17
; %bb.3023:                             ;   in Loop: Header=BB4_2553 Depth=2
	s_or_b64 exec, exec, s[94:95]
	v_add_u32_e32 v17, 0xffffff81, v23
	v_cndmask_b32_e32 v17, v17, v62, vcc
	v_lshrrev_b32_e32 v23, 23, v16
	v_add3_u32 v51, v45, v17, v23
	v_add_u32_e32 v23, 6, v51
	v_and_b32_e32 v17, 0xfffff, v50
	v_add_u32_e32 v36, v17, v16
	v_cmp_ne_u32_e32 vcc, 0, v23
                                        ; implicit-def: $vgpr16_vgpr17
                                        ; implicit-def: $vgpr50
	s_and_saveexec_b64 s[20:21], vcc
	s_xor_b64 s[20:21], exec, s[20:21]
; %bb.3024:                             ;   in Loop: Header=BB4_2553 Depth=2
	v_cmp_lt_u64_e32 vcc, s[60:61], v[36:37]
	v_add_u32_e32 v16, 7, v51
	v_cndmask_b32_e32 v50, v23, v16, vcc
	v_cndmask_b32_e64 v16, 0, 1, vcc
	v_lshrrev_b64 v[16:17], v16, v[36:37]
; %bb.3025:                             ;   in Loop: Header=BB4_2553 Depth=2
	s_andn2_saveexec_b64 s[20:21], s[20:21]
; %bb.3026:                             ;   in Loop: Header=BB4_2553 Depth=2
	v_mov_b32_e32 v16, v36
	v_bfe_u32 v50, v36, 23, 1
	v_mov_b32_e32 v17, v37
; %bb.3027:                             ;   in Loop: Header=BB4_2553 Depth=2
	s_or_b64 exec, exec, s[20:21]
	v_lshrrev_b64 v[16:17], 20, v[16:17]
	v_cmp_gt_i32_e32 vcc, 16, v50
	v_cndmask_b32_e32 v17, 0, v17, vcc
	v_cndmask_b32_e32 v16, 7, v16, vcc
	v_cmp_ne_u64_e32 vcc, 0, v[16:17]
	v_cmp_ne_u32_e64 s[20:21], 0, v50
	s_or_b64 s[20:21], s[20:21], vcc
                                        ; implicit-def: $vgpr23
	s_and_saveexec_b64 s[94:95], s[20:21]
	s_xor_b64 s[20:21], exec, s[94:95]
; %bb.3028:                             ;   in Loop: Header=BB4_2553 Depth=2
	v_min_i32_e32 v17, 15, v50
	v_lshl_or_b32 v17, v17, 3, v44
	v_and_or_b32 v23, v16, 7, v17
                                        ; implicit-def: $vgpr44
; %bb.3029:                             ;   in Loop: Header=BB4_2553 Depth=2
	s_andn2_saveexec_b64 s[20:21], s[20:21]
; %bb.3030:                             ;   in Loop: Header=BB4_2553 Depth=2
	v_mov_b32_e32 v23, v44
; %bb.3031:                             ;   in Loop: Header=BB4_2553 Depth=2
	s_or_b64 exec, exec, s[20:21]
.LBB4_3032:                             ;   in Loop: Header=BB4_2553 Depth=2
	s_or_b64 exec, exec, s[92:93]
                                        ; implicit-def: $vgpr44
.LBB4_3033:                             ;   in Loop: Header=BB4_2553 Depth=2
	s_andn2_saveexec_b64 s[20:21], s[90:91]
; %bb.3034:                             ;   in Loop: Header=BB4_2553 Depth=2
	v_or_b32_e32 v23, 0x7e, v44
; %bb.3035:                             ;   in Loop: Header=BB4_2553 Depth=2
	s_or_b64 exec, exec, s[20:21]
                                        ; implicit-def: $vgpr16
.LBB4_3036:                             ;   in Loop: Header=BB4_2553 Depth=2
	s_andn2_saveexec_b64 s[20:21], s[88:89]
; %bb.3037:                             ;   in Loop: Header=BB4_2553 Depth=2
	v_or_b32_sdwa v23, v16, s51 dst_sel:DWORD dst_unused:UNUSED_PAD src0_sel:BYTE_3 src1_sel:DWORD
; %bb.3038:                             ;   in Loop: Header=BB4_2553 Depth=2
	s_or_b64 exec, exec, s[20:21]
	v_and_b32_e32 v16, 0xff, v34
	v_cmp_ne_u16_e32 vcc, 0, v16
	v_mov_b32_e32 v17, 0
	v_mov_b32_e32 v36, 0
	s_and_saveexec_b64 s[20:21], vcc
	s_cbranch_execz .LBB4_3044
; %bb.3039:                             ;   in Loop: Header=BB4_2553 Depth=2
	v_cmp_ne_u16_e32 vcc, s53, v16
	v_bfrev_b32_e32 v36, 1
	s_and_saveexec_b64 s[88:89], vcc
	s_cbranch_execz .LBB4_3043
; %bb.3040:                             ;   in Loop: Header=BB4_2553 Depth=2
	v_and_b32_e32 v50, 0x7f, v34
	v_cmp_ne_u32_e32 vcc, s51, v50
	v_mov_b32_e32 v36, 0x7f800001
	s_and_saveexec_b64 s[90:91], vcc
	s_cbranch_execz .LBB4_3042
; %bb.3041:                             ;   in Loop: Header=BB4_2553 Depth=2
	v_and_b32_e32 v36, 7, v16
	v_ffbh_u32_e32 v48, v36
	v_lshrrev_b32_e32 v51, 3, v50
	v_cmp_gt_u32_e32 vcc, 8, v50
	v_min_u32_e32 v50, 32, v48
	v_subrev_u32_e32 v48, 28, v50
	v_lshlrev_b64 v[48:49], v48, v[16:17]
	v_sub_u32_e32 v16, 29, v50
	v_and_b32_e32 v48, 7, v48
	v_cndmask_b32_e32 v16, v51, v16, vcc
	v_cndmask_b32_e32 v36, v36, v48, vcc
	v_lshlrev_b32_e32 v34, 24, v34
	v_lshlrev_b32_e32 v36, 20, v36
	v_and_b32_e32 v34, 0x80000000, v34
	v_lshl_add_u32 v16, v16, 23, v58
	v_or3_b32 v36, v34, v16, v36
.LBB4_3042:                             ;   in Loop: Header=BB4_2553 Depth=2
	s_or_b64 exec, exec, s[90:91]
.LBB4_3043:                             ;   in Loop: Header=BB4_2553 Depth=2
	s_or_b64 exec, exec, s[88:89]
.LBB4_3044:                             ;   in Loop: Header=BB4_2553 Depth=2
	s_or_b64 exec, exec, s[20:21]
	v_and_b32_e32 v16, 0xff, v29
	v_cmp_ne_u16_e32 vcc, 0, v16
	s_and_saveexec_b64 s[20:21], vcc
	s_cbranch_execz .LBB4_3050
; %bb.3045:                             ;   in Loop: Header=BB4_2553 Depth=2
	v_cmp_ne_u16_e32 vcc, s53, v16
	v_bfrev_b32_e32 v17, 1
	s_and_saveexec_b64 s[88:89], vcc
	s_cbranch_execz .LBB4_3049
; %bb.3046:                             ;   in Loop: Header=BB4_2553 Depth=2
	v_and_b32_e32 v34, 0x7f, v29
	v_cmp_ne_u32_e32 vcc, s51, v34
	v_mov_b32_e32 v17, 0x7f800001
	s_and_saveexec_b64 s[90:91], vcc
	s_cbranch_execz .LBB4_3048
; %bb.3047:                             ;   in Loop: Header=BB4_2553 Depth=2
	v_and_b32_e32 v48, 7, v16
	v_ffbh_u32_e32 v17, v48
	v_lshrrev_b32_e32 v49, 3, v34
	v_cmp_gt_u32_e32 vcc, 8, v34
	v_min_u32_e32 v34, 32, v17
	v_subrev_u32_e32 v17, 28, v34
	v_lshlrev_b64 v[16:17], v17, v[16:17]
	v_sub_u32_e32 v17, 29, v34
	v_and_b32_e32 v16, 7, v16
	v_cndmask_b32_e32 v17, v49, v17, vcc
	v_cndmask_b32_e32 v16, v48, v16, vcc
	v_lshlrev_b32_e32 v29, 24, v29
	v_lshlrev_b32_e32 v16, 20, v16
	v_and_b32_e32 v29, 0x80000000, v29
	v_lshl_add_u32 v17, v17, 23, v58
	v_or3_b32 v17, v29, v17, v16
.LBB4_3048:                             ;   in Loop: Header=BB4_2553 Depth=2
	s_or_b64 exec, exec, s[90:91]
.LBB4_3049:                             ;   in Loop: Header=BB4_2553 Depth=2
	s_or_b64 exec, exec, s[88:89]
.LBB4_3050:                             ;   in Loop: Header=BB4_2553 Depth=2
	s_or_b64 exec, exec, s[20:21]
	v_add_f32_e32 v16, v36, v17
	v_and_b32_e32 v36, 0x7f800000, v16
	v_cmp_ne_u64_e32 vcc, s[56:57], v[36:37]
                                        ; implicit-def: $vgpr34
	s_and_saveexec_b64 s[20:21], vcc
	s_xor_b64 s[88:89], exec, s[20:21]
	s_cbranch_execz .LBB4_3068
; %bb.3051:                             ;   in Loop: Header=BB4_2553 Depth=2
	v_and_b32_e32 v36, 0x7fffffff, v16
	v_cmp_gt_u64_e32 vcc, s[58:59], v[36:37]
	v_and_b32_sdwa v29, v16, s53 dst_sel:DWORD dst_unused:UNUSED_PAD src0_sel:BYTE_3 src1_sel:DWORD
                                        ; implicit-def: $vgpr34
	s_and_saveexec_b64 s[20:21], vcc
	s_xor_b64 s[90:91], exec, s[20:21]
	s_cbranch_execz .LBB4_3065
; %bb.3052:                             ;   in Loop: Header=BB4_2553 Depth=2
	v_cmp_ne_u32_e32 vcc, 0, v16
	v_mov_b32_e32 v34, 0
	s_and_saveexec_b64 s[92:93], vcc
	s_cbranch_execz .LBB4_3064
; %bb.3053:                             ;   in Loop: Header=BB4_2553 Depth=2
	v_bfe_u32 v34, v16, 23, 8
	v_and_b32_e32 v17, 0x7fffff, v16
	v_cmp_gt_u32_e64 s[20:21], s54, v34
	v_sub_u32_e32 v16, 0x79, v34
	v_cmp_eq_u32_e32 vcc, 0, v34
	v_cndmask_b32_e64 v16, 0, v16, s[20:21]
	v_cndmask_b32_e32 v44, v16, v31, vcc
	v_or_b32_e32 v36, 0x800000, v17
	v_add_u32_e32 v16, 20, v44
	v_cndmask_b32_e32 v36, v36, v17, vcc
	v_lshlrev_b64 v[16:17], v16, -1
	v_add_u32_e32 v48, 19, v44
	v_lshlrev_b64 v[48:49], v48, 1
	v_bfi_b32 v17, v17, 0, 0
	v_bfi_b32 v16, v16, 0, v36
	v_cmp_eq_u64_e64 s[20:21], v[16:17], v[48:49]
	v_lshrrev_b64 v[16:17], v44, v[36:37]
	v_mov_b32_e32 v51, v17
	v_mov_b32_e32 v50, v16
	s_and_saveexec_b64 s[94:95], s[20:21]
; %bb.3054:                             ;   in Loop: Header=BB4_2553 Depth=2
	v_bfe_u32 v17, v16, 20, 1
	v_add_co_u32_e64 v17, s[20:21], v16, v17
	v_add_co_u32_e64 v50, s[20:21], -1, v17
; %bb.3055:                             ;   in Loop: Header=BB4_2553 Depth=2
	s_or_b64 exec, exec, s[94:95]
	v_add_u32_e32 v17, 0xffffff81, v34
	v_cndmask_b32_e32 v17, v17, v62, vcc
	v_lshrrev_b32_e32 v34, 23, v16
	v_add3_u32 v51, v44, v17, v34
	v_add_u32_e32 v34, 6, v51
	v_and_b32_e32 v17, 0xfffff, v50
	v_add_u32_e32 v36, v17, v16
	v_cmp_ne_u32_e32 vcc, 0, v34
                                        ; implicit-def: $vgpr16_vgpr17
                                        ; implicit-def: $vgpr50
	s_and_saveexec_b64 s[20:21], vcc
	s_xor_b64 s[20:21], exec, s[20:21]
; %bb.3056:                             ;   in Loop: Header=BB4_2553 Depth=2
	v_cmp_lt_u64_e32 vcc, s[60:61], v[36:37]
	v_add_u32_e32 v16, 7, v51
	v_cndmask_b32_e32 v50, v34, v16, vcc
	v_cndmask_b32_e64 v16, 0, 1, vcc
	v_lshrrev_b64 v[16:17], v16, v[36:37]
; %bb.3057:                             ;   in Loop: Header=BB4_2553 Depth=2
	s_andn2_saveexec_b64 s[20:21], s[20:21]
; %bb.3058:                             ;   in Loop: Header=BB4_2553 Depth=2
	v_mov_b32_e32 v16, v36
	v_bfe_u32 v50, v36, 23, 1
	v_mov_b32_e32 v17, v37
; %bb.3059:                             ;   in Loop: Header=BB4_2553 Depth=2
	s_or_b64 exec, exec, s[20:21]
	v_lshrrev_b64 v[16:17], 20, v[16:17]
	v_cmp_gt_i32_e32 vcc, 16, v50
	v_cndmask_b32_e32 v17, 0, v17, vcc
	v_cndmask_b32_e32 v16, 7, v16, vcc
	v_cmp_ne_u64_e32 vcc, 0, v[16:17]
	v_cmp_ne_u32_e64 s[20:21], 0, v50
	s_or_b64 s[20:21], s[20:21], vcc
                                        ; implicit-def: $vgpr34
	s_and_saveexec_b64 s[94:95], s[20:21]
	s_xor_b64 s[20:21], exec, s[94:95]
; %bb.3060:                             ;   in Loop: Header=BB4_2553 Depth=2
	v_min_i32_e32 v17, 15, v50
	v_lshl_or_b32 v17, v17, 3, v29
	v_and_or_b32 v34, v16, 7, v17
                                        ; implicit-def: $vgpr29
; %bb.3061:                             ;   in Loop: Header=BB4_2553 Depth=2
	s_andn2_saveexec_b64 s[20:21], s[20:21]
; %bb.3062:                             ;   in Loop: Header=BB4_2553 Depth=2
	v_mov_b32_e32 v34, v29
; %bb.3063:                             ;   in Loop: Header=BB4_2553 Depth=2
	s_or_b64 exec, exec, s[20:21]
.LBB4_3064:                             ;   in Loop: Header=BB4_2553 Depth=2
	s_or_b64 exec, exec, s[92:93]
                                        ; implicit-def: $vgpr29
.LBB4_3065:                             ;   in Loop: Header=BB4_2553 Depth=2
	s_andn2_saveexec_b64 s[20:21], s[90:91]
; %bb.3066:                             ;   in Loop: Header=BB4_2553 Depth=2
	v_or_b32_e32 v34, 0x7e, v29
; %bb.3067:                             ;   in Loop: Header=BB4_2553 Depth=2
	s_or_b64 exec, exec, s[20:21]
                                        ; implicit-def: $vgpr16
.LBB4_3068:                             ;   in Loop: Header=BB4_2553 Depth=2
	s_andn2_saveexec_b64 s[20:21], s[88:89]
; %bb.3069:                             ;   in Loop: Header=BB4_2553 Depth=2
	v_or_b32_sdwa v34, v16, s51 dst_sel:DWORD dst_unused:UNUSED_PAD src0_sel:BYTE_3 src1_sel:DWORD
; %bb.3070:                             ;   in Loop: Header=BB4_2553 Depth=2
	s_or_b64 exec, exec, s[20:21]
	v_and_b32_e32 v16, 0xff, v32
	v_cmp_ne_u16_e32 vcc, 0, v16
	v_mov_b32_e32 v17, 0
	v_mov_b32_e32 v29, 0
	s_and_saveexec_b64 s[20:21], vcc
	s_cbranch_execz .LBB4_3076
; %bb.3071:                             ;   in Loop: Header=BB4_2553 Depth=2
	v_cmp_ne_u16_e32 vcc, s53, v16
	v_bfrev_b32_e32 v29, 1
	s_and_saveexec_b64 s[88:89], vcc
	s_cbranch_execz .LBB4_3075
; %bb.3072:                             ;   in Loop: Header=BB4_2553 Depth=2
	v_and_b32_e32 v36, 0x7f, v32
	v_cmp_ne_u32_e32 vcc, s51, v36
	v_mov_b32_e32 v29, 0x7f800001
	s_and_saveexec_b64 s[90:91], vcc
	s_cbranch_execz .LBB4_3074
; %bb.3073:                             ;   in Loop: Header=BB4_2553 Depth=2
	v_and_b32_e32 v29, 7, v16
	v_lshrrev_b32_e32 v50, 3, v36
	v_cmp_gt_u32_e32 vcc, 8, v36
	v_ffbh_u32_e32 v36, v29
	v_min_u32_e32 v36, 32, v36
	v_subrev_u32_e32 v48, 28, v36
	v_lshlrev_b64 v[48:49], v48, v[16:17]
	v_sub_u32_e32 v16, 29, v36
	v_and_b32_e32 v36, 7, v48
	v_cndmask_b32_e32 v16, v50, v16, vcc
	v_cndmask_b32_e32 v29, v29, v36, vcc
	v_lshlrev_b32_e32 v32, 24, v32
	v_lshlrev_b32_e32 v29, 20, v29
	v_and_b32_e32 v32, 0x80000000, v32
	v_lshl_add_u32 v16, v16, 23, v58
	v_or3_b32 v29, v32, v16, v29
.LBB4_3074:                             ;   in Loop: Header=BB4_2553 Depth=2
	s_or_b64 exec, exec, s[90:91]
.LBB4_3075:                             ;   in Loop: Header=BB4_2553 Depth=2
	s_or_b64 exec, exec, s[88:89]
.LBB4_3076:                             ;   in Loop: Header=BB4_2553 Depth=2
	s_or_b64 exec, exec, s[20:21]
	v_and_b32_e32 v16, 0xff, v28
	v_cmp_ne_u16_e32 vcc, 0, v16
	s_and_saveexec_b64 s[20:21], vcc
	s_cbranch_execz .LBB4_3082
; %bb.3077:                             ;   in Loop: Header=BB4_2553 Depth=2
	v_cmp_ne_u16_e32 vcc, s53, v16
	v_bfrev_b32_e32 v17, 1
	s_and_saveexec_b64 s[88:89], vcc
	s_cbranch_execz .LBB4_3081
; %bb.3078:                             ;   in Loop: Header=BB4_2553 Depth=2
	v_and_b32_e32 v32, 0x7f, v28
	v_cmp_ne_u32_e32 vcc, s51, v32
	v_mov_b32_e32 v17, 0x7f800001
	s_and_saveexec_b64 s[90:91], vcc
	s_cbranch_execz .LBB4_3080
; %bb.3079:                             ;   in Loop: Header=BB4_2553 Depth=2
	v_and_b32_e32 v36, 7, v16
	v_ffbh_u32_e32 v17, v36
	v_lshrrev_b32_e32 v48, 3, v32
	v_cmp_gt_u32_e32 vcc, 8, v32
	v_min_u32_e32 v32, 32, v17
	v_subrev_u32_e32 v17, 28, v32
	v_lshlrev_b64 v[16:17], v17, v[16:17]
	v_sub_u32_e32 v17, 29, v32
	v_and_b32_e32 v16, 7, v16
	v_cndmask_b32_e32 v17, v48, v17, vcc
	v_cndmask_b32_e32 v16, v36, v16, vcc
	v_lshlrev_b32_e32 v28, 24, v28
	v_lshlrev_b32_e32 v16, 20, v16
	v_and_b32_e32 v28, 0x80000000, v28
	v_lshl_add_u32 v17, v17, 23, v58
	v_or3_b32 v17, v28, v17, v16
.LBB4_3080:                             ;   in Loop: Header=BB4_2553 Depth=2
	s_or_b64 exec, exec, s[90:91]
.LBB4_3081:                             ;   in Loop: Header=BB4_2553 Depth=2
	s_or_b64 exec, exec, s[88:89]
.LBB4_3082:                             ;   in Loop: Header=BB4_2553 Depth=2
	s_or_b64 exec, exec, s[20:21]
	v_add_f32_e32 v16, v29, v17
	v_and_b32_e32 v36, 0x7f800000, v16
	v_cmp_ne_u64_e32 vcc, s[56:57], v[36:37]
                                        ; implicit-def: $vgpr32
	s_and_saveexec_b64 s[20:21], vcc
	s_xor_b64 s[88:89], exec, s[20:21]
	s_cbranch_execz .LBB4_3100
; %bb.3083:                             ;   in Loop: Header=BB4_2553 Depth=2
	v_and_b32_e32 v36, 0x7fffffff, v16
	v_cmp_gt_u64_e32 vcc, s[58:59], v[36:37]
	v_and_b32_sdwa v28, v16, s53 dst_sel:DWORD dst_unused:UNUSED_PAD src0_sel:BYTE_3 src1_sel:DWORD
                                        ; implicit-def: $vgpr32
	s_and_saveexec_b64 s[20:21], vcc
	s_xor_b64 s[90:91], exec, s[20:21]
	s_cbranch_execz .LBB4_3097
; %bb.3084:                             ;   in Loop: Header=BB4_2553 Depth=2
	v_cmp_ne_u32_e32 vcc, 0, v16
	v_mov_b32_e32 v32, 0
	s_and_saveexec_b64 s[92:93], vcc
	s_cbranch_execz .LBB4_3096
; %bb.3085:                             ;   in Loop: Header=BB4_2553 Depth=2
	v_bfe_u32 v29, v16, 23, 8
	v_and_b32_e32 v17, 0x7fffff, v16
	v_cmp_gt_u32_e64 s[20:21], s54, v29
	v_sub_u32_e32 v16, 0x79, v29
	v_cmp_eq_u32_e32 vcc, 0, v29
	v_cndmask_b32_e64 v16, 0, v16, s[20:21]
	v_cndmask_b32_e32 v32, v16, v31, vcc
	v_or_b32_e32 v36, 0x800000, v17
	v_add_u32_e32 v16, 20, v32
	v_cndmask_b32_e32 v36, v36, v17, vcc
	v_lshlrev_b64 v[16:17], v16, -1
	v_add_u32_e32 v48, 19, v32
	v_lshlrev_b64 v[48:49], v48, 1
	v_bfi_b32 v17, v17, 0, 0
	v_bfi_b32 v16, v16, 0, v36
	v_cmp_eq_u64_e64 s[20:21], v[16:17], v[48:49]
	v_lshrrev_b64 v[16:17], v32, v[36:37]
	v_mov_b32_e32 v51, v17
	v_mov_b32_e32 v50, v16
	s_and_saveexec_b64 s[94:95], s[20:21]
; %bb.3086:                             ;   in Loop: Header=BB4_2553 Depth=2
	v_bfe_u32 v17, v16, 20, 1
	v_add_co_u32_e64 v17, s[20:21], v16, v17
	v_add_co_u32_e64 v50, s[20:21], -1, v17
; %bb.3087:                             ;   in Loop: Header=BB4_2553 Depth=2
	s_or_b64 exec, exec, s[94:95]
	v_add_u32_e32 v17, 0xffffff81, v29
	v_cndmask_b32_e32 v17, v17, v62, vcc
	v_lshrrev_b32_e32 v29, 23, v16
	v_add3_u32 v51, v32, v17, v29
	v_add_u32_e32 v32, 6, v51
	v_and_b32_e32 v17, 0xfffff, v50
	v_add_u32_e32 v36, v17, v16
	v_cmp_ne_u32_e32 vcc, 0, v32
                                        ; implicit-def: $vgpr16_vgpr17
                                        ; implicit-def: $vgpr29
	s_and_saveexec_b64 s[20:21], vcc
	s_xor_b64 s[20:21], exec, s[20:21]
; %bb.3088:                             ;   in Loop: Header=BB4_2553 Depth=2
	v_cmp_lt_u64_e32 vcc, s[60:61], v[36:37]
	v_add_u32_e32 v16, 7, v51
	v_cndmask_b32_e32 v29, v32, v16, vcc
	v_cndmask_b32_e64 v16, 0, 1, vcc
	v_lshrrev_b64 v[16:17], v16, v[36:37]
; %bb.3089:                             ;   in Loop: Header=BB4_2553 Depth=2
	s_andn2_saveexec_b64 s[20:21], s[20:21]
; %bb.3090:                             ;   in Loop: Header=BB4_2553 Depth=2
	v_mov_b32_e32 v16, v36
	v_bfe_u32 v29, v36, 23, 1
	v_mov_b32_e32 v17, v37
; %bb.3091:                             ;   in Loop: Header=BB4_2553 Depth=2
	s_or_b64 exec, exec, s[20:21]
	v_lshrrev_b64 v[16:17], 20, v[16:17]
	v_cmp_gt_i32_e32 vcc, 16, v29
	v_cndmask_b32_e32 v17, 0, v17, vcc
	v_cndmask_b32_e32 v16, 7, v16, vcc
	v_cmp_ne_u64_e32 vcc, 0, v[16:17]
	v_cmp_ne_u32_e64 s[20:21], 0, v29
	s_or_b64 s[20:21], s[20:21], vcc
                                        ; implicit-def: $vgpr32
	s_and_saveexec_b64 s[94:95], s[20:21]
	s_xor_b64 s[20:21], exec, s[94:95]
; %bb.3092:                             ;   in Loop: Header=BB4_2553 Depth=2
	v_min_i32_e32 v17, 15, v29
	v_lshl_or_b32 v17, v17, 3, v28
	v_and_or_b32 v32, v16, 7, v17
                                        ; implicit-def: $vgpr28
; %bb.3093:                             ;   in Loop: Header=BB4_2553 Depth=2
	s_andn2_saveexec_b64 s[20:21], s[20:21]
; %bb.3094:                             ;   in Loop: Header=BB4_2553 Depth=2
	v_mov_b32_e32 v32, v28
; %bb.3095:                             ;   in Loop: Header=BB4_2553 Depth=2
	s_or_b64 exec, exec, s[20:21]
.LBB4_3096:                             ;   in Loop: Header=BB4_2553 Depth=2
	s_or_b64 exec, exec, s[92:93]
                                        ; implicit-def: $vgpr28
.LBB4_3097:                             ;   in Loop: Header=BB4_2553 Depth=2
	s_andn2_saveexec_b64 s[20:21], s[90:91]
; %bb.3098:                             ;   in Loop: Header=BB4_2553 Depth=2
	v_or_b32_e32 v32, 0x7e, v28
; %bb.3099:                             ;   in Loop: Header=BB4_2553 Depth=2
	s_or_b64 exec, exec, s[20:21]
                                        ; implicit-def: $vgpr16
.LBB4_3100:                             ;   in Loop: Header=BB4_2553 Depth=2
	s_andn2_saveexec_b64 s[20:21], s[88:89]
; %bb.3101:                             ;   in Loop: Header=BB4_2553 Depth=2
	v_or_b32_sdwa v32, v16, s51 dst_sel:DWORD dst_unused:UNUSED_PAD src0_sel:BYTE_3 src1_sel:DWORD
; %bb.3102:                             ;   in Loop: Header=BB4_2553 Depth=2
	s_or_b64 exec, exec, s[20:21]
	v_and_b32_e32 v16, 0xff, v30
	v_cmp_ne_u16_e32 vcc, 0, v16
	v_mov_b32_e32 v17, 0
	v_mov_b32_e32 v28, 0
	s_and_saveexec_b64 s[20:21], vcc
	s_cbranch_execz .LBB4_3108
; %bb.3103:                             ;   in Loop: Header=BB4_2553 Depth=2
	v_cmp_ne_u16_e32 vcc, s53, v16
	v_bfrev_b32_e32 v28, 1
	s_and_saveexec_b64 s[88:89], vcc
	s_cbranch_execz .LBB4_3107
; %bb.3104:                             ;   in Loop: Header=BB4_2553 Depth=2
	v_and_b32_e32 v29, 0x7f, v30
	v_cmp_ne_u32_e32 vcc, s51, v29
	v_mov_b32_e32 v28, 0x7f800001
	s_and_saveexec_b64 s[90:91], vcc
	s_cbranch_execz .LBB4_3106
; %bb.3105:                             ;   in Loop: Header=BB4_2553 Depth=2
	v_and_b32_e32 v36, 7, v16
	v_ffbh_u32_e32 v28, v36
	v_min_u32_e32 v49, 32, v28
	v_subrev_u32_e32 v28, 28, v49
	v_lshrrev_b32_e32 v48, 3, v29
	v_cmp_gt_u32_e32 vcc, 8, v29
	v_lshlrev_b64 v[28:29], v28, v[16:17]
	v_sub_u32_e32 v16, 29, v49
	v_and_b32_e32 v28, 7, v28
	v_cndmask_b32_e32 v16, v48, v16, vcc
	v_cndmask_b32_e32 v28, v36, v28, vcc
	v_lshlrev_b32_e32 v29, 24, v30
	v_lshlrev_b32_e32 v28, 20, v28
	v_and_b32_e32 v29, 0x80000000, v29
	v_lshl_add_u32 v16, v16, 23, v58
	v_or3_b32 v28, v29, v16, v28
.LBB4_3106:                             ;   in Loop: Header=BB4_2553 Depth=2
	s_or_b64 exec, exec, s[90:91]
.LBB4_3107:                             ;   in Loop: Header=BB4_2553 Depth=2
	s_or_b64 exec, exec, s[88:89]
.LBB4_3108:                             ;   in Loop: Header=BB4_2553 Depth=2
	s_or_b64 exec, exec, s[20:21]
	v_and_b32_e32 v16, 0xff, v43
	v_cmp_ne_u16_e32 vcc, 0, v16
	s_and_saveexec_b64 s[20:21], vcc
	s_cbranch_execz .LBB4_3114
; %bb.3109:                             ;   in Loop: Header=BB4_2553 Depth=2
	v_cmp_ne_u16_e32 vcc, s53, v16
	v_bfrev_b32_e32 v17, 1
	s_and_saveexec_b64 s[88:89], vcc
	s_cbranch_execz .LBB4_3113
; %bb.3110:                             ;   in Loop: Header=BB4_2553 Depth=2
	v_and_b32_e32 v29, 0x7f, v43
	v_cmp_ne_u32_e32 vcc, s51, v29
	v_mov_b32_e32 v17, 0x7f800001
	s_and_saveexec_b64 s[90:91], vcc
	s_cbranch_execz .LBB4_3112
; %bb.3111:                             ;   in Loop: Header=BB4_2553 Depth=2
	v_and_b32_e32 v30, 7, v16
	v_ffbh_u32_e32 v17, v30
	v_lshrrev_b32_e32 v36, 3, v29
	v_cmp_gt_u32_e32 vcc, 8, v29
	v_min_u32_e32 v29, 32, v17
	v_subrev_u32_e32 v17, 28, v29
	v_lshlrev_b64 v[16:17], v17, v[16:17]
	v_sub_u32_e32 v17, 29, v29
	v_and_b32_e32 v16, 7, v16
	v_cndmask_b32_e32 v17, v36, v17, vcc
	v_cndmask_b32_e32 v16, v30, v16, vcc
	v_lshlrev_b32_e32 v29, 24, v43
	v_lshlrev_b32_e32 v16, 20, v16
	v_and_b32_e32 v29, 0x80000000, v29
	v_lshl_add_u32 v17, v17, 23, v58
	v_or3_b32 v17, v29, v17, v16
.LBB4_3112:                             ;   in Loop: Header=BB4_2553 Depth=2
	s_or_b64 exec, exec, s[90:91]
.LBB4_3113:                             ;   in Loop: Header=BB4_2553 Depth=2
	s_or_b64 exec, exec, s[88:89]
.LBB4_3114:                             ;   in Loop: Header=BB4_2553 Depth=2
	s_or_b64 exec, exec, s[20:21]
	v_add_f32_e32 v16, v28, v17
	v_and_b32_e32 v36, 0x7f800000, v16
	v_cmp_ne_u64_e32 vcc, s[56:57], v[36:37]
                                        ; implicit-def: $vgpr30
	s_and_saveexec_b64 s[20:21], vcc
	s_xor_b64 s[88:89], exec, s[20:21]
	s_cbranch_execz .LBB4_3132
; %bb.3115:                             ;   in Loop: Header=BB4_2553 Depth=2
	v_and_b32_e32 v36, 0x7fffffff, v16
	v_cmp_gt_u64_e32 vcc, s[58:59], v[36:37]
	v_and_b32_sdwa v28, v16, s53 dst_sel:DWORD dst_unused:UNUSED_PAD src0_sel:BYTE_3 src1_sel:DWORD
                                        ; implicit-def: $vgpr30
	s_and_saveexec_b64 s[20:21], vcc
	s_xor_b64 s[90:91], exec, s[20:21]
	s_cbranch_execz .LBB4_3129
; %bb.3116:                             ;   in Loop: Header=BB4_2553 Depth=2
	v_cmp_ne_u32_e32 vcc, 0, v16
	v_mov_b32_e32 v30, 0
	s_and_saveexec_b64 s[92:93], vcc
	s_cbranch_execz .LBB4_3128
; %bb.3117:                             ;   in Loop: Header=BB4_2553 Depth=2
	v_bfe_u32 v29, v16, 23, 8
	v_and_b32_e32 v17, 0x7fffff, v16
	v_cmp_gt_u32_e64 s[20:21], s54, v29
	v_sub_u32_e32 v16, 0x79, v29
	v_cmp_eq_u32_e32 vcc, 0, v29
	v_cndmask_b32_e64 v16, 0, v16, s[20:21]
	v_cndmask_b32_e32 v30, v16, v31, vcc
	v_or_b32_e32 v36, 0x800000, v17
	v_add_u32_e32 v16, 20, v30
	v_cndmask_b32_e32 v36, v36, v17, vcc
	v_lshlrev_b64 v[16:17], v16, -1
	v_add_u32_e32 v48, 19, v30
	v_lshlrev_b64 v[48:49], v48, 1
	v_bfi_b32 v17, v17, 0, 0
	v_bfi_b32 v16, v16, 0, v36
	v_cmp_eq_u64_e64 s[20:21], v[16:17], v[48:49]
	v_lshrrev_b64 v[16:17], v30, v[36:37]
	v_mov_b32_e32 v51, v17
	v_mov_b32_e32 v50, v16
	s_and_saveexec_b64 s[94:95], s[20:21]
; %bb.3118:                             ;   in Loop: Header=BB4_2553 Depth=2
	v_bfe_u32 v17, v16, 20, 1
	v_add_co_u32_e64 v17, s[20:21], v16, v17
	v_add_co_u32_e64 v50, s[20:21], -1, v17
; %bb.3119:                             ;   in Loop: Header=BB4_2553 Depth=2
	s_or_b64 exec, exec, s[94:95]
	v_add_u32_e32 v17, 0xffffff81, v29
	v_cndmask_b32_e32 v17, v17, v62, vcc
	v_lshrrev_b32_e32 v29, 23, v16
	v_add3_u32 v51, v30, v17, v29
	v_add_u32_e32 v30, 6, v51
	v_and_b32_e32 v17, 0xfffff, v50
	v_add_u32_e32 v36, v17, v16
	v_cmp_ne_u32_e32 vcc, 0, v30
                                        ; implicit-def: $vgpr16_vgpr17
                                        ; implicit-def: $vgpr29
	s_and_saveexec_b64 s[20:21], vcc
	s_xor_b64 s[20:21], exec, s[20:21]
; %bb.3120:                             ;   in Loop: Header=BB4_2553 Depth=2
	v_cmp_lt_u64_e32 vcc, s[60:61], v[36:37]
	v_add_u32_e32 v16, 7, v51
	v_cndmask_b32_e32 v29, v30, v16, vcc
	v_cndmask_b32_e64 v16, 0, 1, vcc
	v_lshrrev_b64 v[16:17], v16, v[36:37]
; %bb.3121:                             ;   in Loop: Header=BB4_2553 Depth=2
	s_andn2_saveexec_b64 s[20:21], s[20:21]
; %bb.3122:                             ;   in Loop: Header=BB4_2553 Depth=2
	v_mov_b32_e32 v16, v36
	v_bfe_u32 v29, v36, 23, 1
	v_mov_b32_e32 v17, v37
; %bb.3123:                             ;   in Loop: Header=BB4_2553 Depth=2
	s_or_b64 exec, exec, s[20:21]
	v_lshrrev_b64 v[16:17], 20, v[16:17]
	v_cmp_gt_i32_e32 vcc, 16, v29
	v_cndmask_b32_e32 v17, 0, v17, vcc
	v_cndmask_b32_e32 v16, 7, v16, vcc
	v_cmp_ne_u64_e32 vcc, 0, v[16:17]
	v_cmp_ne_u32_e64 s[20:21], 0, v29
	s_or_b64 s[20:21], s[20:21], vcc
                                        ; implicit-def: $vgpr30
	s_and_saveexec_b64 s[94:95], s[20:21]
	s_xor_b64 s[20:21], exec, s[94:95]
; %bb.3124:                             ;   in Loop: Header=BB4_2553 Depth=2
	v_min_i32_e32 v17, 15, v29
	v_lshl_or_b32 v17, v17, 3, v28
	v_and_or_b32 v30, v16, 7, v17
                                        ; implicit-def: $vgpr28
; %bb.3125:                             ;   in Loop: Header=BB4_2553 Depth=2
	s_andn2_saveexec_b64 s[20:21], s[20:21]
; %bb.3126:                             ;   in Loop: Header=BB4_2553 Depth=2
	v_mov_b32_e32 v30, v28
; %bb.3127:                             ;   in Loop: Header=BB4_2553 Depth=2
	s_or_b64 exec, exec, s[20:21]
.LBB4_3128:                             ;   in Loop: Header=BB4_2553 Depth=2
	s_or_b64 exec, exec, s[92:93]
                                        ; implicit-def: $vgpr28
.LBB4_3129:                             ;   in Loop: Header=BB4_2553 Depth=2
	s_andn2_saveexec_b64 s[20:21], s[90:91]
; %bb.3130:                             ;   in Loop: Header=BB4_2553 Depth=2
	v_or_b32_e32 v30, 0x7e, v28
; %bb.3131:                             ;   in Loop: Header=BB4_2553 Depth=2
	s_or_b64 exec, exec, s[20:21]
                                        ; implicit-def: $vgpr16
.LBB4_3132:                             ;   in Loop: Header=BB4_2553 Depth=2
	s_andn2_saveexec_b64 s[20:21], s[88:89]
; %bb.3133:                             ;   in Loop: Header=BB4_2553 Depth=2
	v_or_b32_sdwa v30, v16, s51 dst_sel:DWORD dst_unused:UNUSED_PAD src0_sel:BYTE_3 src1_sel:DWORD
; %bb.3134:                             ;   in Loop: Header=BB4_2553 Depth=2
	s_or_b64 exec, exec, s[20:21]
	v_and_b32_e32 v16, 0xff, v27
	v_cmp_ne_u16_e32 vcc, 0, v16
	v_mov_b32_e32 v17, 0
	v_mov_b32_e32 v28, 0
	s_and_saveexec_b64 s[20:21], vcc
	s_cbranch_execz .LBB4_3140
; %bb.3135:                             ;   in Loop: Header=BB4_2553 Depth=2
	v_cmp_ne_u16_e32 vcc, s53, v16
	v_bfrev_b32_e32 v28, 1
	s_and_saveexec_b64 s[88:89], vcc
	s_cbranch_execz .LBB4_3139
; %bb.3136:                             ;   in Loop: Header=BB4_2553 Depth=2
	v_and_b32_e32 v29, 0x7f, v27
	v_cmp_ne_u32_e32 vcc, s51, v29
	v_mov_b32_e32 v28, 0x7f800001
	s_and_saveexec_b64 s[90:91], vcc
	s_cbranch_execz .LBB4_3138
; %bb.3137:                             ;   in Loop: Header=BB4_2553 Depth=2
	v_and_b32_e32 v36, 7, v16
	v_ffbh_u32_e32 v28, v36
	v_min_u32_e32 v49, 32, v28
	v_subrev_u32_e32 v28, 28, v49
	v_lshrrev_b32_e32 v48, 3, v29
	v_cmp_gt_u32_e32 vcc, 8, v29
	v_lshlrev_b64 v[28:29], v28, v[16:17]
	v_sub_u32_e32 v16, 29, v49
	v_and_b32_e32 v28, 7, v28
	v_cndmask_b32_e32 v16, v48, v16, vcc
	v_cndmask_b32_e32 v28, v36, v28, vcc
	v_lshlrev_b32_e32 v27, 24, v27
	v_lshlrev_b32_e32 v28, 20, v28
	v_and_b32_e32 v27, 0x80000000, v27
	v_lshl_add_u32 v16, v16, 23, v58
	v_or3_b32 v28, v27, v16, v28
.LBB4_3138:                             ;   in Loop: Header=BB4_2553 Depth=2
	s_or_b64 exec, exec, s[90:91]
.LBB4_3139:                             ;   in Loop: Header=BB4_2553 Depth=2
	s_or_b64 exec, exec, s[88:89]
.LBB4_3140:                             ;   in Loop: Header=BB4_2553 Depth=2
	s_or_b64 exec, exec, s[20:21]
	v_and_b32_e32 v16, 0xff, v42
	v_cmp_ne_u16_e32 vcc, 0, v16
	s_and_saveexec_b64 s[20:21], vcc
	s_cbranch_execz .LBB4_3146
; %bb.3141:                             ;   in Loop: Header=BB4_2553 Depth=2
	v_cmp_ne_u16_e32 vcc, s53, v16
	v_bfrev_b32_e32 v17, 1
	s_and_saveexec_b64 s[88:89], vcc
	s_cbranch_execz .LBB4_3145
; %bb.3142:                             ;   in Loop: Header=BB4_2553 Depth=2
	v_and_b32_e32 v27, 0x7f, v42
	v_cmp_ne_u32_e32 vcc, s51, v27
	v_mov_b32_e32 v17, 0x7f800001
	s_and_saveexec_b64 s[90:91], vcc
	s_cbranch_execz .LBB4_3144
; %bb.3143:                             ;   in Loop: Header=BB4_2553 Depth=2
	v_and_b32_e32 v29, 7, v16
	v_ffbh_u32_e32 v17, v29
	v_lshrrev_b32_e32 v36, 3, v27
	v_cmp_gt_u32_e32 vcc, 8, v27
	v_min_u32_e32 v27, 32, v17
	v_subrev_u32_e32 v17, 28, v27
	v_lshlrev_b64 v[16:17], v17, v[16:17]
	v_sub_u32_e32 v17, 29, v27
	v_and_b32_e32 v16, 7, v16
	v_cndmask_b32_e32 v17, v36, v17, vcc
	v_cndmask_b32_e32 v16, v29, v16, vcc
	v_lshlrev_b32_e32 v27, 24, v42
	v_lshlrev_b32_e32 v16, 20, v16
	v_and_b32_e32 v27, 0x80000000, v27
	v_lshl_add_u32 v17, v17, 23, v58
	v_or3_b32 v17, v27, v17, v16
.LBB4_3144:                             ;   in Loop: Header=BB4_2553 Depth=2
	s_or_b64 exec, exec, s[90:91]
.LBB4_3145:                             ;   in Loop: Header=BB4_2553 Depth=2
	s_or_b64 exec, exec, s[88:89]
.LBB4_3146:                             ;   in Loop: Header=BB4_2553 Depth=2
	s_or_b64 exec, exec, s[20:21]
	v_add_f32_e32 v16, v28, v17
	v_and_b32_e32 v36, 0x7f800000, v16
	v_cmp_ne_u64_e32 vcc, s[56:57], v[36:37]
                                        ; implicit-def: $vgpr27
	s_and_saveexec_b64 s[20:21], vcc
	s_xor_b64 s[88:89], exec, s[20:21]
	s_cbranch_execz .LBB4_3164
; %bb.3147:                             ;   in Loop: Header=BB4_2553 Depth=2
	v_and_b32_e32 v36, 0x7fffffff, v16
	v_cmp_gt_u64_e32 vcc, s[58:59], v[36:37]
	v_and_b32_sdwa v28, v16, s53 dst_sel:DWORD dst_unused:UNUSED_PAD src0_sel:BYTE_3 src1_sel:DWORD
                                        ; implicit-def: $vgpr27
	s_and_saveexec_b64 s[20:21], vcc
	s_xor_b64 s[90:91], exec, s[20:21]
	s_cbranch_execz .LBB4_3161
; %bb.3148:                             ;   in Loop: Header=BB4_2553 Depth=2
	v_cmp_ne_u32_e32 vcc, 0, v16
	v_mov_b32_e32 v27, 0
	s_and_saveexec_b64 s[92:93], vcc
	s_cbranch_execz .LBB4_3160
; %bb.3149:                             ;   in Loop: Header=BB4_2553 Depth=2
	v_bfe_u32 v27, v16, 23, 8
	v_and_b32_e32 v17, 0x7fffff, v16
	v_cmp_gt_u32_e64 s[20:21], s54, v27
	v_sub_u32_e32 v16, 0x79, v27
	v_cmp_eq_u32_e32 vcc, 0, v27
	v_cndmask_b32_e64 v16, 0, v16, s[20:21]
	v_cndmask_b32_e32 v29, v16, v31, vcc
	v_or_b32_e32 v36, 0x800000, v17
	v_add_u32_e32 v16, 20, v29
	v_cndmask_b32_e32 v36, v36, v17, vcc
	v_lshlrev_b64 v[16:17], v16, -1
	v_add_u32_e32 v48, 19, v29
	v_lshlrev_b64 v[48:49], v48, 1
	v_bfi_b32 v17, v17, 0, 0
	v_bfi_b32 v16, v16, 0, v36
	v_cmp_eq_u64_e64 s[20:21], v[16:17], v[48:49]
	v_lshrrev_b64 v[16:17], v29, v[36:37]
	v_mov_b32_e32 v51, v17
	v_mov_b32_e32 v50, v16
	s_and_saveexec_b64 s[94:95], s[20:21]
; %bb.3150:                             ;   in Loop: Header=BB4_2553 Depth=2
	v_bfe_u32 v17, v16, 20, 1
	v_add_co_u32_e64 v17, s[20:21], v16, v17
	v_add_co_u32_e64 v50, s[20:21], -1, v17
; %bb.3151:                             ;   in Loop: Header=BB4_2553 Depth=2
	s_or_b64 exec, exec, s[94:95]
	v_add_u32_e32 v17, 0xffffff81, v27
	v_cndmask_b32_e32 v17, v17, v62, vcc
	v_lshrrev_b32_e32 v27, 23, v16
	v_add3_u32 v51, v29, v17, v27
	v_add_u32_e32 v27, 6, v51
	v_and_b32_e32 v17, 0xfffff, v50
	v_add_u32_e32 v36, v17, v16
	v_cmp_ne_u32_e32 vcc, 0, v27
                                        ; implicit-def: $vgpr16_vgpr17
                                        ; implicit-def: $vgpr29
	s_and_saveexec_b64 s[20:21], vcc
	s_xor_b64 s[20:21], exec, s[20:21]
; %bb.3152:                             ;   in Loop: Header=BB4_2553 Depth=2
	v_cmp_lt_u64_e32 vcc, s[60:61], v[36:37]
	v_add_u32_e32 v16, 7, v51
	v_cndmask_b32_e32 v29, v27, v16, vcc
	v_cndmask_b32_e64 v16, 0, 1, vcc
	v_lshrrev_b64 v[16:17], v16, v[36:37]
; %bb.3153:                             ;   in Loop: Header=BB4_2553 Depth=2
	s_andn2_saveexec_b64 s[20:21], s[20:21]
; %bb.3154:                             ;   in Loop: Header=BB4_2553 Depth=2
	v_mov_b32_e32 v16, v36
	v_bfe_u32 v29, v36, 23, 1
	v_mov_b32_e32 v17, v37
; %bb.3155:                             ;   in Loop: Header=BB4_2553 Depth=2
	s_or_b64 exec, exec, s[20:21]
	v_lshrrev_b64 v[16:17], 20, v[16:17]
	v_cmp_gt_i32_e32 vcc, 16, v29
	v_cndmask_b32_e32 v17, 0, v17, vcc
	v_cndmask_b32_e32 v16, 7, v16, vcc
	v_cmp_ne_u64_e32 vcc, 0, v[16:17]
	v_cmp_ne_u32_e64 s[20:21], 0, v29
	s_or_b64 s[20:21], s[20:21], vcc
                                        ; implicit-def: $vgpr27
	s_and_saveexec_b64 s[94:95], s[20:21]
	s_xor_b64 s[20:21], exec, s[94:95]
; %bb.3156:                             ;   in Loop: Header=BB4_2553 Depth=2
	v_min_i32_e32 v17, 15, v29
	v_lshl_or_b32 v17, v17, 3, v28
	v_and_or_b32 v27, v16, 7, v17
                                        ; implicit-def: $vgpr28
; %bb.3157:                             ;   in Loop: Header=BB4_2553 Depth=2
	s_andn2_saveexec_b64 s[20:21], s[20:21]
; %bb.3158:                             ;   in Loop: Header=BB4_2553 Depth=2
	v_mov_b32_e32 v27, v28
; %bb.3159:                             ;   in Loop: Header=BB4_2553 Depth=2
	s_or_b64 exec, exec, s[20:21]
.LBB4_3160:                             ;   in Loop: Header=BB4_2553 Depth=2
	s_or_b64 exec, exec, s[92:93]
                                        ; implicit-def: $vgpr28
.LBB4_3161:                             ;   in Loop: Header=BB4_2553 Depth=2
	s_andn2_saveexec_b64 s[20:21], s[90:91]
; %bb.3162:                             ;   in Loop: Header=BB4_2553 Depth=2
	v_or_b32_e32 v27, 0x7e, v28
; %bb.3163:                             ;   in Loop: Header=BB4_2553 Depth=2
	s_or_b64 exec, exec, s[20:21]
                                        ; implicit-def: $vgpr16
.LBB4_3164:                             ;   in Loop: Header=BB4_2553 Depth=2
	s_andn2_saveexec_b64 s[20:21], s[88:89]
; %bb.3165:                             ;   in Loop: Header=BB4_2553 Depth=2
	v_or_b32_sdwa v27, v16, s51 dst_sel:DWORD dst_unused:UNUSED_PAD src0_sel:BYTE_3 src1_sel:DWORD
; %bb.3166:                             ;   in Loop: Header=BB4_2553 Depth=2
	s_or_b64 exec, exec, s[20:21]
	v_and_b32_e32 v16, 0xff, v26
	v_cmp_ne_u16_e32 vcc, 0, v16
	v_mov_b32_e32 v17, 0
	v_mov_b32_e32 v28, 0
	s_and_saveexec_b64 s[20:21], vcc
	s_cbranch_execz .LBB4_3172
; %bb.3167:                             ;   in Loop: Header=BB4_2553 Depth=2
	v_cmp_ne_u16_e32 vcc, s53, v16
	v_bfrev_b32_e32 v28, 1
	s_and_saveexec_b64 s[88:89], vcc
	s_cbranch_execz .LBB4_3171
; %bb.3168:                             ;   in Loop: Header=BB4_2553 Depth=2
	v_and_b32_e32 v29, 0x7f, v26
	v_cmp_ne_u32_e32 vcc, s51, v29
	v_mov_b32_e32 v28, 0x7f800001
	s_and_saveexec_b64 s[90:91], vcc
	s_cbranch_execz .LBB4_3170
; %bb.3169:                             ;   in Loop: Header=BB4_2553 Depth=2
	v_and_b32_e32 v36, 7, v16
	v_ffbh_u32_e32 v28, v36
	v_min_u32_e32 v49, 32, v28
	v_subrev_u32_e32 v28, 28, v49
	v_lshrrev_b32_e32 v48, 3, v29
	v_cmp_gt_u32_e32 vcc, 8, v29
	v_lshlrev_b64 v[28:29], v28, v[16:17]
	v_sub_u32_e32 v16, 29, v49
	v_and_b32_e32 v28, 7, v28
	v_cndmask_b32_e32 v16, v48, v16, vcc
	v_cndmask_b32_e32 v28, v36, v28, vcc
	v_lshlrev_b32_e32 v26, 24, v26
	v_lshlrev_b32_e32 v28, 20, v28
	v_and_b32_e32 v26, 0x80000000, v26
	v_lshl_add_u32 v16, v16, 23, v58
	v_or3_b32 v28, v26, v16, v28
.LBB4_3170:                             ;   in Loop: Header=BB4_2553 Depth=2
	s_or_b64 exec, exec, s[90:91]
.LBB4_3171:                             ;   in Loop: Header=BB4_2553 Depth=2
	s_or_b64 exec, exec, s[88:89]
.LBB4_3172:                             ;   in Loop: Header=BB4_2553 Depth=2
	s_or_b64 exec, exec, s[20:21]
	v_and_b32_e32 v16, 0xff, v41
	v_cmp_ne_u16_e32 vcc, 0, v16
	s_and_saveexec_b64 s[20:21], vcc
	s_cbranch_execz .LBB4_3178
; %bb.3173:                             ;   in Loop: Header=BB4_2553 Depth=2
	v_cmp_ne_u16_e32 vcc, s53, v16
	v_bfrev_b32_e32 v17, 1
	s_and_saveexec_b64 s[88:89], vcc
	s_cbranch_execz .LBB4_3177
; %bb.3174:                             ;   in Loop: Header=BB4_2553 Depth=2
	v_and_b32_e32 v26, 0x7f, v41
	v_cmp_ne_u32_e32 vcc, s51, v26
	v_mov_b32_e32 v17, 0x7f800001
	s_and_saveexec_b64 s[90:91], vcc
	s_cbranch_execz .LBB4_3176
; %bb.3175:                             ;   in Loop: Header=BB4_2553 Depth=2
	v_and_b32_e32 v29, 7, v16
	v_ffbh_u32_e32 v17, v29
	v_lshrrev_b32_e32 v36, 3, v26
	v_cmp_gt_u32_e32 vcc, 8, v26
	v_min_u32_e32 v26, 32, v17
	v_subrev_u32_e32 v17, 28, v26
	v_lshlrev_b64 v[16:17], v17, v[16:17]
	v_sub_u32_e32 v17, 29, v26
	v_and_b32_e32 v16, 7, v16
	v_cndmask_b32_e32 v17, v36, v17, vcc
	v_cndmask_b32_e32 v16, v29, v16, vcc
	v_lshlrev_b32_e32 v26, 24, v41
	v_lshlrev_b32_e32 v16, 20, v16
	v_and_b32_e32 v26, 0x80000000, v26
	v_lshl_add_u32 v17, v17, 23, v58
	v_or3_b32 v17, v26, v17, v16
.LBB4_3176:                             ;   in Loop: Header=BB4_2553 Depth=2
	s_or_b64 exec, exec, s[90:91]
.LBB4_3177:                             ;   in Loop: Header=BB4_2553 Depth=2
	s_or_b64 exec, exec, s[88:89]
.LBB4_3178:                             ;   in Loop: Header=BB4_2553 Depth=2
	s_or_b64 exec, exec, s[20:21]
	v_add_f32_e32 v16, v28, v17
	v_and_b32_e32 v36, 0x7f800000, v16
	v_cmp_ne_u64_e32 vcc, s[56:57], v[36:37]
                                        ; implicit-def: $vgpr26
	s_and_saveexec_b64 s[20:21], vcc
	s_xor_b64 s[88:89], exec, s[20:21]
	s_cbranch_execz .LBB4_3196
; %bb.3179:                             ;   in Loop: Header=BB4_2553 Depth=2
	v_and_b32_e32 v36, 0x7fffffff, v16
	v_cmp_gt_u64_e32 vcc, s[58:59], v[36:37]
	v_and_b32_sdwa v28, v16, s53 dst_sel:DWORD dst_unused:UNUSED_PAD src0_sel:BYTE_3 src1_sel:DWORD
                                        ; implicit-def: $vgpr26
	s_and_saveexec_b64 s[20:21], vcc
	s_xor_b64 s[90:91], exec, s[20:21]
	s_cbranch_execz .LBB4_3193
; %bb.3180:                             ;   in Loop: Header=BB4_2553 Depth=2
	v_cmp_ne_u32_e32 vcc, 0, v16
	v_mov_b32_e32 v26, 0
	s_and_saveexec_b64 s[92:93], vcc
	s_cbranch_execz .LBB4_3192
; %bb.3181:                             ;   in Loop: Header=BB4_2553 Depth=2
	v_bfe_u32 v26, v16, 23, 8
	v_and_b32_e32 v17, 0x7fffff, v16
	v_cmp_gt_u32_e64 s[20:21], s54, v26
	v_sub_u32_e32 v16, 0x79, v26
	v_cmp_eq_u32_e32 vcc, 0, v26
	v_cndmask_b32_e64 v16, 0, v16, s[20:21]
	v_cndmask_b32_e32 v29, v16, v31, vcc
	v_or_b32_e32 v36, 0x800000, v17
	v_add_u32_e32 v16, 20, v29
	v_cndmask_b32_e32 v36, v36, v17, vcc
	v_lshlrev_b64 v[16:17], v16, -1
	v_add_u32_e32 v48, 19, v29
	v_lshlrev_b64 v[48:49], v48, 1
	v_bfi_b32 v17, v17, 0, 0
	v_bfi_b32 v16, v16, 0, v36
	v_cmp_eq_u64_e64 s[20:21], v[16:17], v[48:49]
	v_lshrrev_b64 v[16:17], v29, v[36:37]
	v_mov_b32_e32 v51, v17
	v_mov_b32_e32 v50, v16
	s_and_saveexec_b64 s[94:95], s[20:21]
; %bb.3182:                             ;   in Loop: Header=BB4_2553 Depth=2
	v_bfe_u32 v17, v16, 20, 1
	v_add_co_u32_e64 v17, s[20:21], v16, v17
	v_add_co_u32_e64 v50, s[20:21], -1, v17
; %bb.3183:                             ;   in Loop: Header=BB4_2553 Depth=2
	s_or_b64 exec, exec, s[94:95]
	v_add_u32_e32 v17, 0xffffff81, v26
	v_cndmask_b32_e32 v17, v17, v62, vcc
	v_lshrrev_b32_e32 v26, 23, v16
	v_add3_u32 v51, v29, v17, v26
	v_add_u32_e32 v26, 6, v51
	v_and_b32_e32 v17, 0xfffff, v50
	v_add_u32_e32 v36, v17, v16
	v_cmp_ne_u32_e32 vcc, 0, v26
                                        ; implicit-def: $vgpr16_vgpr17
                                        ; implicit-def: $vgpr29
	s_and_saveexec_b64 s[20:21], vcc
	s_xor_b64 s[20:21], exec, s[20:21]
; %bb.3184:                             ;   in Loop: Header=BB4_2553 Depth=2
	v_cmp_lt_u64_e32 vcc, s[60:61], v[36:37]
	v_add_u32_e32 v16, 7, v51
	v_cndmask_b32_e32 v29, v26, v16, vcc
	v_cndmask_b32_e64 v16, 0, 1, vcc
	v_lshrrev_b64 v[16:17], v16, v[36:37]
; %bb.3185:                             ;   in Loop: Header=BB4_2553 Depth=2
	s_andn2_saveexec_b64 s[20:21], s[20:21]
; %bb.3186:                             ;   in Loop: Header=BB4_2553 Depth=2
	v_mov_b32_e32 v16, v36
	v_bfe_u32 v29, v36, 23, 1
	v_mov_b32_e32 v17, v37
; %bb.3187:                             ;   in Loop: Header=BB4_2553 Depth=2
	s_or_b64 exec, exec, s[20:21]
	v_lshrrev_b64 v[16:17], 20, v[16:17]
	v_cmp_gt_i32_e32 vcc, 16, v29
	v_cndmask_b32_e32 v17, 0, v17, vcc
	v_cndmask_b32_e32 v16, 7, v16, vcc
	v_cmp_ne_u64_e32 vcc, 0, v[16:17]
	v_cmp_ne_u32_e64 s[20:21], 0, v29
	s_or_b64 s[20:21], s[20:21], vcc
                                        ; implicit-def: $vgpr26
	s_and_saveexec_b64 s[94:95], s[20:21]
	s_xor_b64 s[20:21], exec, s[94:95]
; %bb.3188:                             ;   in Loop: Header=BB4_2553 Depth=2
	v_min_i32_e32 v17, 15, v29
	v_lshl_or_b32 v17, v17, 3, v28
	v_and_or_b32 v26, v16, 7, v17
                                        ; implicit-def: $vgpr28
; %bb.3189:                             ;   in Loop: Header=BB4_2553 Depth=2
	s_andn2_saveexec_b64 s[20:21], s[20:21]
; %bb.3190:                             ;   in Loop: Header=BB4_2553 Depth=2
	v_mov_b32_e32 v26, v28
; %bb.3191:                             ;   in Loop: Header=BB4_2553 Depth=2
	s_or_b64 exec, exec, s[20:21]
.LBB4_3192:                             ;   in Loop: Header=BB4_2553 Depth=2
	s_or_b64 exec, exec, s[92:93]
                                        ; implicit-def: $vgpr28
.LBB4_3193:                             ;   in Loop: Header=BB4_2553 Depth=2
	s_andn2_saveexec_b64 s[20:21], s[90:91]
; %bb.3194:                             ;   in Loop: Header=BB4_2553 Depth=2
	v_or_b32_e32 v26, 0x7e, v28
; %bb.3195:                             ;   in Loop: Header=BB4_2553 Depth=2
	s_or_b64 exec, exec, s[20:21]
                                        ; implicit-def: $vgpr16
.LBB4_3196:                             ;   in Loop: Header=BB4_2553 Depth=2
	s_andn2_saveexec_b64 s[20:21], s[88:89]
; %bb.3197:                             ;   in Loop: Header=BB4_2553 Depth=2
	v_or_b32_sdwa v26, v16, s51 dst_sel:DWORD dst_unused:UNUSED_PAD src0_sel:BYTE_3 src1_sel:DWORD
; %bb.3198:                             ;   in Loop: Header=BB4_2553 Depth=2
	s_or_b64 exec, exec, s[20:21]
	v_and_b32_e32 v16, 0xff, v25
	v_cmp_ne_u16_e32 vcc, 0, v16
	v_mov_b32_e32 v17, 0
	v_mov_b32_e32 v28, 0
	s_and_saveexec_b64 s[20:21], vcc
	s_cbranch_execz .LBB4_3204
; %bb.3199:                             ;   in Loop: Header=BB4_2553 Depth=2
	v_cmp_ne_u16_e32 vcc, s53, v16
	v_bfrev_b32_e32 v28, 1
	s_and_saveexec_b64 s[88:89], vcc
	s_cbranch_execz .LBB4_3203
; %bb.3200:                             ;   in Loop: Header=BB4_2553 Depth=2
	v_and_b32_e32 v29, 0x7f, v25
	v_cmp_ne_u32_e32 vcc, s51, v29
	v_mov_b32_e32 v28, 0x7f800001
	s_and_saveexec_b64 s[90:91], vcc
	s_cbranch_execz .LBB4_3202
; %bb.3201:                             ;   in Loop: Header=BB4_2553 Depth=2
	v_and_b32_e32 v36, 7, v16
	v_ffbh_u32_e32 v28, v36
	v_min_u32_e32 v49, 32, v28
	v_subrev_u32_e32 v28, 28, v49
	v_lshrrev_b32_e32 v48, 3, v29
	v_cmp_gt_u32_e32 vcc, 8, v29
	v_lshlrev_b64 v[28:29], v28, v[16:17]
	v_sub_u32_e32 v16, 29, v49
	v_and_b32_e32 v28, 7, v28
	v_cndmask_b32_e32 v16, v48, v16, vcc
	v_cndmask_b32_e32 v28, v36, v28, vcc
	v_lshlrev_b32_e32 v25, 24, v25
	v_lshlrev_b32_e32 v28, 20, v28
	v_and_b32_e32 v25, 0x80000000, v25
	v_lshl_add_u32 v16, v16, 23, v58
	v_or3_b32 v28, v25, v16, v28
.LBB4_3202:                             ;   in Loop: Header=BB4_2553 Depth=2
	s_or_b64 exec, exec, s[90:91]
.LBB4_3203:                             ;   in Loop: Header=BB4_2553 Depth=2
	s_or_b64 exec, exec, s[88:89]
.LBB4_3204:                             ;   in Loop: Header=BB4_2553 Depth=2
	s_or_b64 exec, exec, s[20:21]
	v_and_b32_e32 v16, 0xff, v40
	v_cmp_ne_u16_e32 vcc, 0, v16
	s_and_saveexec_b64 s[20:21], vcc
	s_cbranch_execz .LBB4_3210
; %bb.3205:                             ;   in Loop: Header=BB4_2553 Depth=2
	v_cmp_ne_u16_e32 vcc, s53, v16
	v_bfrev_b32_e32 v17, 1
	s_and_saveexec_b64 s[88:89], vcc
	s_cbranch_execz .LBB4_3209
; %bb.3206:                             ;   in Loop: Header=BB4_2553 Depth=2
	v_and_b32_e32 v25, 0x7f, v40
	v_cmp_ne_u32_e32 vcc, s51, v25
	v_mov_b32_e32 v17, 0x7f800001
	s_and_saveexec_b64 s[90:91], vcc
	s_cbranch_execz .LBB4_3208
; %bb.3207:                             ;   in Loop: Header=BB4_2553 Depth=2
	v_and_b32_e32 v29, 7, v16
	v_ffbh_u32_e32 v17, v29
	v_lshrrev_b32_e32 v36, 3, v25
	v_cmp_gt_u32_e32 vcc, 8, v25
	v_min_u32_e32 v25, 32, v17
	v_subrev_u32_e32 v17, 28, v25
	v_lshlrev_b64 v[16:17], v17, v[16:17]
	v_sub_u32_e32 v17, 29, v25
	v_and_b32_e32 v16, 7, v16
	v_cndmask_b32_e32 v17, v36, v17, vcc
	v_cndmask_b32_e32 v16, v29, v16, vcc
	v_lshlrev_b32_e32 v25, 24, v40
	v_lshlrev_b32_e32 v16, 20, v16
	v_and_b32_e32 v25, 0x80000000, v25
	v_lshl_add_u32 v17, v17, 23, v58
	v_or3_b32 v17, v25, v17, v16
.LBB4_3208:                             ;   in Loop: Header=BB4_2553 Depth=2
	s_or_b64 exec, exec, s[90:91]
.LBB4_3209:                             ;   in Loop: Header=BB4_2553 Depth=2
	s_or_b64 exec, exec, s[88:89]
.LBB4_3210:                             ;   in Loop: Header=BB4_2553 Depth=2
	s_or_b64 exec, exec, s[20:21]
	v_add_f32_e32 v16, v28, v17
	v_and_b32_e32 v36, 0x7f800000, v16
	v_cmp_ne_u64_e32 vcc, s[56:57], v[36:37]
                                        ; implicit-def: $vgpr25
	s_and_saveexec_b64 s[20:21], vcc
	s_xor_b64 s[88:89], exec, s[20:21]
	s_cbranch_execz .LBB4_3228
; %bb.3211:                             ;   in Loop: Header=BB4_2553 Depth=2
	v_and_b32_e32 v36, 0x7fffffff, v16
	v_cmp_gt_u64_e32 vcc, s[58:59], v[36:37]
	v_and_b32_sdwa v28, v16, s53 dst_sel:DWORD dst_unused:UNUSED_PAD src0_sel:BYTE_3 src1_sel:DWORD
                                        ; implicit-def: $vgpr25
	s_and_saveexec_b64 s[20:21], vcc
	s_xor_b64 s[90:91], exec, s[20:21]
	s_cbranch_execz .LBB4_3225
; %bb.3212:                             ;   in Loop: Header=BB4_2553 Depth=2
	v_cmp_ne_u32_e32 vcc, 0, v16
	v_mov_b32_e32 v25, 0
	s_and_saveexec_b64 s[92:93], vcc
	s_cbranch_execz .LBB4_3224
; %bb.3213:                             ;   in Loop: Header=BB4_2553 Depth=2
	v_bfe_u32 v25, v16, 23, 8
	v_and_b32_e32 v17, 0x7fffff, v16
	v_cmp_gt_u32_e64 s[20:21], s54, v25
	v_sub_u32_e32 v16, 0x79, v25
	v_cmp_eq_u32_e32 vcc, 0, v25
	v_cndmask_b32_e64 v16, 0, v16, s[20:21]
	v_cndmask_b32_e32 v29, v16, v31, vcc
	v_or_b32_e32 v36, 0x800000, v17
	v_add_u32_e32 v16, 20, v29
	v_cndmask_b32_e32 v36, v36, v17, vcc
	v_lshlrev_b64 v[16:17], v16, -1
	v_add_u32_e32 v48, 19, v29
	v_lshlrev_b64 v[48:49], v48, 1
	v_bfi_b32 v17, v17, 0, 0
	v_bfi_b32 v16, v16, 0, v36
	v_cmp_eq_u64_e64 s[20:21], v[16:17], v[48:49]
	v_lshrrev_b64 v[16:17], v29, v[36:37]
	v_mov_b32_e32 v51, v17
	v_mov_b32_e32 v50, v16
	s_and_saveexec_b64 s[94:95], s[20:21]
; %bb.3214:                             ;   in Loop: Header=BB4_2553 Depth=2
	v_bfe_u32 v17, v16, 20, 1
	v_add_co_u32_e64 v17, s[20:21], v16, v17
	v_add_co_u32_e64 v50, s[20:21], -1, v17
; %bb.3215:                             ;   in Loop: Header=BB4_2553 Depth=2
	s_or_b64 exec, exec, s[94:95]
	v_add_u32_e32 v17, 0xffffff81, v25
	v_cndmask_b32_e32 v17, v17, v62, vcc
	v_lshrrev_b32_e32 v25, 23, v16
	v_add3_u32 v51, v29, v17, v25
	v_add_u32_e32 v25, 6, v51
	v_and_b32_e32 v17, 0xfffff, v50
	v_add_u32_e32 v36, v17, v16
	v_cmp_ne_u32_e32 vcc, 0, v25
                                        ; implicit-def: $vgpr16_vgpr17
                                        ; implicit-def: $vgpr29
	s_and_saveexec_b64 s[20:21], vcc
	s_xor_b64 s[20:21], exec, s[20:21]
; %bb.3216:                             ;   in Loop: Header=BB4_2553 Depth=2
	v_cmp_lt_u64_e32 vcc, s[60:61], v[36:37]
	v_add_u32_e32 v16, 7, v51
	v_cndmask_b32_e32 v29, v25, v16, vcc
	v_cndmask_b32_e64 v16, 0, 1, vcc
	v_lshrrev_b64 v[16:17], v16, v[36:37]
; %bb.3217:                             ;   in Loop: Header=BB4_2553 Depth=2
	s_andn2_saveexec_b64 s[20:21], s[20:21]
; %bb.3218:                             ;   in Loop: Header=BB4_2553 Depth=2
	v_mov_b32_e32 v16, v36
	v_bfe_u32 v29, v36, 23, 1
	v_mov_b32_e32 v17, v37
; %bb.3219:                             ;   in Loop: Header=BB4_2553 Depth=2
	s_or_b64 exec, exec, s[20:21]
	v_lshrrev_b64 v[16:17], 20, v[16:17]
	v_cmp_gt_i32_e32 vcc, 16, v29
	v_cndmask_b32_e32 v17, 0, v17, vcc
	v_cndmask_b32_e32 v16, 7, v16, vcc
	v_cmp_ne_u64_e32 vcc, 0, v[16:17]
	v_cmp_ne_u32_e64 s[20:21], 0, v29
	s_or_b64 s[20:21], s[20:21], vcc
                                        ; implicit-def: $vgpr25
	s_and_saveexec_b64 s[94:95], s[20:21]
	s_xor_b64 s[20:21], exec, s[94:95]
; %bb.3220:                             ;   in Loop: Header=BB4_2553 Depth=2
	v_min_i32_e32 v17, 15, v29
	v_lshl_or_b32 v17, v17, 3, v28
	v_and_or_b32 v25, v16, 7, v17
                                        ; implicit-def: $vgpr28
; %bb.3221:                             ;   in Loop: Header=BB4_2553 Depth=2
	s_andn2_saveexec_b64 s[20:21], s[20:21]
; %bb.3222:                             ;   in Loop: Header=BB4_2553 Depth=2
	v_mov_b32_e32 v25, v28
; %bb.3223:                             ;   in Loop: Header=BB4_2553 Depth=2
	s_or_b64 exec, exec, s[20:21]
.LBB4_3224:                             ;   in Loop: Header=BB4_2553 Depth=2
	s_or_b64 exec, exec, s[92:93]
                                        ; implicit-def: $vgpr28
.LBB4_3225:                             ;   in Loop: Header=BB4_2553 Depth=2
	s_andn2_saveexec_b64 s[20:21], s[90:91]
; %bb.3226:                             ;   in Loop: Header=BB4_2553 Depth=2
	v_or_b32_e32 v25, 0x7e, v28
; %bb.3227:                             ;   in Loop: Header=BB4_2553 Depth=2
	s_or_b64 exec, exec, s[20:21]
                                        ; implicit-def: $vgpr16
.LBB4_3228:                             ;   in Loop: Header=BB4_2553 Depth=2
	s_andn2_saveexec_b64 s[20:21], s[88:89]
; %bb.3229:                             ;   in Loop: Header=BB4_2553 Depth=2
	v_or_b32_sdwa v25, v16, s51 dst_sel:DWORD dst_unused:UNUSED_PAD src0_sel:BYTE_3 src1_sel:DWORD
; %bb.3230:                             ;   in Loop: Header=BB4_2553 Depth=2
	s_or_b64 exec, exec, s[20:21]
	v_and_b32_e32 v16, 0xff, v24
	v_cmp_ne_u16_e32 vcc, 0, v16
	v_mov_b32_e32 v17, 0
	v_mov_b32_e32 v28, 0
	s_and_saveexec_b64 s[20:21], vcc
	s_cbranch_execz .LBB4_3236
; %bb.3231:                             ;   in Loop: Header=BB4_2553 Depth=2
	v_cmp_ne_u16_e32 vcc, s53, v16
	v_bfrev_b32_e32 v28, 1
	s_and_saveexec_b64 s[88:89], vcc
	s_cbranch_execz .LBB4_3235
; %bb.3232:                             ;   in Loop: Header=BB4_2553 Depth=2
	v_and_b32_e32 v29, 0x7f, v24
	v_cmp_ne_u32_e32 vcc, s51, v29
	v_mov_b32_e32 v28, 0x7f800001
	s_and_saveexec_b64 s[90:91], vcc
	s_cbranch_execz .LBB4_3234
; %bb.3233:                             ;   in Loop: Header=BB4_2553 Depth=2
	v_and_b32_e32 v36, 7, v16
	v_ffbh_u32_e32 v28, v36
	v_min_u32_e32 v49, 32, v28
	v_subrev_u32_e32 v28, 28, v49
	v_lshrrev_b32_e32 v48, 3, v29
	v_cmp_gt_u32_e32 vcc, 8, v29
	v_lshlrev_b64 v[28:29], v28, v[16:17]
	v_sub_u32_e32 v16, 29, v49
	v_and_b32_e32 v28, 7, v28
	v_cndmask_b32_e32 v16, v48, v16, vcc
	v_cndmask_b32_e32 v28, v36, v28, vcc
	v_lshlrev_b32_e32 v24, 24, v24
	v_lshlrev_b32_e32 v28, 20, v28
	v_and_b32_e32 v24, 0x80000000, v24
	v_lshl_add_u32 v16, v16, 23, v58
	v_or3_b32 v28, v24, v16, v28
.LBB4_3234:                             ;   in Loop: Header=BB4_2553 Depth=2
	s_or_b64 exec, exec, s[90:91]
.LBB4_3235:                             ;   in Loop: Header=BB4_2553 Depth=2
	s_or_b64 exec, exec, s[88:89]
.LBB4_3236:                             ;   in Loop: Header=BB4_2553 Depth=2
	s_or_b64 exec, exec, s[20:21]
	v_and_b32_e32 v16, 0xff, v55
	v_cmp_ne_u16_e32 vcc, 0, v16
	s_and_saveexec_b64 s[20:21], vcc
	s_cbranch_execz .LBB4_3242
; %bb.3237:                             ;   in Loop: Header=BB4_2553 Depth=2
	v_cmp_ne_u16_e32 vcc, s53, v16
	v_bfrev_b32_e32 v17, 1
	s_and_saveexec_b64 s[88:89], vcc
	s_cbranch_execz .LBB4_3241
; %bb.3238:                             ;   in Loop: Header=BB4_2553 Depth=2
	v_and_b32_e32 v24, 0x7f, v55
	v_cmp_ne_u32_e32 vcc, s51, v24
	v_mov_b32_e32 v17, 0x7f800001
	s_and_saveexec_b64 s[90:91], vcc
	s_cbranch_execz .LBB4_3240
; %bb.3239:                             ;   in Loop: Header=BB4_2553 Depth=2
	v_and_b32_e32 v29, 7, v16
	v_ffbh_u32_e32 v17, v29
	v_lshrrev_b32_e32 v36, 3, v24
	v_cmp_gt_u32_e32 vcc, 8, v24
	v_min_u32_e32 v24, 32, v17
	v_subrev_u32_e32 v17, 28, v24
	v_lshlrev_b64 v[16:17], v17, v[16:17]
	v_sub_u32_e32 v17, 29, v24
	v_and_b32_e32 v16, 7, v16
	v_cndmask_b32_e32 v17, v36, v17, vcc
	v_cndmask_b32_e32 v16, v29, v16, vcc
	v_lshlrev_b32_e32 v24, 24, v55
	v_lshlrev_b32_e32 v16, 20, v16
	v_and_b32_e32 v24, 0x80000000, v24
	v_lshl_add_u32 v17, v17, 23, v58
	v_or3_b32 v17, v24, v17, v16
.LBB4_3240:                             ;   in Loop: Header=BB4_2553 Depth=2
	s_or_b64 exec, exec, s[90:91]
.LBB4_3241:                             ;   in Loop: Header=BB4_2553 Depth=2
	s_or_b64 exec, exec, s[88:89]
.LBB4_3242:                             ;   in Loop: Header=BB4_2553 Depth=2
	s_or_b64 exec, exec, s[20:21]
	v_add_f32_e32 v16, v28, v17
	v_and_b32_e32 v36, 0x7f800000, v16
	v_cmp_ne_u64_e32 vcc, s[56:57], v[36:37]
                                        ; implicit-def: $vgpr24
	s_and_saveexec_b64 s[20:21], vcc
	s_xor_b64 s[88:89], exec, s[20:21]
	s_cbranch_execz .LBB4_3260
; %bb.3243:                             ;   in Loop: Header=BB4_2553 Depth=2
	v_and_b32_e32 v36, 0x7fffffff, v16
	v_cmp_gt_u64_e32 vcc, s[58:59], v[36:37]
	v_and_b32_sdwa v28, v16, s53 dst_sel:DWORD dst_unused:UNUSED_PAD src0_sel:BYTE_3 src1_sel:DWORD
                                        ; implicit-def: $vgpr24
	s_and_saveexec_b64 s[20:21], vcc
	s_xor_b64 s[90:91], exec, s[20:21]
	s_cbranch_execz .LBB4_3257
; %bb.3244:                             ;   in Loop: Header=BB4_2553 Depth=2
	v_cmp_ne_u32_e32 vcc, 0, v16
	v_mov_b32_e32 v24, 0
	s_and_saveexec_b64 s[92:93], vcc
	s_cbranch_execz .LBB4_3256
; %bb.3245:                             ;   in Loop: Header=BB4_2553 Depth=2
	v_bfe_u32 v24, v16, 23, 8
	v_and_b32_e32 v17, 0x7fffff, v16
	v_cmp_gt_u32_e64 s[20:21], s54, v24
	v_sub_u32_e32 v16, 0x79, v24
	v_cmp_eq_u32_e32 vcc, 0, v24
	v_cndmask_b32_e64 v16, 0, v16, s[20:21]
	v_cndmask_b32_e32 v29, v16, v31, vcc
	v_or_b32_e32 v36, 0x800000, v17
	v_add_u32_e32 v16, 20, v29
	v_cndmask_b32_e32 v36, v36, v17, vcc
	v_lshlrev_b64 v[16:17], v16, -1
	v_add_u32_e32 v48, 19, v29
	v_lshlrev_b64 v[48:49], v48, 1
	v_bfi_b32 v17, v17, 0, 0
	v_bfi_b32 v16, v16, 0, v36
	v_cmp_eq_u64_e64 s[20:21], v[16:17], v[48:49]
	v_lshrrev_b64 v[16:17], v29, v[36:37]
	v_mov_b32_e32 v51, v17
	v_mov_b32_e32 v50, v16
	s_and_saveexec_b64 s[94:95], s[20:21]
; %bb.3246:                             ;   in Loop: Header=BB4_2553 Depth=2
	v_bfe_u32 v17, v16, 20, 1
	v_add_co_u32_e64 v17, s[20:21], v16, v17
	v_add_co_u32_e64 v50, s[20:21], -1, v17
; %bb.3247:                             ;   in Loop: Header=BB4_2553 Depth=2
	s_or_b64 exec, exec, s[94:95]
	v_add_u32_e32 v17, 0xffffff81, v24
	v_cndmask_b32_e32 v17, v17, v62, vcc
	v_lshrrev_b32_e32 v24, 23, v16
	v_add3_u32 v51, v29, v17, v24
	v_add_u32_e32 v24, 6, v51
	v_and_b32_e32 v17, 0xfffff, v50
	v_add_u32_e32 v36, v17, v16
	v_cmp_ne_u32_e32 vcc, 0, v24
                                        ; implicit-def: $vgpr16_vgpr17
                                        ; implicit-def: $vgpr29
	s_and_saveexec_b64 s[20:21], vcc
	s_xor_b64 s[20:21], exec, s[20:21]
; %bb.3248:                             ;   in Loop: Header=BB4_2553 Depth=2
	v_cmp_lt_u64_e32 vcc, s[60:61], v[36:37]
	v_add_u32_e32 v16, 7, v51
	v_cndmask_b32_e32 v29, v24, v16, vcc
	v_cndmask_b32_e64 v16, 0, 1, vcc
	v_lshrrev_b64 v[16:17], v16, v[36:37]
; %bb.3249:                             ;   in Loop: Header=BB4_2553 Depth=2
	s_andn2_saveexec_b64 s[20:21], s[20:21]
; %bb.3250:                             ;   in Loop: Header=BB4_2553 Depth=2
	v_mov_b32_e32 v16, v36
	v_bfe_u32 v29, v36, 23, 1
	v_mov_b32_e32 v17, v37
; %bb.3251:                             ;   in Loop: Header=BB4_2553 Depth=2
	s_or_b64 exec, exec, s[20:21]
	v_lshrrev_b64 v[16:17], 20, v[16:17]
	v_cmp_gt_i32_e32 vcc, 16, v29
	v_cndmask_b32_e32 v17, 0, v17, vcc
	v_cndmask_b32_e32 v16, 7, v16, vcc
	v_cmp_ne_u64_e32 vcc, 0, v[16:17]
	v_cmp_ne_u32_e64 s[20:21], 0, v29
	s_or_b64 s[20:21], s[20:21], vcc
                                        ; implicit-def: $vgpr24
	s_and_saveexec_b64 s[94:95], s[20:21]
	s_xor_b64 s[20:21], exec, s[94:95]
; %bb.3252:                             ;   in Loop: Header=BB4_2553 Depth=2
	v_min_i32_e32 v17, 15, v29
	v_lshl_or_b32 v17, v17, 3, v28
	v_and_or_b32 v24, v16, 7, v17
                                        ; implicit-def: $vgpr28
; %bb.3253:                             ;   in Loop: Header=BB4_2553 Depth=2
	s_andn2_saveexec_b64 s[20:21], s[20:21]
; %bb.3254:                             ;   in Loop: Header=BB4_2553 Depth=2
	v_mov_b32_e32 v24, v28
; %bb.3255:                             ;   in Loop: Header=BB4_2553 Depth=2
	s_or_b64 exec, exec, s[20:21]
.LBB4_3256:                             ;   in Loop: Header=BB4_2553 Depth=2
	s_or_b64 exec, exec, s[92:93]
                                        ; implicit-def: $vgpr28
.LBB4_3257:                             ;   in Loop: Header=BB4_2553 Depth=2
	s_andn2_saveexec_b64 s[20:21], s[90:91]
; %bb.3258:                             ;   in Loop: Header=BB4_2553 Depth=2
	v_or_b32_e32 v24, 0x7e, v28
; %bb.3259:                             ;   in Loop: Header=BB4_2553 Depth=2
	s_or_b64 exec, exec, s[20:21]
                                        ; implicit-def: $vgpr16
.LBB4_3260:                             ;   in Loop: Header=BB4_2553 Depth=2
	s_andn2_saveexec_b64 s[20:21], s[88:89]
; %bb.3261:                             ;   in Loop: Header=BB4_2553 Depth=2
	v_or_b32_sdwa v24, v16, s51 dst_sel:DWORD dst_unused:UNUSED_PAD src0_sel:BYTE_3 src1_sel:DWORD
; %bb.3262:                             ;   in Loop: Header=BB4_2553 Depth=2
	s_or_b64 exec, exec, s[20:21]
	v_and_b32_e32 v16, 0xff, v21
	v_cmp_ne_u16_e32 vcc, 0, v16
	v_mov_b32_e32 v17, 0
	v_mov_b32_e32 v28, 0
	s_and_saveexec_b64 s[20:21], vcc
	s_cbranch_execz .LBB4_3268
; %bb.3263:                             ;   in Loop: Header=BB4_2553 Depth=2
	v_cmp_ne_u16_e32 vcc, s53, v16
	v_bfrev_b32_e32 v28, 1
	s_and_saveexec_b64 s[88:89], vcc
	s_cbranch_execz .LBB4_3267
; %bb.3264:                             ;   in Loop: Header=BB4_2553 Depth=2
	v_and_b32_e32 v29, 0x7f, v21
	v_cmp_ne_u32_e32 vcc, s51, v29
	v_mov_b32_e32 v28, 0x7f800001
	s_and_saveexec_b64 s[90:91], vcc
	s_cbranch_execz .LBB4_3266
; %bb.3265:                             ;   in Loop: Header=BB4_2553 Depth=2
	v_and_b32_e32 v36, 7, v16
	v_ffbh_u32_e32 v28, v36
	v_min_u32_e32 v49, 32, v28
	v_subrev_u32_e32 v28, 28, v49
	v_lshrrev_b32_e32 v48, 3, v29
	v_cmp_gt_u32_e32 vcc, 8, v29
	v_lshlrev_b64 v[28:29], v28, v[16:17]
	v_sub_u32_e32 v16, 29, v49
	v_and_b32_e32 v28, 7, v28
	v_cndmask_b32_e32 v16, v48, v16, vcc
	v_cndmask_b32_e32 v28, v36, v28, vcc
	v_lshlrev_b32_e32 v21, 24, v21
	v_lshlrev_b32_e32 v28, 20, v28
	v_and_b32_e32 v21, 0x80000000, v21
	v_lshl_add_u32 v16, v16, 23, v58
	v_or3_b32 v28, v21, v16, v28
.LBB4_3266:                             ;   in Loop: Header=BB4_2553 Depth=2
	s_or_b64 exec, exec, s[90:91]
.LBB4_3267:                             ;   in Loop: Header=BB4_2553 Depth=2
	s_or_b64 exec, exec, s[88:89]
.LBB4_3268:                             ;   in Loop: Header=BB4_2553 Depth=2
	s_or_b64 exec, exec, s[20:21]
	v_and_b32_e32 v16, 0xff, v54
	v_cmp_ne_u16_e32 vcc, 0, v16
	s_and_saveexec_b64 s[20:21], vcc
	s_cbranch_execz .LBB4_3274
; %bb.3269:                             ;   in Loop: Header=BB4_2553 Depth=2
	v_cmp_ne_u16_e32 vcc, s53, v16
	v_bfrev_b32_e32 v17, 1
	s_and_saveexec_b64 s[88:89], vcc
	s_cbranch_execz .LBB4_3273
; %bb.3270:                             ;   in Loop: Header=BB4_2553 Depth=2
	v_and_b32_e32 v21, 0x7f, v54
	v_cmp_ne_u32_e32 vcc, s51, v21
	v_mov_b32_e32 v17, 0x7f800001
	s_and_saveexec_b64 s[90:91], vcc
	s_cbranch_execz .LBB4_3272
; %bb.3271:                             ;   in Loop: Header=BB4_2553 Depth=2
	v_and_b32_e32 v29, 7, v16
	v_ffbh_u32_e32 v17, v29
	v_lshrrev_b32_e32 v36, 3, v21
	v_cmp_gt_u32_e32 vcc, 8, v21
	v_min_u32_e32 v21, 32, v17
	v_subrev_u32_e32 v17, 28, v21
	v_lshlrev_b64 v[16:17], v17, v[16:17]
	v_sub_u32_e32 v17, 29, v21
	v_and_b32_e32 v16, 7, v16
	v_cndmask_b32_e32 v17, v36, v17, vcc
	v_cndmask_b32_e32 v16, v29, v16, vcc
	v_lshlrev_b32_e32 v21, 24, v54
	v_lshlrev_b32_e32 v16, 20, v16
	v_and_b32_e32 v21, 0x80000000, v21
	v_lshl_add_u32 v17, v17, 23, v58
	v_or3_b32 v17, v21, v17, v16
.LBB4_3272:                             ;   in Loop: Header=BB4_2553 Depth=2
	s_or_b64 exec, exec, s[90:91]
.LBB4_3273:                             ;   in Loop: Header=BB4_2553 Depth=2
	s_or_b64 exec, exec, s[88:89]
.LBB4_3274:                             ;   in Loop: Header=BB4_2553 Depth=2
	s_or_b64 exec, exec, s[20:21]
	v_add_f32_e32 v16, v28, v17
	v_and_b32_e32 v36, 0x7f800000, v16
	v_cmp_ne_u64_e32 vcc, s[56:57], v[36:37]
                                        ; implicit-def: $vgpr21
	s_and_saveexec_b64 s[20:21], vcc
	s_xor_b64 s[88:89], exec, s[20:21]
	s_cbranch_execz .LBB4_3292
; %bb.3275:                             ;   in Loop: Header=BB4_2553 Depth=2
	v_and_b32_e32 v36, 0x7fffffff, v16
	v_cmp_gt_u64_e32 vcc, s[58:59], v[36:37]
	v_and_b32_sdwa v28, v16, s53 dst_sel:DWORD dst_unused:UNUSED_PAD src0_sel:BYTE_3 src1_sel:DWORD
                                        ; implicit-def: $vgpr21
	s_and_saveexec_b64 s[20:21], vcc
	s_xor_b64 s[90:91], exec, s[20:21]
	s_cbranch_execz .LBB4_3289
; %bb.3276:                             ;   in Loop: Header=BB4_2553 Depth=2
	v_cmp_ne_u32_e32 vcc, 0, v16
	v_mov_b32_e32 v21, 0
	s_and_saveexec_b64 s[92:93], vcc
	s_cbranch_execz .LBB4_3288
; %bb.3277:                             ;   in Loop: Header=BB4_2553 Depth=2
	v_bfe_u32 v21, v16, 23, 8
	v_and_b32_e32 v17, 0x7fffff, v16
	v_cmp_gt_u32_e64 s[20:21], s54, v21
	v_sub_u32_e32 v16, 0x79, v21
	v_cmp_eq_u32_e32 vcc, 0, v21
	v_cndmask_b32_e64 v16, 0, v16, s[20:21]
	v_cndmask_b32_e32 v29, v16, v31, vcc
	v_or_b32_e32 v36, 0x800000, v17
	v_add_u32_e32 v16, 20, v29
	v_cndmask_b32_e32 v36, v36, v17, vcc
	v_lshlrev_b64 v[16:17], v16, -1
	v_add_u32_e32 v48, 19, v29
	v_lshlrev_b64 v[48:49], v48, 1
	v_bfi_b32 v17, v17, 0, 0
	v_bfi_b32 v16, v16, 0, v36
	v_cmp_eq_u64_e64 s[20:21], v[16:17], v[48:49]
	v_lshrrev_b64 v[16:17], v29, v[36:37]
	v_mov_b32_e32 v51, v17
	v_mov_b32_e32 v50, v16
	s_and_saveexec_b64 s[94:95], s[20:21]
; %bb.3278:                             ;   in Loop: Header=BB4_2553 Depth=2
	v_bfe_u32 v17, v16, 20, 1
	v_add_co_u32_e64 v17, s[20:21], v16, v17
	v_add_co_u32_e64 v50, s[20:21], -1, v17
; %bb.3279:                             ;   in Loop: Header=BB4_2553 Depth=2
	s_or_b64 exec, exec, s[94:95]
	v_add_u32_e32 v17, 0xffffff81, v21
	v_cndmask_b32_e32 v17, v17, v62, vcc
	v_lshrrev_b32_e32 v21, 23, v16
	v_add3_u32 v51, v29, v17, v21
	v_add_u32_e32 v21, 6, v51
	v_and_b32_e32 v17, 0xfffff, v50
	v_add_u32_e32 v36, v17, v16
	v_cmp_ne_u32_e32 vcc, 0, v21
                                        ; implicit-def: $vgpr16_vgpr17
                                        ; implicit-def: $vgpr29
	s_and_saveexec_b64 s[20:21], vcc
	s_xor_b64 s[20:21], exec, s[20:21]
; %bb.3280:                             ;   in Loop: Header=BB4_2553 Depth=2
	v_cmp_lt_u64_e32 vcc, s[60:61], v[36:37]
	v_add_u32_e32 v16, 7, v51
	v_cndmask_b32_e32 v29, v21, v16, vcc
	v_cndmask_b32_e64 v16, 0, 1, vcc
	v_lshrrev_b64 v[16:17], v16, v[36:37]
; %bb.3281:                             ;   in Loop: Header=BB4_2553 Depth=2
	s_andn2_saveexec_b64 s[20:21], s[20:21]
; %bb.3282:                             ;   in Loop: Header=BB4_2553 Depth=2
	v_mov_b32_e32 v16, v36
	v_bfe_u32 v29, v36, 23, 1
	v_mov_b32_e32 v17, v37
; %bb.3283:                             ;   in Loop: Header=BB4_2553 Depth=2
	s_or_b64 exec, exec, s[20:21]
	v_lshrrev_b64 v[16:17], 20, v[16:17]
	v_cmp_gt_i32_e32 vcc, 16, v29
	v_cndmask_b32_e32 v17, 0, v17, vcc
	v_cndmask_b32_e32 v16, 7, v16, vcc
	v_cmp_ne_u64_e32 vcc, 0, v[16:17]
	v_cmp_ne_u32_e64 s[20:21], 0, v29
	s_or_b64 s[20:21], s[20:21], vcc
                                        ; implicit-def: $vgpr21
	s_and_saveexec_b64 s[94:95], s[20:21]
	s_xor_b64 s[20:21], exec, s[94:95]
; %bb.3284:                             ;   in Loop: Header=BB4_2553 Depth=2
	v_min_i32_e32 v17, 15, v29
	v_lshl_or_b32 v17, v17, 3, v28
	v_and_or_b32 v21, v16, 7, v17
                                        ; implicit-def: $vgpr28
; %bb.3285:                             ;   in Loop: Header=BB4_2553 Depth=2
	s_andn2_saveexec_b64 s[20:21], s[20:21]
; %bb.3286:                             ;   in Loop: Header=BB4_2553 Depth=2
	v_mov_b32_e32 v21, v28
; %bb.3287:                             ;   in Loop: Header=BB4_2553 Depth=2
	s_or_b64 exec, exec, s[20:21]
.LBB4_3288:                             ;   in Loop: Header=BB4_2553 Depth=2
	s_or_b64 exec, exec, s[92:93]
                                        ; implicit-def: $vgpr28
.LBB4_3289:                             ;   in Loop: Header=BB4_2553 Depth=2
	s_andn2_saveexec_b64 s[20:21], s[90:91]
; %bb.3290:                             ;   in Loop: Header=BB4_2553 Depth=2
	v_or_b32_e32 v21, 0x7e, v28
; %bb.3291:                             ;   in Loop: Header=BB4_2553 Depth=2
	s_or_b64 exec, exec, s[20:21]
                                        ; implicit-def: $vgpr16
.LBB4_3292:                             ;   in Loop: Header=BB4_2553 Depth=2
	s_andn2_saveexec_b64 s[20:21], s[88:89]
; %bb.3293:                             ;   in Loop: Header=BB4_2553 Depth=2
	v_or_b32_sdwa v21, v16, s51 dst_sel:DWORD dst_unused:UNUSED_PAD src0_sel:BYTE_3 src1_sel:DWORD
; %bb.3294:                             ;   in Loop: Header=BB4_2553 Depth=2
	s_or_b64 exec, exec, s[20:21]
	v_and_b32_e32 v16, 0xff, v20
	v_cmp_ne_u16_e32 vcc, 0, v16
	v_mov_b32_e32 v17, 0
	v_mov_b32_e32 v28, 0
	s_and_saveexec_b64 s[20:21], vcc
	s_cbranch_execz .LBB4_3300
; %bb.3295:                             ;   in Loop: Header=BB4_2553 Depth=2
	v_cmp_ne_u16_e32 vcc, s53, v16
	v_bfrev_b32_e32 v28, 1
	s_and_saveexec_b64 s[88:89], vcc
	s_cbranch_execz .LBB4_3299
; %bb.3296:                             ;   in Loop: Header=BB4_2553 Depth=2
	v_and_b32_e32 v29, 0x7f, v20
	v_cmp_ne_u32_e32 vcc, s51, v29
	v_mov_b32_e32 v28, 0x7f800001
	s_and_saveexec_b64 s[90:91], vcc
	s_cbranch_execz .LBB4_3298
; %bb.3297:                             ;   in Loop: Header=BB4_2553 Depth=2
	v_and_b32_e32 v36, 7, v16
	v_ffbh_u32_e32 v28, v36
	v_min_u32_e32 v49, 32, v28
	v_subrev_u32_e32 v28, 28, v49
	v_lshrrev_b32_e32 v48, 3, v29
	v_cmp_gt_u32_e32 vcc, 8, v29
	v_lshlrev_b64 v[28:29], v28, v[16:17]
	v_sub_u32_e32 v16, 29, v49
	v_and_b32_e32 v28, 7, v28
	v_cndmask_b32_e32 v16, v48, v16, vcc
	v_cndmask_b32_e32 v28, v36, v28, vcc
	v_lshlrev_b32_e32 v20, 24, v20
	v_lshlrev_b32_e32 v28, 20, v28
	v_and_b32_e32 v20, 0x80000000, v20
	v_lshl_add_u32 v16, v16, 23, v58
	v_or3_b32 v28, v20, v16, v28
.LBB4_3298:                             ;   in Loop: Header=BB4_2553 Depth=2
	s_or_b64 exec, exec, s[90:91]
.LBB4_3299:                             ;   in Loop: Header=BB4_2553 Depth=2
	s_or_b64 exec, exec, s[88:89]
.LBB4_3300:                             ;   in Loop: Header=BB4_2553 Depth=2
	s_or_b64 exec, exec, s[20:21]
	v_and_b32_e32 v16, 0xff, v53
	v_cmp_ne_u16_e32 vcc, 0, v16
	s_and_saveexec_b64 s[20:21], vcc
	s_cbranch_execz .LBB4_3306
; %bb.3301:                             ;   in Loop: Header=BB4_2553 Depth=2
	v_cmp_ne_u16_e32 vcc, s53, v16
	v_bfrev_b32_e32 v17, 1
	s_and_saveexec_b64 s[88:89], vcc
	s_cbranch_execz .LBB4_3305
; %bb.3302:                             ;   in Loop: Header=BB4_2553 Depth=2
	v_and_b32_e32 v20, 0x7f, v53
	v_cmp_ne_u32_e32 vcc, s51, v20
	v_mov_b32_e32 v17, 0x7f800001
	s_and_saveexec_b64 s[90:91], vcc
	s_cbranch_execz .LBB4_3304
; %bb.3303:                             ;   in Loop: Header=BB4_2553 Depth=2
	v_and_b32_e32 v29, 7, v16
	v_ffbh_u32_e32 v17, v29
	v_lshrrev_b32_e32 v36, 3, v20
	v_cmp_gt_u32_e32 vcc, 8, v20
	v_min_u32_e32 v20, 32, v17
	v_subrev_u32_e32 v17, 28, v20
	v_lshlrev_b64 v[16:17], v17, v[16:17]
	v_sub_u32_e32 v17, 29, v20
	v_and_b32_e32 v16, 7, v16
	v_cndmask_b32_e32 v17, v36, v17, vcc
	v_cndmask_b32_e32 v16, v29, v16, vcc
	v_lshlrev_b32_e32 v20, 24, v53
	v_lshlrev_b32_e32 v16, 20, v16
	v_and_b32_e32 v20, 0x80000000, v20
	v_lshl_add_u32 v17, v17, 23, v58
	v_or3_b32 v17, v20, v17, v16
.LBB4_3304:                             ;   in Loop: Header=BB4_2553 Depth=2
	s_or_b64 exec, exec, s[90:91]
.LBB4_3305:                             ;   in Loop: Header=BB4_2553 Depth=2
	s_or_b64 exec, exec, s[88:89]
.LBB4_3306:                             ;   in Loop: Header=BB4_2553 Depth=2
	s_or_b64 exec, exec, s[20:21]
	v_add_f32_e32 v16, v28, v17
	v_and_b32_e32 v36, 0x7f800000, v16
	v_cmp_ne_u64_e32 vcc, s[56:57], v[36:37]
                                        ; implicit-def: $vgpr20
	s_and_saveexec_b64 s[20:21], vcc
	s_xor_b64 s[88:89], exec, s[20:21]
	s_cbranch_execz .LBB4_3324
; %bb.3307:                             ;   in Loop: Header=BB4_2553 Depth=2
	v_and_b32_e32 v36, 0x7fffffff, v16
	v_cmp_gt_u64_e32 vcc, s[58:59], v[36:37]
	v_and_b32_sdwa v28, v16, s53 dst_sel:DWORD dst_unused:UNUSED_PAD src0_sel:BYTE_3 src1_sel:DWORD
                                        ; implicit-def: $vgpr20
	s_and_saveexec_b64 s[20:21], vcc
	s_xor_b64 s[90:91], exec, s[20:21]
	s_cbranch_execz .LBB4_3321
; %bb.3308:                             ;   in Loop: Header=BB4_2553 Depth=2
	v_cmp_ne_u32_e32 vcc, 0, v16
	v_mov_b32_e32 v20, 0
	s_and_saveexec_b64 s[92:93], vcc
	s_cbranch_execz .LBB4_3320
; %bb.3309:                             ;   in Loop: Header=BB4_2553 Depth=2
	v_bfe_u32 v20, v16, 23, 8
	v_and_b32_e32 v17, 0x7fffff, v16
	v_cmp_gt_u32_e64 s[20:21], s54, v20
	v_sub_u32_e32 v16, 0x79, v20
	v_cmp_eq_u32_e32 vcc, 0, v20
	v_cndmask_b32_e64 v16, 0, v16, s[20:21]
	v_cndmask_b32_e32 v29, v16, v31, vcc
	v_or_b32_e32 v36, 0x800000, v17
	v_add_u32_e32 v16, 20, v29
	v_cndmask_b32_e32 v36, v36, v17, vcc
	v_lshlrev_b64 v[16:17], v16, -1
	v_add_u32_e32 v48, 19, v29
	v_lshlrev_b64 v[48:49], v48, 1
	v_bfi_b32 v17, v17, 0, 0
	v_bfi_b32 v16, v16, 0, v36
	v_cmp_eq_u64_e64 s[20:21], v[16:17], v[48:49]
	v_lshrrev_b64 v[16:17], v29, v[36:37]
	v_mov_b32_e32 v51, v17
	v_mov_b32_e32 v50, v16
	s_and_saveexec_b64 s[94:95], s[20:21]
; %bb.3310:                             ;   in Loop: Header=BB4_2553 Depth=2
	v_bfe_u32 v17, v16, 20, 1
	v_add_co_u32_e64 v17, s[20:21], v16, v17
	v_add_co_u32_e64 v50, s[20:21], -1, v17
; %bb.3311:                             ;   in Loop: Header=BB4_2553 Depth=2
	s_or_b64 exec, exec, s[94:95]
	v_add_u32_e32 v17, 0xffffff81, v20
	v_cndmask_b32_e32 v17, v17, v62, vcc
	v_lshrrev_b32_e32 v20, 23, v16
	v_add3_u32 v51, v29, v17, v20
	v_add_u32_e32 v20, 6, v51
	v_and_b32_e32 v17, 0xfffff, v50
	v_add_u32_e32 v36, v17, v16
	v_cmp_ne_u32_e32 vcc, 0, v20
                                        ; implicit-def: $vgpr16_vgpr17
                                        ; implicit-def: $vgpr29
	s_and_saveexec_b64 s[20:21], vcc
	s_xor_b64 s[20:21], exec, s[20:21]
; %bb.3312:                             ;   in Loop: Header=BB4_2553 Depth=2
	v_cmp_lt_u64_e32 vcc, s[60:61], v[36:37]
	v_add_u32_e32 v16, 7, v51
	v_cndmask_b32_e32 v29, v20, v16, vcc
	v_cndmask_b32_e64 v16, 0, 1, vcc
	v_lshrrev_b64 v[16:17], v16, v[36:37]
; %bb.3313:                             ;   in Loop: Header=BB4_2553 Depth=2
	s_andn2_saveexec_b64 s[20:21], s[20:21]
; %bb.3314:                             ;   in Loop: Header=BB4_2553 Depth=2
	v_mov_b32_e32 v16, v36
	v_bfe_u32 v29, v36, 23, 1
	v_mov_b32_e32 v17, v37
; %bb.3315:                             ;   in Loop: Header=BB4_2553 Depth=2
	s_or_b64 exec, exec, s[20:21]
	v_lshrrev_b64 v[16:17], 20, v[16:17]
	v_cmp_gt_i32_e32 vcc, 16, v29
	v_cndmask_b32_e32 v17, 0, v17, vcc
	v_cndmask_b32_e32 v16, 7, v16, vcc
	v_cmp_ne_u64_e32 vcc, 0, v[16:17]
	v_cmp_ne_u32_e64 s[20:21], 0, v29
	s_or_b64 s[20:21], s[20:21], vcc
                                        ; implicit-def: $vgpr20
	s_and_saveexec_b64 s[94:95], s[20:21]
	s_xor_b64 s[20:21], exec, s[94:95]
; %bb.3316:                             ;   in Loop: Header=BB4_2553 Depth=2
	v_min_i32_e32 v17, 15, v29
	v_lshl_or_b32 v17, v17, 3, v28
	v_and_or_b32 v20, v16, 7, v17
                                        ; implicit-def: $vgpr28
; %bb.3317:                             ;   in Loop: Header=BB4_2553 Depth=2
	s_andn2_saveexec_b64 s[20:21], s[20:21]
; %bb.3318:                             ;   in Loop: Header=BB4_2553 Depth=2
	v_mov_b32_e32 v20, v28
; %bb.3319:                             ;   in Loop: Header=BB4_2553 Depth=2
	s_or_b64 exec, exec, s[20:21]
.LBB4_3320:                             ;   in Loop: Header=BB4_2553 Depth=2
	s_or_b64 exec, exec, s[92:93]
                                        ; implicit-def: $vgpr28
.LBB4_3321:                             ;   in Loop: Header=BB4_2553 Depth=2
	s_andn2_saveexec_b64 s[20:21], s[90:91]
; %bb.3322:                             ;   in Loop: Header=BB4_2553 Depth=2
	v_or_b32_e32 v20, 0x7e, v28
; %bb.3323:                             ;   in Loop: Header=BB4_2553 Depth=2
	s_or_b64 exec, exec, s[20:21]
                                        ; implicit-def: $vgpr16
.LBB4_3324:                             ;   in Loop: Header=BB4_2553 Depth=2
	s_andn2_saveexec_b64 s[20:21], s[88:89]
; %bb.3325:                             ;   in Loop: Header=BB4_2553 Depth=2
	v_or_b32_sdwa v20, v16, s51 dst_sel:DWORD dst_unused:UNUSED_PAD src0_sel:BYTE_3 src1_sel:DWORD
; %bb.3326:                             ;   in Loop: Header=BB4_2553 Depth=2
	s_or_b64 exec, exec, s[20:21]
	v_and_b32_e32 v16, 0xff, v19
	v_cmp_ne_u16_e32 vcc, 0, v16
	v_mov_b32_e32 v17, 0
	v_mov_b32_e32 v28, 0
	s_and_saveexec_b64 s[20:21], vcc
	s_cbranch_execz .LBB4_3332
; %bb.3327:                             ;   in Loop: Header=BB4_2553 Depth=2
	v_cmp_ne_u16_e32 vcc, s53, v16
	v_bfrev_b32_e32 v28, 1
	s_and_saveexec_b64 s[88:89], vcc
	s_cbranch_execz .LBB4_3331
; %bb.3328:                             ;   in Loop: Header=BB4_2553 Depth=2
	v_and_b32_e32 v29, 0x7f, v19
	v_cmp_ne_u32_e32 vcc, s51, v29
	v_mov_b32_e32 v28, 0x7f800001
	s_and_saveexec_b64 s[90:91], vcc
	s_cbranch_execz .LBB4_3330
; %bb.3329:                             ;   in Loop: Header=BB4_2553 Depth=2
	v_and_b32_e32 v36, 7, v16
	v_ffbh_u32_e32 v28, v36
	v_min_u32_e32 v49, 32, v28
	v_subrev_u32_e32 v28, 28, v49
	v_lshrrev_b32_e32 v48, 3, v29
	v_cmp_gt_u32_e32 vcc, 8, v29
	v_lshlrev_b64 v[28:29], v28, v[16:17]
	v_sub_u32_e32 v16, 29, v49
	v_and_b32_e32 v28, 7, v28
	v_cndmask_b32_e32 v16, v48, v16, vcc
	v_cndmask_b32_e32 v28, v36, v28, vcc
	v_lshlrev_b32_e32 v19, 24, v19
	v_lshlrev_b32_e32 v28, 20, v28
	v_and_b32_e32 v19, 0x80000000, v19
	v_lshl_add_u32 v16, v16, 23, v58
	v_or3_b32 v28, v19, v16, v28
.LBB4_3330:                             ;   in Loop: Header=BB4_2553 Depth=2
	s_or_b64 exec, exec, s[90:91]
.LBB4_3331:                             ;   in Loop: Header=BB4_2553 Depth=2
	s_or_b64 exec, exec, s[88:89]
.LBB4_3332:                             ;   in Loop: Header=BB4_2553 Depth=2
	s_or_b64 exec, exec, s[20:21]
	v_and_b32_e32 v16, 0xff, v52
	v_cmp_ne_u16_e32 vcc, 0, v16
	s_and_saveexec_b64 s[20:21], vcc
	s_cbranch_execz .LBB4_3338
; %bb.3333:                             ;   in Loop: Header=BB4_2553 Depth=2
	v_cmp_ne_u16_e32 vcc, s53, v16
	v_bfrev_b32_e32 v17, 1
	s_and_saveexec_b64 s[88:89], vcc
	s_cbranch_execz .LBB4_3337
; %bb.3334:                             ;   in Loop: Header=BB4_2553 Depth=2
	v_and_b32_e32 v19, 0x7f, v52
	v_cmp_ne_u32_e32 vcc, s51, v19
	v_mov_b32_e32 v17, 0x7f800001
	s_and_saveexec_b64 s[90:91], vcc
	s_cbranch_execz .LBB4_3336
; %bb.3335:                             ;   in Loop: Header=BB4_2553 Depth=2
	v_and_b32_e32 v29, 7, v16
	v_ffbh_u32_e32 v17, v29
	v_lshrrev_b32_e32 v36, 3, v19
	v_cmp_gt_u32_e32 vcc, 8, v19
	v_min_u32_e32 v19, 32, v17
	v_subrev_u32_e32 v17, 28, v19
	v_lshlrev_b64 v[16:17], v17, v[16:17]
	v_sub_u32_e32 v17, 29, v19
	v_and_b32_e32 v16, 7, v16
	v_cndmask_b32_e32 v17, v36, v17, vcc
	v_cndmask_b32_e32 v16, v29, v16, vcc
	v_lshlrev_b32_e32 v19, 24, v52
	v_lshlrev_b32_e32 v16, 20, v16
	v_and_b32_e32 v19, 0x80000000, v19
	v_lshl_add_u32 v17, v17, 23, v58
	v_or3_b32 v17, v19, v17, v16
.LBB4_3336:                             ;   in Loop: Header=BB4_2553 Depth=2
	s_or_b64 exec, exec, s[90:91]
.LBB4_3337:                             ;   in Loop: Header=BB4_2553 Depth=2
	s_or_b64 exec, exec, s[88:89]
.LBB4_3338:                             ;   in Loop: Header=BB4_2553 Depth=2
	s_or_b64 exec, exec, s[20:21]
	v_add_f32_e32 v16, v28, v17
	v_and_b32_e32 v36, 0x7f800000, v16
	v_cmp_ne_u64_e32 vcc, s[56:57], v[36:37]
                                        ; implicit-def: $vgpr19
	s_and_saveexec_b64 s[20:21], vcc
	s_xor_b64 s[88:89], exec, s[20:21]
	s_cbranch_execz .LBB4_3356
; %bb.3339:                             ;   in Loop: Header=BB4_2553 Depth=2
	v_and_b32_e32 v36, 0x7fffffff, v16
	v_cmp_gt_u64_e32 vcc, s[58:59], v[36:37]
	v_and_b32_sdwa v28, v16, s53 dst_sel:DWORD dst_unused:UNUSED_PAD src0_sel:BYTE_3 src1_sel:DWORD
                                        ; implicit-def: $vgpr19
	s_and_saveexec_b64 s[20:21], vcc
	s_xor_b64 s[90:91], exec, s[20:21]
	s_cbranch_execz .LBB4_3353
; %bb.3340:                             ;   in Loop: Header=BB4_2553 Depth=2
	v_cmp_ne_u32_e32 vcc, 0, v16
	v_mov_b32_e32 v19, 0
	s_and_saveexec_b64 s[92:93], vcc
	s_cbranch_execz .LBB4_3352
; %bb.3341:                             ;   in Loop: Header=BB4_2553 Depth=2
	v_bfe_u32 v19, v16, 23, 8
	v_and_b32_e32 v17, 0x7fffff, v16
	v_cmp_gt_u32_e64 s[20:21], s54, v19
	v_sub_u32_e32 v16, 0x79, v19
	v_cmp_eq_u32_e32 vcc, 0, v19
	v_cndmask_b32_e64 v16, 0, v16, s[20:21]
	v_cndmask_b32_e32 v29, v16, v31, vcc
	v_or_b32_e32 v36, 0x800000, v17
	v_add_u32_e32 v16, 20, v29
	v_cndmask_b32_e32 v36, v36, v17, vcc
	v_lshlrev_b64 v[16:17], v16, -1
	v_add_u32_e32 v48, 19, v29
	v_lshlrev_b64 v[48:49], v48, 1
	v_bfi_b32 v17, v17, 0, 0
	v_bfi_b32 v16, v16, 0, v36
	v_cmp_eq_u64_e64 s[20:21], v[16:17], v[48:49]
	v_lshrrev_b64 v[16:17], v29, v[36:37]
	v_mov_b32_e32 v51, v17
	v_mov_b32_e32 v50, v16
	s_and_saveexec_b64 s[94:95], s[20:21]
; %bb.3342:                             ;   in Loop: Header=BB4_2553 Depth=2
	v_bfe_u32 v17, v16, 20, 1
	v_add_co_u32_e64 v17, s[20:21], v16, v17
	v_add_co_u32_e64 v50, s[20:21], -1, v17
; %bb.3343:                             ;   in Loop: Header=BB4_2553 Depth=2
	s_or_b64 exec, exec, s[94:95]
	v_add_u32_e32 v17, 0xffffff81, v19
	v_cndmask_b32_e32 v17, v17, v62, vcc
	v_lshrrev_b32_e32 v19, 23, v16
	v_add3_u32 v51, v29, v17, v19
	v_add_u32_e32 v19, 6, v51
	v_and_b32_e32 v17, 0xfffff, v50
	v_add_u32_e32 v36, v17, v16
	v_cmp_ne_u32_e32 vcc, 0, v19
                                        ; implicit-def: $vgpr16_vgpr17
                                        ; implicit-def: $vgpr29
	s_and_saveexec_b64 s[20:21], vcc
	s_xor_b64 s[20:21], exec, s[20:21]
; %bb.3344:                             ;   in Loop: Header=BB4_2553 Depth=2
	v_cmp_lt_u64_e32 vcc, s[60:61], v[36:37]
	v_add_u32_e32 v16, 7, v51
	v_cndmask_b32_e32 v29, v19, v16, vcc
	v_cndmask_b32_e64 v16, 0, 1, vcc
	v_lshrrev_b64 v[16:17], v16, v[36:37]
; %bb.3345:                             ;   in Loop: Header=BB4_2553 Depth=2
	s_andn2_saveexec_b64 s[20:21], s[20:21]
; %bb.3346:                             ;   in Loop: Header=BB4_2553 Depth=2
	v_mov_b32_e32 v16, v36
	v_bfe_u32 v29, v36, 23, 1
	v_mov_b32_e32 v17, v37
; %bb.3347:                             ;   in Loop: Header=BB4_2553 Depth=2
	s_or_b64 exec, exec, s[20:21]
	v_lshrrev_b64 v[16:17], 20, v[16:17]
	v_cmp_gt_i32_e32 vcc, 16, v29
	v_cndmask_b32_e32 v17, 0, v17, vcc
	v_cndmask_b32_e32 v16, 7, v16, vcc
	v_cmp_ne_u64_e32 vcc, 0, v[16:17]
	v_cmp_ne_u32_e64 s[20:21], 0, v29
	s_or_b64 s[20:21], s[20:21], vcc
                                        ; implicit-def: $vgpr19
	s_and_saveexec_b64 s[94:95], s[20:21]
	s_xor_b64 s[20:21], exec, s[94:95]
; %bb.3348:                             ;   in Loop: Header=BB4_2553 Depth=2
	v_min_i32_e32 v17, 15, v29
	v_lshl_or_b32 v17, v17, 3, v28
	v_and_or_b32 v19, v16, 7, v17
                                        ; implicit-def: $vgpr28
; %bb.3349:                             ;   in Loop: Header=BB4_2553 Depth=2
	s_andn2_saveexec_b64 s[20:21], s[20:21]
; %bb.3350:                             ;   in Loop: Header=BB4_2553 Depth=2
	v_mov_b32_e32 v19, v28
; %bb.3351:                             ;   in Loop: Header=BB4_2553 Depth=2
	s_or_b64 exec, exec, s[20:21]
.LBB4_3352:                             ;   in Loop: Header=BB4_2553 Depth=2
	s_or_b64 exec, exec, s[92:93]
                                        ; implicit-def: $vgpr28
.LBB4_3353:                             ;   in Loop: Header=BB4_2553 Depth=2
	s_andn2_saveexec_b64 s[20:21], s[90:91]
; %bb.3354:                             ;   in Loop: Header=BB4_2553 Depth=2
	v_or_b32_e32 v19, 0x7e, v28
; %bb.3355:                             ;   in Loop: Header=BB4_2553 Depth=2
	s_or_b64 exec, exec, s[20:21]
                                        ; implicit-def: $vgpr16
.LBB4_3356:                             ;   in Loop: Header=BB4_2553 Depth=2
	s_andn2_saveexec_b64 s[20:21], s[88:89]
; %bb.3357:                             ;   in Loop: Header=BB4_2553 Depth=2
	v_or_b32_sdwa v19, v16, s51 dst_sel:DWORD dst_unused:UNUSED_PAD src0_sel:BYTE_3 src1_sel:DWORD
; %bb.3358:                             ;   in Loop: Header=BB4_2553 Depth=2
	s_or_b64 exec, exec, s[20:21]
	v_and_b32_e32 v16, 0xff, v9
	v_cmp_ne_u16_e32 vcc, 0, v16
	v_mov_b32_e32 v17, 0
	v_mov_b32_e32 v28, 0
	s_and_saveexec_b64 s[20:21], vcc
	s_cbranch_execz .LBB4_3364
; %bb.3359:                             ;   in Loop: Header=BB4_2553 Depth=2
	v_cmp_ne_u16_e32 vcc, s53, v16
	v_bfrev_b32_e32 v28, 1
	s_and_saveexec_b64 s[88:89], vcc
	s_cbranch_execz .LBB4_3363
; %bb.3360:                             ;   in Loop: Header=BB4_2553 Depth=2
	v_and_b32_e32 v29, 0x7f, v9
	v_cmp_ne_u32_e32 vcc, s51, v29
	v_mov_b32_e32 v28, 0x7f800001
	s_and_saveexec_b64 s[90:91], vcc
	s_cbranch_execz .LBB4_3362
; %bb.3361:                             ;   in Loop: Header=BB4_2553 Depth=2
	v_and_b32_e32 v36, 7, v16
	v_ffbh_u32_e32 v28, v36
	v_min_u32_e32 v49, 32, v28
	v_subrev_u32_e32 v28, 28, v49
	v_lshrrev_b32_e32 v48, 3, v29
	v_cmp_gt_u32_e32 vcc, 8, v29
	v_lshlrev_b64 v[28:29], v28, v[16:17]
	v_sub_u32_e32 v16, 29, v49
	v_and_b32_e32 v28, 7, v28
	v_cndmask_b32_e32 v16, v48, v16, vcc
	v_cndmask_b32_e32 v28, v36, v28, vcc
	v_lshlrev_b32_e32 v9, 24, v9
	v_lshlrev_b32_e32 v28, 20, v28
	v_and_b32_e32 v9, 0x80000000, v9
	v_lshl_add_u32 v16, v16, 23, v58
	v_or3_b32 v28, v9, v16, v28
.LBB4_3362:                             ;   in Loop: Header=BB4_2553 Depth=2
	s_or_b64 exec, exec, s[90:91]
.LBB4_3363:                             ;   in Loop: Header=BB4_2553 Depth=2
	s_or_b64 exec, exec, s[88:89]
.LBB4_3364:                             ;   in Loop: Header=BB4_2553 Depth=2
	s_or_b64 exec, exec, s[20:21]
	v_and_b32_e32 v16, 0xff, v35
	v_cmp_ne_u16_e32 vcc, 0, v16
	s_and_saveexec_b64 s[20:21], vcc
	s_cbranch_execz .LBB4_3370
; %bb.3365:                             ;   in Loop: Header=BB4_2553 Depth=2
	v_cmp_ne_u16_e32 vcc, s53, v16
	v_bfrev_b32_e32 v17, 1
	s_and_saveexec_b64 s[88:89], vcc
	s_cbranch_execz .LBB4_3369
; %bb.3366:                             ;   in Loop: Header=BB4_2553 Depth=2
	v_and_b32_e32 v9, 0x7f, v35
	v_cmp_ne_u32_e32 vcc, s51, v9
	v_mov_b32_e32 v17, 0x7f800001
	s_and_saveexec_b64 s[90:91], vcc
	s_cbranch_execz .LBB4_3368
; %bb.3367:                             ;   in Loop: Header=BB4_2553 Depth=2
	v_and_b32_e32 v29, 7, v16
	v_lshrrev_b32_e32 v36, 3, v9
	v_cmp_gt_u32_e32 vcc, 8, v9
	v_ffbh_u32_e32 v9, v29
	v_min_u32_e32 v9, 32, v9
	v_subrev_u32_e32 v17, 28, v9
	v_lshlrev_b64 v[16:17], v17, v[16:17]
	v_sub_u32_e32 v9, 29, v9
	v_and_b32_e32 v16, 7, v16
	v_cndmask_b32_e32 v9, v36, v9, vcc
	v_cndmask_b32_e32 v16, v29, v16, vcc
	v_lshlrev_b32_e32 v17, 24, v35
	v_lshlrev_b32_e32 v16, 20, v16
	v_and_b32_e32 v17, 0x80000000, v17
	v_lshl_add_u32 v9, v9, 23, v58
	v_or3_b32 v17, v17, v9, v16
.LBB4_3368:                             ;   in Loop: Header=BB4_2553 Depth=2
	s_or_b64 exec, exec, s[90:91]
.LBB4_3369:                             ;   in Loop: Header=BB4_2553 Depth=2
	s_or_b64 exec, exec, s[88:89]
.LBB4_3370:                             ;   in Loop: Header=BB4_2553 Depth=2
	s_or_b64 exec, exec, s[20:21]
	v_add_f32_e32 v16, v28, v17
	v_and_b32_e32 v36, 0x7f800000, v16
	v_cmp_ne_u64_e32 vcc, s[56:57], v[36:37]
                                        ; implicit-def: $vgpr9
	s_and_saveexec_b64 s[20:21], vcc
	s_xor_b64 s[88:89], exec, s[20:21]
	s_cbranch_execz .LBB4_3388
; %bb.3371:                             ;   in Loop: Header=BB4_2553 Depth=2
	v_and_b32_e32 v36, 0x7fffffff, v16
	v_cmp_gt_u64_e32 vcc, s[58:59], v[36:37]
	v_and_b32_sdwa v28, v16, s53 dst_sel:DWORD dst_unused:UNUSED_PAD src0_sel:BYTE_3 src1_sel:DWORD
                                        ; implicit-def: $vgpr9
	s_and_saveexec_b64 s[20:21], vcc
	s_xor_b64 s[90:91], exec, s[20:21]
	s_cbranch_execz .LBB4_3385
; %bb.3372:                             ;   in Loop: Header=BB4_2553 Depth=2
	v_cmp_ne_u32_e32 vcc, 0, v16
	v_mov_b32_e32 v9, 0
	s_and_saveexec_b64 s[92:93], vcc
	s_cbranch_execz .LBB4_3384
; %bb.3373:                             ;   in Loop: Header=BB4_2553 Depth=2
	v_bfe_u32 v9, v16, 23, 8
	v_and_b32_e32 v17, 0x7fffff, v16
	v_cmp_gt_u32_e64 s[20:21], s54, v9
	v_sub_u32_e32 v16, 0x79, v9
	v_cmp_eq_u32_e32 vcc, 0, v9
	v_cndmask_b32_e64 v16, 0, v16, s[20:21]
	v_cndmask_b32_e32 v29, v16, v31, vcc
	v_or_b32_e32 v35, 0x800000, v17
	v_add_u32_e32 v16, 20, v29
	v_cndmask_b32_e32 v36, v35, v17, vcc
	v_lshlrev_b64 v[16:17], v16, -1
	v_add_u32_e32 v35, 19, v29
	v_lshlrev_b64 v[48:49], v35, 1
	v_bfi_b32 v17, v17, 0, 0
	v_bfi_b32 v16, v16, 0, v36
	v_cmp_eq_u64_e64 s[20:21], v[16:17], v[48:49]
	v_lshrrev_b64 v[16:17], v29, v[36:37]
	v_mov_b32_e32 v51, v17
	v_mov_b32_e32 v50, v16
	s_and_saveexec_b64 s[94:95], s[20:21]
; %bb.3374:                             ;   in Loop: Header=BB4_2553 Depth=2
	v_bfe_u32 v17, v16, 20, 1
	v_add_co_u32_e64 v17, s[20:21], v16, v17
	v_add_co_u32_e64 v50, s[20:21], -1, v17
; %bb.3375:                             ;   in Loop: Header=BB4_2553 Depth=2
	s_or_b64 exec, exec, s[94:95]
	v_add_u32_e32 v9, 0xffffff81, v9
	v_cndmask_b32_e32 v9, v9, v62, vcc
	v_lshrrev_b32_e32 v17, 23, v16
	v_add3_u32 v35, v29, v9, v17
	v_add_u32_e32 v9, 6, v35
	v_and_b32_e32 v17, 0xfffff, v50
	v_add_u32_e32 v36, v17, v16
	v_cmp_ne_u32_e32 vcc, 0, v9
                                        ; implicit-def: $vgpr16_vgpr17
                                        ; implicit-def: $vgpr29
	s_and_saveexec_b64 s[20:21], vcc
	s_xor_b64 s[20:21], exec, s[20:21]
; %bb.3376:                             ;   in Loop: Header=BB4_2553 Depth=2
	v_cmp_lt_u64_e32 vcc, s[60:61], v[36:37]
	v_add_u32_e32 v16, 7, v35
	v_cndmask_b32_e32 v29, v9, v16, vcc
	v_cndmask_b32_e64 v9, 0, 1, vcc
	v_lshrrev_b64 v[16:17], v9, v[36:37]
; %bb.3377:                             ;   in Loop: Header=BB4_2553 Depth=2
	s_andn2_saveexec_b64 s[20:21], s[20:21]
; %bb.3378:                             ;   in Loop: Header=BB4_2553 Depth=2
	v_mov_b32_e32 v16, v36
	v_bfe_u32 v29, v36, 23, 1
	v_mov_b32_e32 v17, v37
; %bb.3379:                             ;   in Loop: Header=BB4_2553 Depth=2
	s_or_b64 exec, exec, s[20:21]
	v_lshrrev_b64 v[16:17], 20, v[16:17]
	v_cmp_gt_i32_e32 vcc, 16, v29
	v_cndmask_b32_e32 v17, 0, v17, vcc
	v_cndmask_b32_e32 v16, 7, v16, vcc
	v_cmp_ne_u64_e32 vcc, 0, v[16:17]
	v_cmp_ne_u32_e64 s[20:21], 0, v29
	s_or_b64 s[20:21], s[20:21], vcc
                                        ; implicit-def: $vgpr9
	s_and_saveexec_b64 s[94:95], s[20:21]
	s_xor_b64 s[20:21], exec, s[94:95]
; %bb.3380:                             ;   in Loop: Header=BB4_2553 Depth=2
	v_min_i32_e32 v9, 15, v29
	v_lshl_or_b32 v9, v9, 3, v28
	v_and_or_b32 v9, v16, 7, v9
                                        ; implicit-def: $vgpr28
; %bb.3381:                             ;   in Loop: Header=BB4_2553 Depth=2
	s_andn2_saveexec_b64 s[20:21], s[20:21]
; %bb.3382:                             ;   in Loop: Header=BB4_2553 Depth=2
	v_mov_b32_e32 v9, v28
; %bb.3383:                             ;   in Loop: Header=BB4_2553 Depth=2
	s_or_b64 exec, exec, s[20:21]
.LBB4_3384:                             ;   in Loop: Header=BB4_2553 Depth=2
	s_or_b64 exec, exec, s[92:93]
                                        ; implicit-def: $vgpr28
.LBB4_3385:                             ;   in Loop: Header=BB4_2553 Depth=2
	s_andn2_saveexec_b64 s[20:21], s[90:91]
; %bb.3386:                             ;   in Loop: Header=BB4_2553 Depth=2
	v_or_b32_e32 v9, 0x7e, v28
; %bb.3387:                             ;   in Loop: Header=BB4_2553 Depth=2
	s_or_b64 exec, exec, s[20:21]
                                        ; implicit-def: $vgpr16
.LBB4_3388:                             ;   in Loop: Header=BB4_2553 Depth=2
	s_andn2_saveexec_b64 s[20:21], s[88:89]
; %bb.3389:                             ;   in Loop: Header=BB4_2553 Depth=2
	v_or_b32_sdwa v9, v16, s51 dst_sel:DWORD dst_unused:UNUSED_PAD src0_sel:BYTE_3 src1_sel:DWORD
; %bb.3390:                             ;   in Loop: Header=BB4_2553 Depth=2
	s_or_b64 exec, exec, s[20:21]
	v_and_b32_e32 v16, 0xff, v8
	v_cmp_ne_u16_e32 vcc, 0, v16
	v_mov_b32_e32 v17, 0
	v_mov_b32_e32 v28, 0
	s_and_saveexec_b64 s[20:21], vcc
	s_cbranch_execz .LBB4_3396
; %bb.3391:                             ;   in Loop: Header=BB4_2553 Depth=2
	v_cmp_ne_u16_e32 vcc, s53, v16
	v_bfrev_b32_e32 v28, 1
	s_and_saveexec_b64 s[88:89], vcc
	s_cbranch_execz .LBB4_3395
; %bb.3392:                             ;   in Loop: Header=BB4_2553 Depth=2
	v_and_b32_e32 v29, 0x7f, v8
	v_cmp_ne_u32_e32 vcc, s51, v29
	v_mov_b32_e32 v28, 0x7f800001
	s_and_saveexec_b64 s[90:91], vcc
	s_cbranch_execz .LBB4_3394
; %bb.3393:                             ;   in Loop: Header=BB4_2553 Depth=2
	v_and_b32_e32 v35, 7, v16
	v_ffbh_u32_e32 v28, v35
	v_min_u32_e32 v48, 32, v28
	v_subrev_u32_e32 v28, 28, v48
	v_lshrrev_b32_e32 v36, 3, v29
	v_cmp_gt_u32_e32 vcc, 8, v29
	v_lshlrev_b64 v[28:29], v28, v[16:17]
	v_sub_u32_e32 v16, 29, v48
	v_and_b32_e32 v28, 7, v28
	v_cndmask_b32_e32 v16, v36, v16, vcc
	v_cndmask_b32_e32 v28, v35, v28, vcc
	v_lshlrev_b32_e32 v8, 24, v8
	v_lshlrev_b32_e32 v28, 20, v28
	v_and_b32_e32 v8, 0x80000000, v8
	v_lshl_add_u32 v16, v16, 23, v58
	v_or3_b32 v28, v8, v16, v28
.LBB4_3394:                             ;   in Loop: Header=BB4_2553 Depth=2
	s_or_b64 exec, exec, s[90:91]
.LBB4_3395:                             ;   in Loop: Header=BB4_2553 Depth=2
	s_or_b64 exec, exec, s[88:89]
.LBB4_3396:                             ;   in Loop: Header=BB4_2553 Depth=2
	s_or_b64 exec, exec, s[20:21]
	v_and_b32_e32 v16, 0xff, v33
	v_cmp_ne_u16_e32 vcc, 0, v16
	s_and_saveexec_b64 s[20:21], vcc
	s_cbranch_execz .LBB4_3402
; %bb.3397:                             ;   in Loop: Header=BB4_2553 Depth=2
	v_cmp_ne_u16_e32 vcc, s53, v16
	v_bfrev_b32_e32 v17, 1
	s_and_saveexec_b64 s[88:89], vcc
	s_cbranch_execz .LBB4_3401
; %bb.3398:                             ;   in Loop: Header=BB4_2553 Depth=2
	v_and_b32_e32 v8, 0x7f, v33
	v_cmp_ne_u32_e32 vcc, s51, v8
	v_mov_b32_e32 v17, 0x7f800001
	s_and_saveexec_b64 s[90:91], vcc
	s_cbranch_execz .LBB4_3400
; %bb.3399:                             ;   in Loop: Header=BB4_2553 Depth=2
	v_and_b32_e32 v29, 7, v16
	v_lshrrev_b32_e32 v35, 3, v8
	v_cmp_gt_u32_e32 vcc, 8, v8
	v_ffbh_u32_e32 v8, v29
	v_min_u32_e32 v8, 32, v8
	v_subrev_u32_e32 v17, 28, v8
	v_lshlrev_b64 v[16:17], v17, v[16:17]
	v_sub_u32_e32 v8, 29, v8
	v_and_b32_e32 v16, 7, v16
	v_cndmask_b32_e32 v8, v35, v8, vcc
	v_cndmask_b32_e32 v16, v29, v16, vcc
	v_lshlrev_b32_e32 v17, 24, v33
	v_lshlrev_b32_e32 v16, 20, v16
	v_and_b32_e32 v17, 0x80000000, v17
	v_lshl_add_u32 v8, v8, 23, v58
	v_or3_b32 v17, v17, v8, v16
.LBB4_3400:                             ;   in Loop: Header=BB4_2553 Depth=2
	s_or_b64 exec, exec, s[90:91]
.LBB4_3401:                             ;   in Loop: Header=BB4_2553 Depth=2
	s_or_b64 exec, exec, s[88:89]
.LBB4_3402:                             ;   in Loop: Header=BB4_2553 Depth=2
	s_or_b64 exec, exec, s[20:21]
	v_add_f32_e32 v16, v28, v17
	v_and_b32_e32 v36, 0x7f800000, v16
	v_cmp_ne_u64_e32 vcc, s[56:57], v[36:37]
                                        ; implicit-def: $vgpr8
	s_and_saveexec_b64 s[20:21], vcc
	s_xor_b64 s[88:89], exec, s[20:21]
	s_cbranch_execz .LBB4_3420
; %bb.3403:                             ;   in Loop: Header=BB4_2553 Depth=2
	v_and_b32_e32 v36, 0x7fffffff, v16
	v_cmp_gt_u64_e32 vcc, s[58:59], v[36:37]
	v_and_b32_sdwa v28, v16, s53 dst_sel:DWORD dst_unused:UNUSED_PAD src0_sel:BYTE_3 src1_sel:DWORD
                                        ; implicit-def: $vgpr8
	s_and_saveexec_b64 s[20:21], vcc
	s_xor_b64 s[90:91], exec, s[20:21]
	s_cbranch_execz .LBB4_3417
; %bb.3404:                             ;   in Loop: Header=BB4_2553 Depth=2
	v_cmp_ne_u32_e32 vcc, 0, v16
	v_mov_b32_e32 v8, 0
	s_and_saveexec_b64 s[92:93], vcc
	s_cbranch_execz .LBB4_3416
; %bb.3405:                             ;   in Loop: Header=BB4_2553 Depth=2
	v_bfe_u32 v8, v16, 23, 8
	v_and_b32_e32 v17, 0x7fffff, v16
	v_cmp_gt_u32_e64 s[20:21], s54, v8
	v_sub_u32_e32 v16, 0x79, v8
	v_cmp_eq_u32_e32 vcc, 0, v8
	v_cndmask_b32_e64 v16, 0, v16, s[20:21]
	v_cndmask_b32_e32 v29, v16, v31, vcc
	v_or_b32_e32 v33, 0x800000, v17
	v_add_u32_e32 v16, 20, v29
	v_cndmask_b32_e32 v36, v33, v17, vcc
	v_lshlrev_b64 v[16:17], v16, -1
	v_add_u32_e32 v33, 19, v29
	v_lshlrev_b64 v[48:49], v33, 1
	v_bfi_b32 v17, v17, 0, 0
	v_bfi_b32 v16, v16, 0, v36
	v_cmp_eq_u64_e64 s[20:21], v[16:17], v[48:49]
	v_lshrrev_b64 v[16:17], v29, v[36:37]
	v_mov_b32_e32 v51, v17
	v_mov_b32_e32 v50, v16
	s_and_saveexec_b64 s[94:95], s[20:21]
; %bb.3406:                             ;   in Loop: Header=BB4_2553 Depth=2
	v_bfe_u32 v17, v16, 20, 1
	v_add_co_u32_e64 v17, s[20:21], v16, v17
	v_add_co_u32_e64 v50, s[20:21], -1, v17
; %bb.3407:                             ;   in Loop: Header=BB4_2553 Depth=2
	s_or_b64 exec, exec, s[94:95]
	v_add_u32_e32 v8, 0xffffff81, v8
	v_cndmask_b32_e32 v8, v8, v62, vcc
	v_lshrrev_b32_e32 v17, 23, v16
	v_add3_u32 v33, v29, v8, v17
	v_add_u32_e32 v8, 6, v33
	v_and_b32_e32 v17, 0xfffff, v50
	v_add_u32_e32 v36, v17, v16
	v_cmp_ne_u32_e32 vcc, 0, v8
                                        ; implicit-def: $vgpr16_vgpr17
                                        ; implicit-def: $vgpr29
	s_and_saveexec_b64 s[20:21], vcc
	s_xor_b64 s[20:21], exec, s[20:21]
; %bb.3408:                             ;   in Loop: Header=BB4_2553 Depth=2
	v_cmp_lt_u64_e32 vcc, s[60:61], v[36:37]
	v_add_u32_e32 v16, 7, v33
	v_cndmask_b32_e32 v29, v8, v16, vcc
	v_cndmask_b32_e64 v8, 0, 1, vcc
	v_lshrrev_b64 v[16:17], v8, v[36:37]
; %bb.3409:                             ;   in Loop: Header=BB4_2553 Depth=2
	s_andn2_saveexec_b64 s[20:21], s[20:21]
; %bb.3410:                             ;   in Loop: Header=BB4_2553 Depth=2
	v_mov_b32_e32 v16, v36
	v_bfe_u32 v29, v36, 23, 1
	v_mov_b32_e32 v17, v37
; %bb.3411:                             ;   in Loop: Header=BB4_2553 Depth=2
	s_or_b64 exec, exec, s[20:21]
	v_lshrrev_b64 v[16:17], 20, v[16:17]
	v_cmp_gt_i32_e32 vcc, 16, v29
	v_cndmask_b32_e32 v17, 0, v17, vcc
	v_cndmask_b32_e32 v16, 7, v16, vcc
	v_cmp_ne_u64_e32 vcc, 0, v[16:17]
	v_cmp_ne_u32_e64 s[20:21], 0, v29
	s_or_b64 s[20:21], s[20:21], vcc
                                        ; implicit-def: $vgpr8
	s_and_saveexec_b64 s[94:95], s[20:21]
	s_xor_b64 s[20:21], exec, s[94:95]
; %bb.3412:                             ;   in Loop: Header=BB4_2553 Depth=2
	v_min_i32_e32 v8, 15, v29
	v_lshl_or_b32 v8, v8, 3, v28
	v_and_or_b32 v8, v16, 7, v8
                                        ; implicit-def: $vgpr28
; %bb.3413:                             ;   in Loop: Header=BB4_2553 Depth=2
	s_andn2_saveexec_b64 s[20:21], s[20:21]
; %bb.3414:                             ;   in Loop: Header=BB4_2553 Depth=2
	v_mov_b32_e32 v8, v28
; %bb.3415:                             ;   in Loop: Header=BB4_2553 Depth=2
	s_or_b64 exec, exec, s[20:21]
.LBB4_3416:                             ;   in Loop: Header=BB4_2553 Depth=2
	s_or_b64 exec, exec, s[92:93]
                                        ; implicit-def: $vgpr28
.LBB4_3417:                             ;   in Loop: Header=BB4_2553 Depth=2
	s_andn2_saveexec_b64 s[20:21], s[90:91]
; %bb.3418:                             ;   in Loop: Header=BB4_2553 Depth=2
	v_or_b32_e32 v8, 0x7e, v28
; %bb.3419:                             ;   in Loop: Header=BB4_2553 Depth=2
	s_or_b64 exec, exec, s[20:21]
                                        ; implicit-def: $vgpr16
.LBB4_3420:                             ;   in Loop: Header=BB4_2553 Depth=2
	s_andn2_saveexec_b64 s[20:21], s[88:89]
; %bb.3421:                             ;   in Loop: Header=BB4_2553 Depth=2
	v_or_b32_sdwa v8, v16, s51 dst_sel:DWORD dst_unused:UNUSED_PAD src0_sel:BYTE_3 src1_sel:DWORD
; %bb.3422:                             ;   in Loop: Header=BB4_2553 Depth=2
	s_or_b64 exec, exec, s[20:21]
	v_and_b32_e32 v16, 0xff, v7
	v_cmp_ne_u16_e32 vcc, 0, v16
	v_mov_b32_e32 v17, 0
	v_mov_b32_e32 v28, 0
	s_and_saveexec_b64 s[20:21], vcc
	s_cbranch_execz .LBB4_3428
; %bb.3423:                             ;   in Loop: Header=BB4_2553 Depth=2
	v_cmp_ne_u16_e32 vcc, s53, v16
	v_bfrev_b32_e32 v28, 1
	s_and_saveexec_b64 s[88:89], vcc
	s_cbranch_execz .LBB4_3427
; %bb.3424:                             ;   in Loop: Header=BB4_2553 Depth=2
	v_and_b32_e32 v29, 0x7f, v7
	v_cmp_ne_u32_e32 vcc, s51, v29
	v_mov_b32_e32 v28, 0x7f800001
	s_and_saveexec_b64 s[90:91], vcc
	s_cbranch_execz .LBB4_3426
; %bb.3425:                             ;   in Loop: Header=BB4_2553 Depth=2
	v_and_b32_e32 v33, 7, v16
	v_ffbh_u32_e32 v28, v33
	v_min_u32_e32 v36, 32, v28
	v_subrev_u32_e32 v28, 28, v36
	v_lshrrev_b32_e32 v35, 3, v29
	v_cmp_gt_u32_e32 vcc, 8, v29
	v_lshlrev_b64 v[28:29], v28, v[16:17]
	v_sub_u32_e32 v16, 29, v36
	v_and_b32_e32 v28, 7, v28
	v_cndmask_b32_e32 v16, v35, v16, vcc
	v_cndmask_b32_e32 v28, v33, v28, vcc
	v_lshlrev_b32_e32 v7, 24, v7
	v_lshlrev_b32_e32 v28, 20, v28
	v_and_b32_e32 v7, 0x80000000, v7
	v_lshl_add_u32 v16, v16, 23, v58
	v_or3_b32 v28, v7, v16, v28
.LBB4_3426:                             ;   in Loop: Header=BB4_2553 Depth=2
	s_or_b64 exec, exec, s[90:91]
.LBB4_3427:                             ;   in Loop: Header=BB4_2553 Depth=2
	s_or_b64 exec, exec, s[88:89]
.LBB4_3428:                             ;   in Loop: Header=BB4_2553 Depth=2
	s_or_b64 exec, exec, s[20:21]
	v_and_b32_e32 v16, 0xff, v22
	v_cmp_ne_u16_e32 vcc, 0, v16
	s_and_saveexec_b64 s[20:21], vcc
	s_cbranch_execz .LBB4_3434
; %bb.3429:                             ;   in Loop: Header=BB4_2553 Depth=2
	v_cmp_ne_u16_e32 vcc, s53, v16
	v_bfrev_b32_e32 v17, 1
	s_and_saveexec_b64 s[88:89], vcc
	s_cbranch_execz .LBB4_3433
; %bb.3430:                             ;   in Loop: Header=BB4_2553 Depth=2
	v_and_b32_e32 v7, 0x7f, v22
	v_cmp_ne_u32_e32 vcc, s51, v7
	v_mov_b32_e32 v17, 0x7f800001
	s_and_saveexec_b64 s[90:91], vcc
	s_cbranch_execz .LBB4_3432
; %bb.3431:                             ;   in Loop: Header=BB4_2553 Depth=2
	v_and_b32_e32 v29, 7, v16
	v_lshrrev_b32_e32 v33, 3, v7
	v_cmp_gt_u32_e32 vcc, 8, v7
	v_ffbh_u32_e32 v7, v29
	v_min_u32_e32 v7, 32, v7
	v_subrev_u32_e32 v17, 28, v7
	v_lshlrev_b64 v[16:17], v17, v[16:17]
	v_sub_u32_e32 v7, 29, v7
	v_and_b32_e32 v16, 7, v16
	v_cndmask_b32_e32 v7, v33, v7, vcc
	v_cndmask_b32_e32 v16, v29, v16, vcc
	v_lshlrev_b32_e32 v17, 24, v22
	v_lshlrev_b32_e32 v16, 20, v16
	v_and_b32_e32 v17, 0x80000000, v17
	v_lshl_add_u32 v7, v7, 23, v58
	v_or3_b32 v17, v17, v7, v16
.LBB4_3432:                             ;   in Loop: Header=BB4_2553 Depth=2
	s_or_b64 exec, exec, s[90:91]
.LBB4_3433:                             ;   in Loop: Header=BB4_2553 Depth=2
	s_or_b64 exec, exec, s[88:89]
.LBB4_3434:                             ;   in Loop: Header=BB4_2553 Depth=2
	s_or_b64 exec, exec, s[20:21]
	v_add_f32_e32 v16, v28, v17
	v_and_b32_e32 v36, 0x7f800000, v16
	v_cmp_ne_u64_e32 vcc, s[56:57], v[36:37]
                                        ; implicit-def: $vgpr7
	s_and_saveexec_b64 s[20:21], vcc
	s_xor_b64 s[88:89], exec, s[20:21]
	s_cbranch_execz .LBB4_3452
; %bb.3435:                             ;   in Loop: Header=BB4_2553 Depth=2
	v_and_b32_e32 v36, 0x7fffffff, v16
	v_cmp_gt_u64_e32 vcc, s[58:59], v[36:37]
	v_and_b32_sdwa v22, v16, s53 dst_sel:DWORD dst_unused:UNUSED_PAD src0_sel:BYTE_3 src1_sel:DWORD
                                        ; implicit-def: $vgpr7
	s_and_saveexec_b64 s[20:21], vcc
	s_xor_b64 s[90:91], exec, s[20:21]
	s_cbranch_execz .LBB4_3449
; %bb.3436:                             ;   in Loop: Header=BB4_2553 Depth=2
	v_cmp_ne_u32_e32 vcc, 0, v16
	v_mov_b32_e32 v7, 0
	s_and_saveexec_b64 s[92:93], vcc
	s_cbranch_execz .LBB4_3448
; %bb.3437:                             ;   in Loop: Header=BB4_2553 Depth=2
	v_bfe_u32 v7, v16, 23, 8
	v_and_b32_e32 v17, 0x7fffff, v16
	v_cmp_gt_u32_e64 s[20:21], s54, v7
	v_sub_u32_e32 v16, 0x79, v7
	v_cmp_eq_u32_e32 vcc, 0, v7
	v_cndmask_b32_e64 v16, 0, v16, s[20:21]
	v_cndmask_b32_e32 v28, v16, v31, vcc
	v_or_b32_e32 v29, 0x800000, v17
	v_add_u32_e32 v16, 20, v28
	v_cndmask_b32_e32 v36, v29, v17, vcc
	v_lshlrev_b64 v[16:17], v16, -1
	v_add_u32_e32 v29, 19, v28
	v_lshlrev_b64 v[48:49], v29, 1
	v_bfi_b32 v17, v17, 0, 0
	v_bfi_b32 v16, v16, 0, v36
	v_cmp_eq_u64_e64 s[20:21], v[16:17], v[48:49]
	v_lshrrev_b64 v[16:17], v28, v[36:37]
	v_mov_b32_e32 v51, v17
	v_mov_b32_e32 v50, v16
	s_and_saveexec_b64 s[94:95], s[20:21]
; %bb.3438:                             ;   in Loop: Header=BB4_2553 Depth=2
	v_bfe_u32 v17, v16, 20, 1
	v_add_co_u32_e64 v17, s[20:21], v16, v17
	v_add_co_u32_e64 v50, s[20:21], -1, v17
; %bb.3439:                             ;   in Loop: Header=BB4_2553 Depth=2
	s_or_b64 exec, exec, s[94:95]
	v_add_u32_e32 v7, 0xffffff81, v7
	v_cndmask_b32_e32 v7, v7, v62, vcc
	v_lshrrev_b32_e32 v17, 23, v16
	v_add3_u32 v29, v28, v7, v17
	v_add_u32_e32 v7, 6, v29
	v_and_b32_e32 v17, 0xfffff, v50
	v_add_u32_e32 v36, v17, v16
	v_cmp_ne_u32_e32 vcc, 0, v7
                                        ; implicit-def: $vgpr16_vgpr17
                                        ; implicit-def: $vgpr28
	s_and_saveexec_b64 s[20:21], vcc
	s_xor_b64 s[20:21], exec, s[20:21]
; %bb.3440:                             ;   in Loop: Header=BB4_2553 Depth=2
	v_cmp_lt_u64_e32 vcc, s[60:61], v[36:37]
	v_add_u32_e32 v16, 7, v29
	v_cndmask_b32_e32 v28, v7, v16, vcc
	v_cndmask_b32_e64 v7, 0, 1, vcc
	v_lshrrev_b64 v[16:17], v7, v[36:37]
; %bb.3441:                             ;   in Loop: Header=BB4_2553 Depth=2
	s_andn2_saveexec_b64 s[20:21], s[20:21]
; %bb.3442:                             ;   in Loop: Header=BB4_2553 Depth=2
	v_mov_b32_e32 v16, v36
	v_bfe_u32 v28, v36, 23, 1
	v_mov_b32_e32 v17, v37
; %bb.3443:                             ;   in Loop: Header=BB4_2553 Depth=2
	s_or_b64 exec, exec, s[20:21]
	v_lshrrev_b64 v[16:17], 20, v[16:17]
	v_cmp_gt_i32_e32 vcc, 16, v28
	v_cndmask_b32_e32 v17, 0, v17, vcc
	v_cndmask_b32_e32 v16, 7, v16, vcc
	v_cmp_ne_u64_e32 vcc, 0, v[16:17]
	v_cmp_ne_u32_e64 s[20:21], 0, v28
	s_or_b64 s[20:21], s[20:21], vcc
                                        ; implicit-def: $vgpr7
	s_and_saveexec_b64 s[94:95], s[20:21]
	s_xor_b64 s[20:21], exec, s[94:95]
; %bb.3444:                             ;   in Loop: Header=BB4_2553 Depth=2
	v_min_i32_e32 v7, 15, v28
	v_lshl_or_b32 v7, v7, 3, v22
	v_and_or_b32 v7, v16, 7, v7
                                        ; implicit-def: $vgpr22
; %bb.3445:                             ;   in Loop: Header=BB4_2553 Depth=2
	s_andn2_saveexec_b64 s[20:21], s[20:21]
; %bb.3446:                             ;   in Loop: Header=BB4_2553 Depth=2
	v_mov_b32_e32 v7, v22
; %bb.3447:                             ;   in Loop: Header=BB4_2553 Depth=2
	s_or_b64 exec, exec, s[20:21]
.LBB4_3448:                             ;   in Loop: Header=BB4_2553 Depth=2
	s_or_b64 exec, exec, s[92:93]
                                        ; implicit-def: $vgpr22
.LBB4_3449:                             ;   in Loop: Header=BB4_2553 Depth=2
	s_andn2_saveexec_b64 s[20:21], s[90:91]
; %bb.3450:                             ;   in Loop: Header=BB4_2553 Depth=2
	v_or_b32_e32 v7, 0x7e, v22
; %bb.3451:                             ;   in Loop: Header=BB4_2553 Depth=2
	s_or_b64 exec, exec, s[20:21]
                                        ; implicit-def: $vgpr16
.LBB4_3452:                             ;   in Loop: Header=BB4_2553 Depth=2
	s_andn2_saveexec_b64 s[20:21], s[88:89]
; %bb.3453:                             ;   in Loop: Header=BB4_2553 Depth=2
	v_or_b32_sdwa v7, v16, s51 dst_sel:DWORD dst_unused:UNUSED_PAD src0_sel:BYTE_3 src1_sel:DWORD
; %bb.3454:                             ;   in Loop: Header=BB4_2553 Depth=2
	s_or_b64 exec, exec, s[20:21]
	v_and_b32_e32 v16, 0xff, v2
	v_cmp_ne_u16_e32 vcc, 0, v16
	v_mov_b32_e32 v17, 0
	v_mov_b32_e32 v22, 0
	s_and_saveexec_b64 s[20:21], vcc
	s_cbranch_execz .LBB4_3460
; %bb.3455:                             ;   in Loop: Header=BB4_2553 Depth=2
	v_cmp_ne_u16_e32 vcc, s53, v16
	v_bfrev_b32_e32 v22, 1
	s_and_saveexec_b64 s[88:89], vcc
	s_cbranch_execz .LBB4_3459
; %bb.3456:                             ;   in Loop: Header=BB4_2553 Depth=2
	v_and_b32_e32 v28, 0x7f, v2
	v_cmp_ne_u32_e32 vcc, s51, v28
	v_mov_b32_e32 v22, 0x7f800001
	s_and_saveexec_b64 s[90:91], vcc
	s_cbranch_execz .LBB4_3458
; %bb.3457:                             ;   in Loop: Header=BB4_2553 Depth=2
	v_and_b32_e32 v22, 7, v16
	v_lshrrev_b32_e32 v33, 3, v28
	v_cmp_gt_u32_e32 vcc, 8, v28
	v_ffbh_u32_e32 v28, v22
	v_min_u32_e32 v35, 32, v28
	v_subrev_u32_e32 v28, 28, v35
	v_lshlrev_b64 v[28:29], v28, v[16:17]
	v_sub_u32_e32 v16, 29, v35
	v_and_b32_e32 v28, 7, v28
	v_cndmask_b32_e32 v16, v33, v16, vcc
	v_cndmask_b32_e32 v22, v22, v28, vcc
	v_lshlrev_b32_e32 v2, 24, v2
	v_lshlrev_b32_e32 v22, 20, v22
	v_and_b32_e32 v2, 0x80000000, v2
	v_lshl_add_u32 v16, v16, 23, v58
	v_or3_b32 v22, v2, v16, v22
.LBB4_3458:                             ;   in Loop: Header=BB4_2553 Depth=2
	s_or_b64 exec, exec, s[90:91]
.LBB4_3459:                             ;   in Loop: Header=BB4_2553 Depth=2
	s_or_b64 exec, exec, s[88:89]
.LBB4_3460:                             ;   in Loop: Header=BB4_2553 Depth=2
	s_or_b64 exec, exec, s[20:21]
	v_and_b32_e32 v16, 0xff, v3
	v_cmp_ne_u16_e32 vcc, 0, v16
	s_and_saveexec_b64 s[20:21], vcc
	s_cbranch_execz .LBB4_3466
; %bb.3461:                             ;   in Loop: Header=BB4_2553 Depth=2
	v_cmp_ne_u16_e32 vcc, s53, v16
	v_bfrev_b32_e32 v17, 1
	s_and_saveexec_b64 s[88:89], vcc
	s_cbranch_execz .LBB4_3465
; %bb.3462:                             ;   in Loop: Header=BB4_2553 Depth=2
	v_and_b32_e32 v2, 0x7f, v3
	v_cmp_ne_u32_e32 vcc, s51, v2
	v_mov_b32_e32 v17, 0x7f800001
	s_and_saveexec_b64 s[90:91], vcc
	s_cbranch_execz .LBB4_3464
; %bb.3463:                             ;   in Loop: Header=BB4_2553 Depth=2
	v_and_b32_e32 v28, 7, v16
	v_lshrrev_b32_e32 v29, 3, v2
	v_cmp_gt_u32_e32 vcc, 8, v2
	v_ffbh_u32_e32 v2, v28
	v_min_u32_e32 v2, 32, v2
	v_subrev_u32_e32 v17, 28, v2
	v_lshlrev_b64 v[16:17], v17, v[16:17]
	v_sub_u32_e32 v2, 29, v2
	v_and_b32_e32 v16, 7, v16
	v_cndmask_b32_e32 v2, v29, v2, vcc
	v_cndmask_b32_e32 v16, v28, v16, vcc
	v_lshlrev_b32_e32 v3, 24, v3
	v_lshlrev_b32_e32 v16, 20, v16
	v_and_b32_e32 v3, 0x80000000, v3
	v_lshl_add_u32 v2, v2, 23, v58
	v_or3_b32 v17, v3, v2, v16
.LBB4_3464:                             ;   in Loop: Header=BB4_2553 Depth=2
	s_or_b64 exec, exec, s[90:91]
.LBB4_3465:                             ;   in Loop: Header=BB4_2553 Depth=2
	s_or_b64 exec, exec, s[88:89]
.LBB4_3466:                             ;   in Loop: Header=BB4_2553 Depth=2
	s_or_b64 exec, exec, s[20:21]
	v_add_f32_e32 v16, v22, v17
	v_and_b32_e32 v36, 0x7f800000, v16
	v_cmp_ne_u64_e32 vcc, s[56:57], v[36:37]
                                        ; implicit-def: $vgpr2
	s_and_saveexec_b64 s[20:21], vcc
	s_xor_b64 s[88:89], exec, s[20:21]
	s_cbranch_execz .LBB4_3484
; %bb.3467:                             ;   in Loop: Header=BB4_2553 Depth=2
	v_and_b32_e32 v36, 0x7fffffff, v16
	v_cmp_gt_u64_e32 vcc, s[58:59], v[36:37]
	v_and_b32_sdwa v3, v16, s53 dst_sel:DWORD dst_unused:UNUSED_PAD src0_sel:BYTE_3 src1_sel:DWORD
                                        ; implicit-def: $vgpr2
	s_and_saveexec_b64 s[20:21], vcc
	s_xor_b64 s[90:91], exec, s[20:21]
	s_cbranch_execz .LBB4_3481
; %bb.3468:                             ;   in Loop: Header=BB4_2553 Depth=2
	v_cmp_ne_u32_e32 vcc, 0, v16
	v_mov_b32_e32 v2, 0
	s_and_saveexec_b64 s[92:93], vcc
	s_cbranch_execz .LBB4_3480
; %bb.3469:                             ;   in Loop: Header=BB4_2553 Depth=2
	v_bfe_u32 v2, v16, 23, 8
	v_and_b32_e32 v17, 0x7fffff, v16
	v_cmp_gt_u32_e64 s[20:21], s54, v2
	v_sub_u32_e32 v16, 0x79, v2
	v_cmp_eq_u32_e32 vcc, 0, v2
	v_cndmask_b32_e64 v16, 0, v16, s[20:21]
	v_cndmask_b32_e32 v22, v16, v31, vcc
	v_or_b32_e32 v28, 0x800000, v17
	v_add_u32_e32 v16, 20, v22
	v_cndmask_b32_e32 v36, v28, v17, vcc
	v_lshlrev_b64 v[16:17], v16, -1
	v_add_u32_e32 v28, 19, v22
	v_lshlrev_b64 v[28:29], v28, 1
	v_bfi_b32 v17, v17, 0, 0
	v_bfi_b32 v16, v16, 0, v36
	v_cmp_eq_u64_e64 s[20:21], v[16:17], v[28:29]
	v_lshrrev_b64 v[16:17], v22, v[36:37]
	v_mov_b32_e32 v51, v17
	v_mov_b32_e32 v50, v16
	s_and_saveexec_b64 s[94:95], s[20:21]
; %bb.3470:                             ;   in Loop: Header=BB4_2553 Depth=2
	v_bfe_u32 v17, v16, 20, 1
	v_add_co_u32_e64 v17, s[20:21], v16, v17
	v_add_co_u32_e64 v50, s[20:21], -1, v17
; %bb.3471:                             ;   in Loop: Header=BB4_2553 Depth=2
	s_or_b64 exec, exec, s[94:95]
	v_add_u32_e32 v2, 0xffffff81, v2
	v_cndmask_b32_e32 v2, v2, v62, vcc
	v_lshrrev_b32_e32 v17, 23, v16
	v_add3_u32 v28, v22, v2, v17
	v_add_u32_e32 v2, 6, v28
	v_and_b32_e32 v17, 0xfffff, v50
	v_add_u32_e32 v36, v17, v16
	v_cmp_ne_u32_e32 vcc, 0, v2
                                        ; implicit-def: $vgpr16_vgpr17
                                        ; implicit-def: $vgpr22
	s_and_saveexec_b64 s[20:21], vcc
	s_xor_b64 s[20:21], exec, s[20:21]
; %bb.3472:                             ;   in Loop: Header=BB4_2553 Depth=2
	v_cmp_lt_u64_e32 vcc, s[60:61], v[36:37]
	v_add_u32_e32 v16, 7, v28
	v_cndmask_b32_e32 v22, v2, v16, vcc
	v_cndmask_b32_e64 v2, 0, 1, vcc
	v_lshrrev_b64 v[16:17], v2, v[36:37]
; %bb.3473:                             ;   in Loop: Header=BB4_2553 Depth=2
	s_andn2_saveexec_b64 s[20:21], s[20:21]
; %bb.3474:                             ;   in Loop: Header=BB4_2553 Depth=2
	v_mov_b32_e32 v16, v36
	v_bfe_u32 v22, v36, 23, 1
	v_mov_b32_e32 v17, v37
; %bb.3475:                             ;   in Loop: Header=BB4_2553 Depth=2
	s_or_b64 exec, exec, s[20:21]
	v_lshrrev_b64 v[16:17], 20, v[16:17]
	v_cmp_gt_i32_e32 vcc, 16, v22
	v_cndmask_b32_e32 v17, 0, v17, vcc
	v_cndmask_b32_e32 v16, 7, v16, vcc
	v_cmp_ne_u64_e32 vcc, 0, v[16:17]
	v_cmp_ne_u32_e64 s[20:21], 0, v22
	s_or_b64 s[20:21], s[20:21], vcc
                                        ; implicit-def: $vgpr2
	s_and_saveexec_b64 s[94:95], s[20:21]
	s_xor_b64 s[20:21], exec, s[94:95]
; %bb.3476:                             ;   in Loop: Header=BB4_2553 Depth=2
	v_min_i32_e32 v2, 15, v22
	v_lshl_or_b32 v2, v2, 3, v3
	v_and_or_b32 v2, v16, 7, v2
                                        ; implicit-def: $vgpr3
; %bb.3477:                             ;   in Loop: Header=BB4_2553 Depth=2
	s_andn2_saveexec_b64 s[20:21], s[20:21]
; %bb.3478:                             ;   in Loop: Header=BB4_2553 Depth=2
	v_mov_b32_e32 v2, v3
; %bb.3479:                             ;   in Loop: Header=BB4_2553 Depth=2
	s_or_b64 exec, exec, s[20:21]
.LBB4_3480:                             ;   in Loop: Header=BB4_2553 Depth=2
	s_or_b64 exec, exec, s[92:93]
                                        ; implicit-def: $vgpr3
.LBB4_3481:                             ;   in Loop: Header=BB4_2553 Depth=2
	s_andn2_saveexec_b64 s[20:21], s[90:91]
; %bb.3482:                             ;   in Loop: Header=BB4_2553 Depth=2
	v_or_b32_e32 v2, 0x7e, v3
; %bb.3483:                             ;   in Loop: Header=BB4_2553 Depth=2
	s_or_b64 exec, exec, s[20:21]
                                        ; implicit-def: $vgpr16
.LBB4_3484:                             ;   in Loop: Header=BB4_2553 Depth=2
	s_andn2_saveexec_b64 s[20:21], s[88:89]
	s_cbranch_execz .LBB4_2552
; %bb.3485:                             ;   in Loop: Header=BB4_2553 Depth=2
	v_or_b32_sdwa v2, v16, s51 dst_sel:DWORD dst_unused:UNUSED_PAD src0_sel:BYTE_3 src1_sel:DWORD
	s_branch .LBB4_2552
.LBB4_3486:                             ;   in Loop: Header=BB4_49 Depth=1
	s_or_b64 exec, exec, s[78:79]
.LBB4_3487:                             ;   in Loop: Header=BB4_49 Depth=1
	s_or_b64 exec, exec, s[76:77]
	v_and_b32_e32 v2, 0xfffffc00, v1
	v_cmp_ne_u32_e32 vcc, v1, v2
	s_and_b64 exec, exec, vcc
	s_cbranch_execz .LBB4_3554
; %bb.3488:                             ;   in Loop: Header=BB4_49 Depth=1
	v_lshlrev_b32_e32 v3, 6, v5
	v_sub_u32_e32 v3, v4, v3
	v_lshlrev_b32_e32 v4, 6, v18
	v_sub_u32_e32 v3, v3, v4
	v_and_b32_e32 v1, 0x3ff, v1
	v_sub_u32_e32 v1, v1, v3
	v_cmp_lt_i32_e32 vcc, 0, v1
	s_and_b64 exec, exec, vcc
	s_cbranch_execz .LBB4_3554
; %bb.3489:                             ;   in Loop: Header=BB4_49 Depth=1
	s_trap 2
	ds_read_b128 v[4:7], v0
	v_add3_u32 v0, v2, v0, v3
	ds_read_b64 v[2:3], v0
	v_ashrrev_i32_e32 v8, 31, v0
	s_mov_b64 s[76:77], 0
	s_waitcnt lgkmcnt(0)
	v_add_co_u32_e32 v10, vcc, v4, v0
	v_addc_co_u32_e32 v11, vcc, v5, v8, vcc
	v_add_co_u32_e32 v12, vcc, v6, v0
	v_addc_co_u32_e32 v13, vcc, v7, v8, vcc
	;; [unrolled: 2-line block ×3, first 2 shown]
	s_branch .LBB4_3491
.LBB4_3490:                             ;   in Loop: Header=BB4_3491 Depth=2
	s_or_b64 exec, exec, s[20:21]
	buffer_load_dword v0, off, s[0:3], s33 offset:144 ; 4-byte Folded Reload
	s_waitcnt vmcnt(0)
	v_add_co_u32_e32 v10, vcc, v10, v0
	v_addc_co_u32_e32 v11, vcc, 0, v11, vcc
	v_add_co_u32_e32 v12, vcc, v12, v0
	v_addc_co_u32_e32 v13, vcc, 0, v13, vcc
	v_sub_u32_e32 v1, v1, v0
	v_cmp_gt_i32_e32 vcc, 1, v1
	flat_store_byte v[14:15], v2 glc slc
	s_or_b64 s[76:77], vcc, s[76:77]
	v_add_co_u32_e32 v14, vcc, v14, v0
	v_addc_co_u32_e32 v15, vcc, 0, v15, vcc
	s_andn2_b64 exec, exec, s[76:77]
	s_cbranch_execz .LBB4_3554
.LBB4_3491:                             ;   Parent Loop BB4_49 Depth=1
                                        ; =>  This Inner Loop Header: Depth=2
	s_trap 2
	ds_read_b64 v[16:17], v0
	s_waitcnt lgkmcnt(0)
	v_cmp_eq_u32_sdwa s[78:79], v16, v37 src0_sel:BYTE_0 src1_sel:DWORD
	v_readfirstlane_b32 s20, v16
	s_and_b64 vcc, exec, s[78:79]
	v_readfirstlane_b32 s21, v17
	s_cbranch_vccnz .LBB4_3495
; %bb.3492:                             ;   in Loop: Header=BB4_3491 Depth=2
	v_cmp_eq_u32_sdwa s[78:79], v16, s53 src0_sel:BYTE_0 src1_sel:DWORD
	s_and_b64 vcc, exec, s[78:79]
	s_brev_b32 s90, 1
	s_cbranch_vccnz .LBB4_3496
; %bb.3493:                             ;   in Loop: Header=BB4_3491 Depth=2
	s_and_b32 s78, s20, 0x7f
	s_cmpk_eq_i32 s78, 0x7f
	s_mov_b32 s90, 0x7f800001
	s_cbranch_scc1 .LBB4_3496
; %bb.3494:                             ;   in Loop: Header=BB4_3491 Depth=2
	s_and_b32 s79, s20, 7
	s_flbit_i32_b32 s79, s79
	s_min_u32 s79, s79, 32
	s_lshr_b32 s88, s78, 3
	s_sub_i32 s89, s79, 28
	s_sub_i32 s79, 29, s79
	s_cmp_lt_u32 s78, 8
	s_cselect_b32 s78, s89, 0
	s_cselect_b32 s88, s79, s88
	s_lshl_b64 s[78:79], s[20:21], s78
	s_lshl_b32 s21, s78, 20
	s_lshl_b32 s20, s20, 24
	;; [unrolled: 1-line block ×3, first 2 shown]
	s_and_b32 s20, s20, 0x80000000
	s_add_i32 s78, s78, 0x3c000000
	s_and_b32 s21, s21, 0x700000
	s_or_b32 s20, s20, s78
	s_or_b32 s90, s20, s21
	s_branch .LBB4_3496
.LBB4_3495:                             ;   in Loop: Header=BB4_3491 Depth=2
	s_mov_b32 s90, 0
.LBB4_3496:                             ;   in Loop: Header=BB4_3491 Depth=2
	flat_load_ubyte v0, v[10:11] glc slc
	v_mov_b32_e32 v2, 0
	s_waitcnt vmcnt(0) lgkmcnt(0)
	v_cmp_ne_u16_e32 vcc, 0, v0
	s_and_saveexec_b64 s[20:21], vcc
	s_cbranch_execz .LBB4_3502
; %bb.3497:                             ;   in Loop: Header=BB4_3491 Depth=2
	v_cmp_ne_u16_e32 vcc, s53, v0
	v_bfrev_b32_e32 v2, 1
	s_and_saveexec_b64 s[78:79], vcc
	s_cbranch_execz .LBB4_3501
; %bb.3498:                             ;   in Loop: Header=BB4_3491 Depth=2
	v_and_b32_e32 v16, 0xffff, v0
	v_and_b32_e32 v3, 0x7f, v16
	v_cmp_ne_u32_e32 vcc, s51, v3
	v_mov_b32_e32 v2, 0x7f800001
	s_and_saveexec_b64 s[88:89], vcc
	s_cbranch_execz .LBB4_3500
; %bb.3499:                             ;   in Loop: Header=BB4_3491 Depth=2
	v_and_b32_e32 v4, 7, v16
	v_ffbh_u32_e32 v2, v4
	v_min_u32_e32 v6, 32, v2
	v_subrev_u32_e32 v2, 28, v6
	v_lshrrev_b32_e32 v5, 3, v3
	v_cmp_gt_u32_e32 vcc, 8, v3
	v_lshlrev_b64 v[2:3], v2, v[16:17]
	v_sub_u32_e32 v3, 29, v6
	v_and_b32_e32 v2, 7, v2
	v_cndmask_b32_e32 v3, v5, v3, vcc
	v_cndmask_b32_e32 v2, v4, v2, vcc
	v_lshlrev_b32_e32 v0, 24, v0
	v_lshlrev_b32_e32 v2, 20, v2
	v_and_b32_e32 v0, 0x80000000, v0
	v_lshl_add_u32 v3, v3, 23, v58
	v_or3_b32 v2, v0, v3, v2
.LBB4_3500:                             ;   in Loop: Header=BB4_3491 Depth=2
	s_or_b64 exec, exec, s[88:89]
.LBB4_3501:                             ;   in Loop: Header=BB4_3491 Depth=2
	s_or_b64 exec, exec, s[78:79]
.LBB4_3502:                             ;   in Loop: Header=BB4_3491 Depth=2
	s_or_b64 exec, exec, s[20:21]
	v_mul_f32_e32 v3, s90, v2
	v_and_b32_e32 v36, 0x7f800000, v3
	v_cmp_ne_u64_e32 vcc, s[56:57], v[36:37]
                                        ; implicit-def: $vgpr2
	s_and_saveexec_b64 s[20:21], vcc
	s_xor_b64 s[78:79], exec, s[20:21]
	s_cbranch_execz .LBB4_3520
; %bb.3503:                             ;   in Loop: Header=BB4_3491 Depth=2
	v_and_b32_e32 v36, 0x7fffffff, v3
	v_cmp_gt_u64_e32 vcc, s[58:59], v[36:37]
	v_and_b32_sdwa v0, v3, s53 dst_sel:DWORD dst_unused:UNUSED_PAD src0_sel:BYTE_3 src1_sel:DWORD
                                        ; implicit-def: $vgpr2
	s_and_saveexec_b64 s[20:21], vcc
	s_xor_b64 s[88:89], exec, s[20:21]
	s_cbranch_execz .LBB4_3517
; %bb.3504:                             ;   in Loop: Header=BB4_3491 Depth=2
	v_cmp_ne_u32_e32 vcc, 0, v3
	v_mov_b32_e32 v2, 0
	s_and_saveexec_b64 s[90:91], vcc
	s_cbranch_execz .LBB4_3516
; %bb.3505:                             ;   in Loop: Header=BB4_3491 Depth=2
	v_bfe_u32 v2, v3, 23, 8
	v_and_b32_e32 v4, 0x7fffff, v3
	v_cmp_gt_u32_e64 s[20:21], s54, v2
	v_sub_u32_e32 v3, 0x79, v2
	v_cmp_eq_u32_e32 vcc, 0, v2
	v_cndmask_b32_e64 v3, 0, v3, s[20:21]
	v_or_b32_e32 v5, 0x800000, v4
	v_cndmask_b32_e32 v3, v3, v31, vcc
	v_cndmask_b32_e32 v36, v5, v4, vcc
	v_add_u32_e32 v4, 20, v3
	v_lshlrev_b64 v[4:5], v4, -1
	v_add_u32_e32 v6, 19, v3
	v_lshlrev_b64 v[6:7], v6, 1
	v_lshrrev_b64 v[16:17], v3, v[36:37]
	v_bfi_b32 v5, v5, 0, 0
	v_bfi_b32 v4, v4, 0, v36
	v_cmp_eq_u64_e64 s[20:21], v[4:5], v[6:7]
	v_mov_b32_e32 v51, v17
	v_mov_b32_e32 v50, v16
	s_and_saveexec_b64 s[92:93], s[20:21]
; %bb.3506:                             ;   in Loop: Header=BB4_3491 Depth=2
	v_bfe_u32 v4, v16, 20, 1
	v_add_co_u32_e64 v4, s[20:21], v16, v4
	v_add_co_u32_e64 v50, s[20:21], -1, v4
; %bb.3507:                             ;   in Loop: Header=BB4_3491 Depth=2
	s_or_b64 exec, exec, s[92:93]
	v_add_u32_e32 v2, 0xffffff81, v2
	v_cndmask_b32_e32 v2, v2, v62, vcc
	v_lshrrev_b32_e32 v4, 23, v16
	v_add3_u32 v4, v3, v2, v4
	v_add_u32_e32 v2, 6, v4
	v_and_b32_e32 v3, 0xfffff, v50
	v_add_u32_e32 v36, v3, v16
	v_cmp_ne_u32_e32 vcc, 0, v2
                                        ; implicit-def: $vgpr16_vgpr17
                                        ; implicit-def: $vgpr3
	s_and_saveexec_b64 s[20:21], vcc
	s_xor_b64 s[20:21], exec, s[20:21]
; %bb.3508:                             ;   in Loop: Header=BB4_3491 Depth=2
	v_cmp_lt_u64_e32 vcc, s[60:61], v[36:37]
	v_add_u32_e32 v3, 7, v4
	v_cndmask_b32_e32 v3, v2, v3, vcc
	v_cndmask_b32_e64 v2, 0, 1, vcc
	v_lshrrev_b64 v[16:17], v2, v[36:37]
; %bb.3509:                             ;   in Loop: Header=BB4_3491 Depth=2
	s_andn2_saveexec_b64 s[20:21], s[20:21]
; %bb.3510:                             ;   in Loop: Header=BB4_3491 Depth=2
	v_mov_b32_e32 v16, v36
	v_bfe_u32 v3, v36, 23, 1
	v_mov_b32_e32 v17, v37
; %bb.3511:                             ;   in Loop: Header=BB4_3491 Depth=2
	s_or_b64 exec, exec, s[20:21]
	v_lshrrev_b64 v[4:5], 20, v[16:17]
	v_cmp_gt_i32_e32 vcc, 16, v3
	v_cndmask_b32_e32 v17, 0, v5, vcc
	v_cndmask_b32_e32 v16, 7, v4, vcc
	v_cmp_ne_u64_e32 vcc, 0, v[16:17]
	v_cmp_ne_u32_e64 s[20:21], 0, v3
	s_or_b64 s[20:21], s[20:21], vcc
                                        ; implicit-def: $vgpr2
	s_and_saveexec_b64 s[92:93], s[20:21]
	s_xor_b64 s[20:21], exec, s[92:93]
; %bb.3512:                             ;   in Loop: Header=BB4_3491 Depth=2
	v_min_i32_e32 v2, 15, v3
	v_lshl_or_b32 v0, v2, 3, v0
	v_and_or_b32 v2, v16, 7, v0
                                        ; implicit-def: $vgpr0
; %bb.3513:                             ;   in Loop: Header=BB4_3491 Depth=2
	s_andn2_saveexec_b64 s[20:21], s[20:21]
; %bb.3514:                             ;   in Loop: Header=BB4_3491 Depth=2
	v_mov_b32_e32 v2, v0
; %bb.3515:                             ;   in Loop: Header=BB4_3491 Depth=2
	s_or_b64 exec, exec, s[20:21]
.LBB4_3516:                             ;   in Loop: Header=BB4_3491 Depth=2
	s_or_b64 exec, exec, s[90:91]
                                        ; implicit-def: $vgpr0
.LBB4_3517:                             ;   in Loop: Header=BB4_3491 Depth=2
	s_andn2_saveexec_b64 s[20:21], s[88:89]
; %bb.3518:                             ;   in Loop: Header=BB4_3491 Depth=2
	v_or_b32_e32 v2, 0x7e, v0
; %bb.3519:                             ;   in Loop: Header=BB4_3491 Depth=2
	s_or_b64 exec, exec, s[20:21]
                                        ; implicit-def: $vgpr3
.LBB4_3520:                             ;   in Loop: Header=BB4_3491 Depth=2
	s_andn2_saveexec_b64 s[20:21], s[78:79]
; %bb.3521:                             ;   in Loop: Header=BB4_3491 Depth=2
	v_or_b32_sdwa v2, v3, s51 dst_sel:DWORD dst_unused:UNUSED_PAD src0_sel:BYTE_3 src1_sel:DWORD
; %bb.3522:                             ;   in Loop: Header=BB4_3491 Depth=2
	s_or_b64 exec, exec, s[20:21]
	flat_load_ubyte v3, v[12:13] glc slc
	v_and_b32_e32 v16, 0xff, v2
	v_cmp_ne_u16_e32 vcc, 0, v16
	v_mov_b32_e32 v0, 0
	v_mov_b32_e32 v4, 0
	s_and_saveexec_b64 s[20:21], vcc
	s_cbranch_execz .LBB4_3528
; %bb.3523:                             ;   in Loop: Header=BB4_3491 Depth=2
	v_cmp_ne_u16_e32 vcc, s53, v16
	v_bfrev_b32_e32 v4, 1
	s_and_saveexec_b64 s[78:79], vcc
	s_cbranch_execz .LBB4_3527
; %bb.3524:                             ;   in Loop: Header=BB4_3491 Depth=2
	v_and_b32_e32 v5, 0x7f, v2
	v_cmp_ne_u32_e32 vcc, s51, v5
	v_mov_b32_e32 v4, 0x7f800001
	s_and_saveexec_b64 s[88:89], vcc
	s_cbranch_execz .LBB4_3526
; %bb.3525:                             ;   in Loop: Header=BB4_3491 Depth=2
	v_and_b32_e32 v6, 7, v16
	v_ffbh_u32_e32 v4, v6
	v_min_u32_e32 v8, 32, v4
	v_subrev_u32_e32 v4, 28, v8
	v_lshrrev_b32_e32 v7, 3, v5
	v_cmp_gt_u32_e32 vcc, 8, v5
	v_lshlrev_b64 v[4:5], v4, v[16:17]
	v_sub_u32_e32 v5, 29, v8
	v_and_b32_e32 v4, 7, v4
	v_cndmask_b32_e32 v5, v7, v5, vcc
	v_cndmask_b32_e32 v4, v6, v4, vcc
	v_lshlrev_b32_e32 v2, 24, v2
	v_lshlrev_b32_e32 v4, 20, v4
	v_and_b32_e32 v2, 0x80000000, v2
	v_lshl_add_u32 v5, v5, 23, v58
	v_or3_b32 v4, v2, v5, v4
.LBB4_3526:                             ;   in Loop: Header=BB4_3491 Depth=2
	s_or_b64 exec, exec, s[88:89]
.LBB4_3527:                             ;   in Loop: Header=BB4_3491 Depth=2
	s_or_b64 exec, exec, s[78:79]
.LBB4_3528:                             ;   in Loop: Header=BB4_3491 Depth=2
	s_or_b64 exec, exec, s[20:21]
	s_waitcnt vmcnt(0) lgkmcnt(0)
	v_and_b32_e32 v16, 0xff, v3
	v_cmp_ne_u16_e32 vcc, 0, v16
	s_and_saveexec_b64 s[20:21], vcc
	s_cbranch_execz .LBB4_3534
; %bb.3529:                             ;   in Loop: Header=BB4_3491 Depth=2
	v_cmp_ne_u16_e32 vcc, s53, v16
	v_bfrev_b32_e32 v0, 1
	s_and_saveexec_b64 s[78:79], vcc
	s_cbranch_execz .LBB4_3533
; %bb.3530:                             ;   in Loop: Header=BB4_3491 Depth=2
	v_and_b32_e32 v2, 0x7f, v3
	v_cmp_ne_u32_e32 vcc, s51, v2
	v_mov_b32_e32 v0, 0x7f800001
	s_and_saveexec_b64 s[88:89], vcc
	s_cbranch_execz .LBB4_3532
; %bb.3531:                             ;   in Loop: Header=BB4_3491 Depth=2
	v_and_b32_e32 v0, 7, v16
	v_lshrrev_b32_e32 v5, 3, v2
	v_cmp_gt_u32_e32 vcc, 8, v2
	v_ffbh_u32_e32 v2, v0
	v_min_u32_e32 v7, 32, v2
	v_lshlrev_b32_e32 v3, 24, v3
	v_subrev_u32_e32 v2, 28, v7
	v_and_b32_e32 v6, 0x80000000, v3
	v_lshlrev_b64 v[2:3], v2, v[16:17]
	v_sub_u32_e32 v3, 29, v7
	v_and_b32_e32 v2, 7, v2
	v_cndmask_b32_e32 v3, v5, v3, vcc
	v_cndmask_b32_e32 v0, v0, v2, vcc
	v_lshlrev_b32_e32 v0, 20, v0
	v_lshl_add_u32 v2, v3, 23, v58
	v_or3_b32 v0, v6, v2, v0
.LBB4_3532:                             ;   in Loop: Header=BB4_3491 Depth=2
	s_or_b64 exec, exec, s[88:89]
.LBB4_3533:                             ;   in Loop: Header=BB4_3491 Depth=2
	s_or_b64 exec, exec, s[78:79]
.LBB4_3534:                             ;   in Loop: Header=BB4_3491 Depth=2
	s_or_b64 exec, exec, s[20:21]
	v_add_f32_e32 v3, v4, v0
	v_and_b32_e32 v36, 0x7f800000, v3
	v_cmp_ne_u64_e32 vcc, s[56:57], v[36:37]
                                        ; implicit-def: $vgpr2
	s_and_saveexec_b64 s[20:21], vcc
	s_xor_b64 s[78:79], exec, s[20:21]
	s_cbranch_execz .LBB4_3552
; %bb.3535:                             ;   in Loop: Header=BB4_3491 Depth=2
	v_and_b32_e32 v36, 0x7fffffff, v3
	v_cmp_gt_u64_e32 vcc, s[58:59], v[36:37]
	v_and_b32_sdwa v0, v3, s53 dst_sel:DWORD dst_unused:UNUSED_PAD src0_sel:BYTE_3 src1_sel:DWORD
                                        ; implicit-def: $vgpr2
	s_and_saveexec_b64 s[20:21], vcc
	s_xor_b64 s[88:89], exec, s[20:21]
	s_cbranch_execz .LBB4_3549
; %bb.3536:                             ;   in Loop: Header=BB4_3491 Depth=2
	v_cmp_ne_u32_e32 vcc, 0, v3
	v_mov_b32_e32 v2, 0
	s_and_saveexec_b64 s[90:91], vcc
	s_cbranch_execz .LBB4_3548
; %bb.3537:                             ;   in Loop: Header=BB4_3491 Depth=2
	v_bfe_u32 v2, v3, 23, 8
	v_and_b32_e32 v4, 0x7fffff, v3
	v_cmp_gt_u32_e64 s[20:21], s54, v2
	v_sub_u32_e32 v3, 0x79, v2
	v_cmp_eq_u32_e32 vcc, 0, v2
	v_cndmask_b32_e64 v3, 0, v3, s[20:21]
	v_or_b32_e32 v5, 0x800000, v4
	v_cndmask_b32_e32 v3, v3, v31, vcc
	v_cndmask_b32_e32 v36, v5, v4, vcc
	v_add_u32_e32 v4, 20, v3
	v_lshlrev_b64 v[4:5], v4, -1
	v_add_u32_e32 v6, 19, v3
	v_lshlrev_b64 v[6:7], v6, 1
	v_lshrrev_b64 v[16:17], v3, v[36:37]
	v_bfi_b32 v5, v5, 0, 0
	v_bfi_b32 v4, v4, 0, v36
	v_cmp_eq_u64_e64 s[20:21], v[4:5], v[6:7]
	v_mov_b32_e32 v51, v17
	v_mov_b32_e32 v50, v16
	s_and_saveexec_b64 s[92:93], s[20:21]
; %bb.3538:                             ;   in Loop: Header=BB4_3491 Depth=2
	v_bfe_u32 v4, v16, 20, 1
	v_add_co_u32_e64 v4, s[20:21], v16, v4
	v_add_co_u32_e64 v50, s[20:21], -1, v4
; %bb.3539:                             ;   in Loop: Header=BB4_3491 Depth=2
	s_or_b64 exec, exec, s[92:93]
	v_add_u32_e32 v2, 0xffffff81, v2
	v_cndmask_b32_e32 v2, v2, v62, vcc
	v_lshrrev_b32_e32 v4, 23, v16
	v_add3_u32 v4, v3, v2, v4
	v_add_u32_e32 v2, 6, v4
	v_and_b32_e32 v3, 0xfffff, v50
	v_add_u32_e32 v36, v3, v16
	v_cmp_ne_u32_e32 vcc, 0, v2
                                        ; implicit-def: $vgpr16_vgpr17
                                        ; implicit-def: $vgpr3
	s_and_saveexec_b64 s[20:21], vcc
	s_xor_b64 s[20:21], exec, s[20:21]
; %bb.3540:                             ;   in Loop: Header=BB4_3491 Depth=2
	v_cmp_lt_u64_e32 vcc, s[60:61], v[36:37]
	v_add_u32_e32 v3, 7, v4
	v_cndmask_b32_e32 v3, v2, v3, vcc
	v_cndmask_b32_e64 v2, 0, 1, vcc
	v_lshrrev_b64 v[16:17], v2, v[36:37]
; %bb.3541:                             ;   in Loop: Header=BB4_3491 Depth=2
	s_andn2_saveexec_b64 s[20:21], s[20:21]
; %bb.3542:                             ;   in Loop: Header=BB4_3491 Depth=2
	v_mov_b32_e32 v16, v36
	v_bfe_u32 v3, v36, 23, 1
	v_mov_b32_e32 v17, v37
; %bb.3543:                             ;   in Loop: Header=BB4_3491 Depth=2
	s_or_b64 exec, exec, s[20:21]
	v_lshrrev_b64 v[4:5], 20, v[16:17]
	v_cmp_gt_i32_e32 vcc, 16, v3
	v_cndmask_b32_e32 v17, 0, v5, vcc
	v_cndmask_b32_e32 v16, 7, v4, vcc
	v_cmp_ne_u64_e32 vcc, 0, v[16:17]
	v_cmp_ne_u32_e64 s[20:21], 0, v3
	s_or_b64 s[20:21], s[20:21], vcc
                                        ; implicit-def: $vgpr2
	s_and_saveexec_b64 s[92:93], s[20:21]
	s_xor_b64 s[20:21], exec, s[92:93]
; %bb.3544:                             ;   in Loop: Header=BB4_3491 Depth=2
	v_min_i32_e32 v2, 15, v3
	v_lshl_or_b32 v0, v2, 3, v0
	v_and_or_b32 v2, v16, 7, v0
                                        ; implicit-def: $vgpr0
; %bb.3545:                             ;   in Loop: Header=BB4_3491 Depth=2
	s_andn2_saveexec_b64 s[20:21], s[20:21]
; %bb.3546:                             ;   in Loop: Header=BB4_3491 Depth=2
	v_mov_b32_e32 v2, v0
; %bb.3547:                             ;   in Loop: Header=BB4_3491 Depth=2
	s_or_b64 exec, exec, s[20:21]
.LBB4_3548:                             ;   in Loop: Header=BB4_3491 Depth=2
	s_or_b64 exec, exec, s[90:91]
                                        ; implicit-def: $vgpr0
.LBB4_3549:                             ;   in Loop: Header=BB4_3491 Depth=2
	s_andn2_saveexec_b64 s[20:21], s[88:89]
; %bb.3550:                             ;   in Loop: Header=BB4_3491 Depth=2
	v_or_b32_e32 v2, 0x7e, v0
; %bb.3551:                             ;   in Loop: Header=BB4_3491 Depth=2
	s_or_b64 exec, exec, s[20:21]
                                        ; implicit-def: $vgpr3
.LBB4_3552:                             ;   in Loop: Header=BB4_3491 Depth=2
	s_andn2_saveexec_b64 s[20:21], s[78:79]
	s_cbranch_execz .LBB4_3490
; %bb.3553:                             ;   in Loop: Header=BB4_3491 Depth=2
	v_or_b32_sdwa v2, v3, s51 dst_sel:DWORD dst_unused:UNUSED_PAD src0_sel:BYTE_3 src1_sel:DWORD
	s_branch .LBB4_3490
.LBB4_3554:                             ;   in Loop: Header=BB4_49 Depth=1
	s_or_b64 exec, exec, s[22:23]
	buffer_load_dword v0, off, s[0:3], s33 offset:152 ; 4-byte Folded Reload
	v_mov_b32_e32 v7, 1
	s_waitcnt vmcnt(0)
	v_cmp_ne_u32_e64 s[20:21], 0, v0
	s_and_saveexec_b64 s[22:23], s[10:11]
	s_cbranch_execz .LBB4_3573
.LBB4_3555:                             ;   in Loop: Header=BB4_49 Depth=1
	s_and_saveexec_b64 s[76:77], s[42:43]
	s_xor_b64 s[76:77], exec, s[76:77]
	s_cbranch_execz .LBB4_3570
; %bb.3556:                             ;   in Loop: Header=BB4_49 Depth=1
	s_and_saveexec_b64 s[78:79], s[12:13]
	s_cbranch_execz .LBB4_3569
; %bb.3557:                             ;   in Loop: Header=BB4_49 Depth=1
	s_mov_b64 s[90:91], exec
	v_mbcnt_lo_u32_b32 v0, s90, 0
	v_mbcnt_hi_u32_b32 v0, s91, v0
	v_cmp_eq_u32_e32 vcc, 0, v0
	s_waitcnt vmcnt(0) lgkmcnt(0)
	buffer_wbinvl1_vol
	s_and_saveexec_b64 s[88:89], vcc
	s_cbranch_execz .LBB4_3559
; %bb.3558:                             ;   in Loop: Header=BB4_49 Depth=1
	s_bcnt1_i32_b64 s90, s[90:91]
	v_mov_b32_e32 v36, s90
	ds_add_u64 v0, v[36:37]
	s_trap 2
.LBB4_3559:                             ;   in Loop: Header=BB4_49 Depth=1
	s_or_b64 exec, exec, s[88:89]
	s_trap 2
	ds_read_b64 v[0:1], v0
	s_waitcnt lgkmcnt(0)
	buffer_load_dword v2, off, s[0:3], s33 offset:80 ; 4-byte Folded Reload
	buffer_load_dword v3, off, s[0:3], s33 offset:84 ; 4-byte Folded Reload
	s_waitcnt vmcnt(1)
	v_add_co_u32_e32 v2, vcc, v2, v56
	s_waitcnt vmcnt(0)
	v_addc_co_u32_e32 v3, vcc, 0, v3, vcc
	buffer_store_dword v2, off, s[0:3], s33 offset:80 ; 4-byte Folded Spill
	s_nop 0
	buffer_store_dword v3, off, s[0:3], s33 offset:84 ; 4-byte Folded Spill
	v_cmp_lt_u64_e32 vcc, v[0:1], v[2:3]
	s_and_saveexec_b64 s[88:89], vcc
	s_cbranch_execz .LBB4_3568
; %bb.3560:                             ;   in Loop: Header=BB4_49 Depth=1
	s_mov_b32 s36, 0
	s_mov_b64 s[90:91], 0
                                        ; implicit-def: $sgpr92_sgpr93
                                        ; implicit-def: $sgpr94_sgpr95
	s_branch .LBB4_3562
.LBB4_3561:                             ;   in Loop: Header=BB4_3562 Depth=2
	s_or_b64 exec, exec, s[34:35]
	s_and_b64 vcc, exec, vcc
	s_or_b64 s[90:91], vcc, s[90:91]
	s_andn2_b64 s[92:93], s[92:93], exec
	s_and_b64 vcc, s[94:95], exec
	s_or_b64 s[92:93], s[92:93], vcc
	s_andn2_b64 exec, exec, s[90:91]
	s_cbranch_execz .LBB4_3566
.LBB4_3562:                             ;   Parent Loop BB4_49 Depth=1
                                        ; =>  This Inner Loop Header: Depth=2
	s_add_i32 s36, s36, 1
	s_cmpk_lg_i32 s36, 0x2710
	s_cselect_b64 s[30:31], -1, 0
	s_and_b64 vcc, exec, s[30:31]
	s_cbranch_vccz .LBB4_3564
; %bb.3563:                             ;   in Loop: Header=BB4_3562 Depth=2
	s_mov_b64 vcc, -1
	s_or_b64 s[94:95], s[94:95], exec
	s_and_saveexec_b64 s[34:35], s[30:31]
	s_cbranch_execz .LBB4_3561
	s_branch .LBB4_3565
.LBB4_3564:                             ;   in Loop: Header=BB4_3562 Depth=2
	s_trap 2
	ds_read_b64 v[0:1], v0
	s_andn2_b64 s[30:31], s[30:31], exec
	s_mov_b32 s36, 0
	s_waitcnt vmcnt(0) lgkmcnt(0)
	flat_load_dword v0, v[0:1] glc
	s_waitcnt vmcnt(0) lgkmcnt(0)
	buffer_wbinvl1_vol
	v_cmp_eq_u32_e32 vcc, 0, v0
	s_and_b64 vcc, vcc, exec
	s_or_b64 s[30:31], s[30:31], vcc
	s_mov_b64 vcc, -1
	s_or_b64 s[94:95], s[94:95], exec
	s_and_saveexec_b64 s[34:35], s[30:31]
	s_cbranch_execz .LBB4_3561
.LBB4_3565:                             ;   in Loop: Header=BB4_3562 Depth=2
	s_sleep 1
	s_trap 2
	ds_read_b64 v[0:1], v0
	s_waitcnt lgkmcnt(0)
	buffer_load_dword v2, off, s[0:3], s33 offset:80 ; 4-byte Folded Reload
	buffer_load_dword v3, off, s[0:3], s33 offset:84 ; 4-byte Folded Reload
	s_andn2_b64 s[94:95], s[94:95], exec
	s_waitcnt vmcnt(0)
	v_cmp_ge_u64_e32 vcc, v[0:1], v[2:3]
	s_orn2_b64 vcc, vcc, exec
	s_branch .LBB4_3561
.LBB4_3566:                             ;   in Loop: Header=BB4_49 Depth=1
	s_or_b64 exec, exec, s[90:91]
	s_and_saveexec_b64 s[90:91], s[92:93]
	s_xor_b64 s[90:91], exec, s[90:91]
	s_cbranch_execz .LBB4_3568
; %bb.3567:                             ;   in Loop: Header=BB4_49 Depth=1
	ds_write_b32 v0, v7
	s_trap 2
.LBB4_3568:                             ;   in Loop: Header=BB4_49 Depth=1
	s_or_b64 exec, exec, s[88:89]
	;;#ASMSTART
	s_wakeup
	;;#ASMEND
.LBB4_3569:                             ;   in Loop: Header=BB4_49 Depth=1
	s_or_b64 exec, exec, s[78:79]
.LBB4_3570:                             ;   in Loop: Header=BB4_49 Depth=1
	s_andn2_saveexec_b64 s[76:77], s[76:77]
	s_cbranch_execz .LBB4_3572
; %bb.3571:                             ;   in Loop: Header=BB4_49 Depth=1
	s_waitcnt vmcnt(0) lgkmcnt(0)
	buffer_wbinvl1_vol
	s_barrier
.LBB4_3572:                             ;   in Loop: Header=BB4_49 Depth=1
	s_or_b64 exec, exec, s[76:77]
.LBB4_3573:                             ;   in Loop: Header=BB4_49 Depth=1
	s_or_b64 exec, exec, s[22:23]
	buffer_load_dword v0, off, s[0:3], s33 offset:76 ; 4-byte Folded Reload
	s_waitcnt vmcnt(0)
	v_and_b32_e32 v0, 16, v0
	v_cmp_ne_u32_e32 vcc, 0, v0
	s_and_b64 s[22:23], vcc, s[20:21]
	s_and_saveexec_b64 s[20:21], s[22:23]
	s_cbranch_execz .LBB4_3575
; %bb.3574:                             ;   in Loop: Header=BB4_49 Depth=1
	s_waitcnt lgkmcnt(0)
	buffer_wbinvl1_vol
.LBB4_3575:                             ;   in Loop: Header=BB4_49 Depth=1
	s_or_b64 exec, exec, s[20:21]
	v_cmp_ne_u32_e32 vcc, 0, v0
	s_xor_b64 s[20:21], s[18:19], -1
	s_and_b64 s[22:23], vcc, s[20:21]
	s_and_saveexec_b64 s[20:21], s[22:23]
	s_cbranch_execz .LBB4_3577
; %bb.3576:                             ;   in Loop: Header=BB4_49 Depth=1
	buffer_load_dword v0, off, s[0:3], s33 offset:316 ; 4-byte Folded Reload
	buffer_load_dword v1, off, s[0:3], s33 offset:320 ; 4-byte Folded Reload
	s_waitcnt vmcnt(0)
	flat_store_dword v[0:1], v7
.LBB4_3577:                             ;   in Loop: Header=BB4_49 Depth=1
	s_or_b64 exec, exec, s[20:21]
	buffer_load_dword v0, off, s[0:3], s33 offset:76 ; 4-byte Folded Reload
	s_waitcnt vmcnt(0)
	v_and_b32_e32 v0, 48, v0
	v_cmp_ne_u32_e32 vcc, 0, v0
	s_and_saveexec_b64 s[20:21], vcc
	s_cbranch_execz .LBB4_3579
; %bb.3578:                             ;   in Loop: Header=BB4_49 Depth=1
	buffer_load_dword v0, off, s[0:3], s33 offset:88 ; 4-byte Folded Reload
	buffer_load_dword v1, off, s[0:3], s33 offset:92 ; 4-byte Folded Reload
	;; [unrolled: 1-line block ×4, first 2 shown]
	s_waitcnt vmcnt(0)
	v_add_co_u32_e32 v2, vcc, 1, v2
	v_addc_co_u32_e32 v3, vcc, 0, v3, vcc
	buffer_store_dword v0, off, s[0:3], s33 offset:88 ; 4-byte Folded Spill
	s_nop 0
	buffer_store_dword v1, off, s[0:3], s33 offset:92 ; 4-byte Folded Spill
	buffer_store_dword v2, off, s[0:3], s33 offset:96 ; 4-byte Folded Spill
	;; [unrolled: 1-line block ×3, first 2 shown]
	buffer_load_dword v0, off, s[0:3], s33 offset:60 ; 4-byte Folded Reload
	s_nop 0
	buffer_load_dword v1, off, s[0:3], s33 offset:64 ; 4-byte Folded Reload
	s_waitcnt vmcnt(0)
	flat_store_dwordx2 v[0:1], v[2:3]
.LBB4_3579:                             ;   in Loop: Header=BB4_49 Depth=1
	s_or_b64 exec, exec, s[20:21]
	buffer_load_dword v0, off, s[0:3], s33 offset:120 ; 4-byte Folded Reload
	buffer_load_dword v1, off, s[0:3], s33 offset:124 ; 4-byte Folded Reload
.LBB4_3580:                             ;   in Loop: Header=BB4_49 Depth=1
	s_or_b64 exec, exec, s[74:75]
	s_and_saveexec_b64 s[22:23], s[72:73]
	s_cbranch_execz .LBB4_48
; %bb.3581:                             ;   in Loop: Header=BB4_49 Depth=1
	buffer_load_dword v1, off, s[0:3], s33 offset:128 ; 4-byte Folded Reload
	buffer_load_dword v2, off, s[0:3], s33 offset:132 ; 4-byte Folded Reload
	s_waitcnt vmcnt(0)
	v_sub_u32_e32 v0, v1, v0
	buffer_load_dword v1, off, s[0:3], s33 offset:120 ; 4-byte Folded Reload
	buffer_load_dword v2, off, s[0:3], s33 offset:124 ; 4-byte Folded Reload
	s_waitcnt vmcnt(0)
	v_min_i32_e32 v10, v1, v0
	buffer_load_dword v0, off, s[0:3], s33 offset:76 ; 4-byte Folded Reload
	s_waitcnt vmcnt(0)
	v_and_b32_e32 v0, 12, v0
	v_cmp_ne_u32_e32 vcc, 0, v0
	s_and_saveexec_b64 s[72:73], vcc
	s_cbranch_execz .LBB4_3605
; %bb.3582:                             ;   in Loop: Header=BB4_49 Depth=1
	buffer_load_dword v0, off, s[0:3], s33 offset:76 ; 4-byte Folded Reload
	buffer_load_dword v1, off, s[0:3], s33 offset:68 ; 4-byte Folded Reload
	;; [unrolled: 1-line block ×7, first 2 shown]
	s_waitcnt vmcnt(0)
	v_and_b32_e32 v0, 8, v0
	v_add_co_u32_e32 v1, vcc, v1, v0
	v_addc_co_u32_e32 v2, vcc, 0, v2, vcc
	v_add_co_u32_e32 v12, vcc, 1, v5
	v_addc_co_u32_e32 v13, vcc, 0, v6, vcc
	v_cmp_lt_u64_e32 vcc, v[1:2], v[12:13]
	s_and_saveexec_b64 s[74:75], vcc
	s_cbranch_execz .LBB4_3594
; %bb.3583:                             ;   in Loop: Header=BB4_49 Depth=1
	buffer_load_dword v1, off, s[0:3], s33 offset:76 ; 4-byte Folded Reload
	s_mov_b32 s38, 0
	s_mov_b64 s[76:77], 0
                                        ; implicit-def: $sgpr78_sgpr79
                                        ; implicit-def: $sgpr88_sgpr89
                                        ; implicit-def: $sgpr90_sgpr91
	s_waitcnt vmcnt(0)
	v_and_b32_e32 v1, 64, v1
	v_cmp_eq_u32_e32 vcc, 0, v1
	s_branch .LBB4_3586
.LBB4_3584:                             ;   in Loop: Header=BB4_3586 Depth=2
	s_or_b64 exec, exec, s[36:37]
	s_andn2_b64 s[20:21], s[90:91], exec
	s_and_b64 s[90:91], s[30:31], exec
	s_or_b64 s[90:91], s[20:21], s[90:91]
	s_andn2_b64 s[20:21], s[88:89], exec
	s_and_b64 s[88:89], s[94:95], exec
	s_or_b64 s[88:89], s[20:21], s[88:89]
.LBB4_3585:                             ;   in Loop: Header=BB4_3586 Depth=2
	s_or_b64 exec, exec, s[92:93]
	s_and_b64 s[20:21], exec, s[88:89]
	s_or_b64 s[76:77], s[20:21], s[76:77]
	s_andn2_b64 s[20:21], s[78:79], exec
	s_and_b64 s[78:79], s[90:91], exec
	s_or_b64 s[78:79], s[20:21], s[78:79]
	s_andn2_b64 exec, exec, s[76:77]
	s_cbranch_execz .LBB4_3591
.LBB4_3586:                             ;   Parent Loop BB4_49 Depth=1
                                        ; =>  This Inner Loop Header: Depth=2
	s_sleep 1
	buffer_load_dword v1, off, s[0:3], s33 offset:60 ; 4-byte Folded Reload
	buffer_load_dword v2, off, s[0:3], s33 offset:64 ; 4-byte Folded Reload
	s_or_b64 s[90:91], s[90:91], exec
	s_or_b64 s[88:89], s[88:89], exec
	s_waitcnt vmcnt(0)
	flat_load_dwordx2 v[1:2], v[1:2] glc
	s_waitcnt vmcnt(0) lgkmcnt(0)
	buffer_store_dword v1, off, s[0:3], s33 offset:68 ; 4-byte Folded Spill
	s_nop 0
	buffer_store_dword v2, off, s[0:3], s33 offset:72 ; 4-byte Folded Spill
                                        ; implicit-def: $vgpr1
	s_and_saveexec_b64 s[92:93], vcc
	s_cbranch_execz .LBB4_3585
; %bb.3587:                             ;   in Loop: Header=BB4_3586 Depth=2
	s_cmpk_lt_i32 s38, 0x270f
	s_cselect_b64 s[34:35], -1, 0
	s_cmpk_gt_i32 s38, 0x270e
	s_mov_b64 s[94:95], -1
	s_cbranch_scc0 .LBB4_3589
; %bb.3588:                             ;   in Loop: Header=BB4_3586 Depth=2
	s_trap 2
	ds_read_b64 v[1:2], v0
	s_andn2_b64 s[34:35], s[34:35], exec
	s_mov_b32 s38, 0
	s_mov_b64 s[30:31], 0
	s_waitcnt vmcnt(0) lgkmcnt(0)
	flat_load_dword v1, v[1:2] glc
	s_waitcnt vmcnt(0) lgkmcnt(0)
	buffer_wbinvl1_vol
	v_cmp_eq_u32_e64 s[20:21], 0, v1
	s_and_b64 s[20:21], s[20:21], exec
	s_or_b64 s[34:35], s[34:35], s[20:21]
	s_and_saveexec_b64 s[36:37], s[34:35]
	s_cbranch_execz .LBB4_3584
	s_branch .LBB4_3590
.LBB4_3589:                             ;   in Loop: Header=BB4_3586 Depth=2
	s_add_i32 s38, s38, 1
	s_mov_b64 s[30:31], -1
                                        ; implicit-def: $vgpr1
	s_and_saveexec_b64 s[36:37], s[34:35]
	s_cbranch_execz .LBB4_3584
.LBB4_3590:                             ;   in Loop: Header=BB4_3586 Depth=2
	buffer_load_dword v2, off, s[0:3], s33 offset:68 ; 4-byte Folded Reload
	buffer_load_dword v3, off, s[0:3], s33 offset:72 ; 4-byte Folded Reload
	s_or_b64 s[30:31], s[30:31], exec
	s_waitcnt vmcnt(1)
	v_add_co_u32_e64 v2, s[20:21], v2, v0
	s_waitcnt vmcnt(0)
	v_addc_co_u32_e64 v3, s[20:21], 0, v3, s[20:21]
	v_cmp_ge_u64_e64 s[20:21], v[2:3], v[12:13]
	s_orn2_b64 s[94:95], s[20:21], exec
	s_branch .LBB4_3584
.LBB4_3591:                             ;   in Loop: Header=BB4_49 Depth=1
	s_or_b64 exec, exec, s[76:77]
	s_xor_b64 s[20:21], s[78:79], -1
	s_and_saveexec_b64 s[76:77], s[20:21]
	s_xor_b64 s[20:21], exec, s[76:77]
	s_cbranch_execz .LBB4_3593
; %bb.3592:                             ;   in Loop: Header=BB4_49 Depth=1
	ds_write_b32 v0, v1
	s_trap 2
	buffer_load_dword v1, off, s[0:3], s33 offset:76 ; 4-byte Folded Reload
	s_waitcnt vmcnt(0)
	v_or_b32_e32 v1, 64, v1
	buffer_store_dword v1, off, s[0:3], s33 offset:76 ; 4-byte Folded Spill
.LBB4_3593:                             ;   in Loop: Header=BB4_49 Depth=1
	s_or_b64 exec, exec, s[20:21]
.LBB4_3594:                             ;   in Loop: Header=BB4_49 Depth=1
	s_or_b64 exec, exec, s[74:75]
	;;#ASMSTART
	s_wakeup
	;;#ASMEND
	buffer_load_dword v1, off, s[0:3], s33 offset:76 ; 4-byte Folded Reload
	s_waitcnt vmcnt(0)
	v_and_b32_e32 v1, 0x108, v1
	v_cmp_ne_u32_e32 vcc, s50, v1
	buffer_load_dword v1, off, s[0:3], s33 offset:88 ; 4-byte Folded Reload
	buffer_load_dword v2, off, s[0:3], s33 offset:92 ; 4-byte Folded Reload
	;; [unrolled: 1-line block ×4, first 2 shown]
	s_waitcnt vmcnt(0)
	v_and_b32_e32 v1, 7, v3
	s_and_saveexec_b64 s[20:21], vcc
	s_xor_b64 s[20:21], exec, s[20:21]
	s_andn2_saveexec_b64 s[20:21], s[20:21]
	s_cbranch_execz .LBB4_3596
; %bb.3595:                             ;   in Loop: Header=BB4_49 Depth=1
	buffer_load_dword v2, off, s[0:3], s33 offset:88 ; 4-byte Folded Reload
	buffer_load_dword v3, off, s[0:3], s33 offset:92 ; 4-byte Folded Reload
	;; [unrolled: 1-line block ×4, first 2 shown]
	v_ashrrev_i32_e32 v11, 31, v10
	s_waitcnt vmcnt(0)
	v_mad_u64_u32 v[2:3], s[74:75], v1, 24, v[2:3]
	flat_store_dwordx2 v[2:3], v[10:11] offset:8
.LBB4_3596:                             ;   in Loop: Header=BB4_49 Depth=1
	s_or_b64 exec, exec, s[20:21]
	buffer_load_dword v2, off, s[0:3], s33 offset:76 ; 4-byte Folded Reload
	s_mov_b64 s[20:21], -1
                                        ; implicit-def: $vgpr8_vgpr9
	s_waitcnt vmcnt(0)
	v_and_b32_e32 v2, 0x100, v2
	v_cmp_ne_u32_e32 vcc, 0, v2
	s_and_saveexec_b64 s[74:75], vcc
	s_cbranch_execz .LBB4_3600
; %bb.3597:                             ;   in Loop: Header=BB4_49 Depth=1
	buffer_load_dword v2, off, s[0:3], s33 offset:88 ; 4-byte Folded Reload
	buffer_load_dword v3, off, s[0:3], s33 offset:92 ; 4-byte Folded Reload
	;; [unrolled: 1-line block ×4, first 2 shown]
                                        ; implicit-def: $vgpr8_vgpr9
	s_waitcnt vmcnt(0)
	v_mad_u64_u32 v[14:15], s[20:21], v1, 24, v[2:3]
	v_mov_b32_e32 v2, v15
	v_mad_u64_u32 v[2:3], s[20:21], v37, 24, v[2:3]
	v_mov_b32_e32 v15, v2
	flat_load_dword v2, v[14:15]
	s_waitcnt vmcnt(0) lgkmcnt(0)
	v_cmp_ne_u32_e32 vcc, 1, v2
	v_cmp_eq_u32_e64 s[20:21], 1, v2
	s_and_saveexec_b64 s[76:77], s[20:21]
	s_cbranch_execz .LBB4_3599
; %bb.3598:                             ;   in Loop: Header=BB4_49 Depth=1
	flat_load_dword v8, v[14:15] offset:4 glc
	s_waitcnt vmcnt(0) lgkmcnt(0)
	v_ashrrev_i32_e32 v9, 31, v8
.LBB4_3599:                             ;   in Loop: Header=BB4_49 Depth=1
	s_or_b64 exec, exec, s[76:77]
	s_orn2_b64 s[20:21], vcc, exec
.LBB4_3600:                             ;   in Loop: Header=BB4_49 Depth=1
	s_or_b64 exec, exec, s[74:75]
	s_and_saveexec_b64 s[74:75], s[20:21]
	s_cbranch_execz .LBB4_3602
; %bb.3601:                             ;   in Loop: Header=BB4_49 Depth=1
	buffer_load_dword v4, off, s[0:3], s33 offset:312 ; 4-byte Folded Reload
	v_mul_lo_u32 v3, v1, v47
	s_waitcnt vmcnt(0)
	v_mul_lo_u32 v2, v37, v4
	v_mad_u64_u32 v[8:9], s[20:21], v1, v4, 0
	v_add3_u32 v9, v9, v3, v2
.LBB4_3602:                             ;   in Loop: Header=BB4_49 Depth=1
	s_or_b64 exec, exec, s[74:75]
	v_cmp_eq_u32_e32 vcc, 0, v0
	v_mov_b32_e32 v0, 0xc8
	v_mov_b32_e32 v1, 0x90
	v_cndmask_b32_e32 v2, v0, v1, vcc
	buffer_load_dword v0, off, s[0:3], s33 offset:260 ; 4-byte Folded Reload
	buffer_load_dword v1, off, s[0:3], s33 offset:264 ; 4-byte Folded Reload
	s_waitcnt vmcnt(0)
	v_add_co_u32_e32 v0, vcc, v0, v8
	v_addc_co_u32_e32 v1, vcc, v1, v9, vcc
	v_add_u32_e32 v2, v0, v2
	ds_write_b64 v2, v[0:1] offset:584
	buffer_load_dword v0, off, s[0:3], s33 offset:76 ; 4-byte Folded Reload
	s_waitcnt vmcnt(0)
	v_and_b32_e32 v0, 0x2000, v0
	v_cmp_ne_u32_e32 vcc, 0, v0
	s_and_saveexec_b64 s[20:21], vcc
	s_cbranch_execz .LBB4_3604
; %bb.3603:                             ;   in Loop: Header=BB4_49 Depth=1
	ds_read_b64 v[0:1], v0 offset:872
	s_waitcnt lgkmcnt(0)
	v_add_co_u32_e32 v0, vcc, 1, v0
	v_addc_co_u32_e32 v1, vcc, 0, v1, vcc
	ds_write_b64 v0, v[0:1] offset:872
.LBB4_3604:                             ;   in Loop: Header=BB4_49 Depth=1
	s_or_b64 exec, exec, s[20:21]
	buffer_load_dword v0, off, s[0:3], s33 offset:88 ; 4-byte Folded Reload
	buffer_load_dword v1, off, s[0:3], s33 offset:92 ; 4-byte Folded Reload
	;; [unrolled: 1-line block ×4, first 2 shown]
	s_waitcnt vmcnt(0)
	v_mov_b32_e32 v2, v12
	v_mov_b32_e32 v3, v13
	buffer_store_dword v0, off, s[0:3], s33 offset:88 ; 4-byte Folded Spill
	s_nop 0
	buffer_store_dword v1, off, s[0:3], s33 offset:92 ; 4-byte Folded Spill
	buffer_store_dword v2, off, s[0:3], s33 offset:96 ; 4-byte Folded Spill
	;; [unrolled: 1-line block ×3, first 2 shown]
.LBB4_3605:                             ;   in Loop: Header=BB4_49 Depth=1
	s_or_b64 exec, exec, s[72:73]
	s_and_saveexec_b64 s[20:21], s[10:11]
	s_cbranch_execz .LBB4_3624
; %bb.3606:                             ;   in Loop: Header=BB4_49 Depth=1
	s_and_saveexec_b64 s[72:73], s[42:43]
	s_xor_b64 s[72:73], exec, s[72:73]
	s_cbranch_execz .LBB4_3621
; %bb.3607:                             ;   in Loop: Header=BB4_49 Depth=1
	s_and_saveexec_b64 s[74:75], s[12:13]
	s_cbranch_execz .LBB4_3620
; %bb.3608:                             ;   in Loop: Header=BB4_49 Depth=1
	s_mov_b64 s[78:79], exec
	v_mbcnt_lo_u32_b32 v0, s78, 0
	v_mbcnt_hi_u32_b32 v0, s79, v0
	v_cmp_eq_u32_e32 vcc, 0, v0
	s_waitcnt vmcnt(0) lgkmcnt(0)
	buffer_wbinvl1_vol
	s_and_saveexec_b64 s[76:77], vcc
	s_cbranch_execz .LBB4_3610
; %bb.3609:                             ;   in Loop: Header=BB4_49 Depth=1
	s_bcnt1_i32_b64 s78, s[78:79]
	v_mov_b32_e32 v36, s78
	ds_add_u64 v0, v[36:37]
	s_trap 2
.LBB4_3610:                             ;   in Loop: Header=BB4_49 Depth=1
	s_or_b64 exec, exec, s[76:77]
	s_trap 2
	ds_read_b64 v[0:1], v0
	s_waitcnt lgkmcnt(0)
	buffer_load_dword v2, off, s[0:3], s33 offset:80 ; 4-byte Folded Reload
	buffer_load_dword v3, off, s[0:3], s33 offset:84 ; 4-byte Folded Reload
	s_waitcnt vmcnt(1)
	v_add_co_u32_e32 v2, vcc, v2, v56
	s_waitcnt vmcnt(0)
	v_addc_co_u32_e32 v3, vcc, 0, v3, vcc
	buffer_store_dword v2, off, s[0:3], s33 offset:80 ; 4-byte Folded Spill
	s_nop 0
	buffer_store_dword v3, off, s[0:3], s33 offset:84 ; 4-byte Folded Spill
	v_cmp_lt_u64_e32 vcc, v[0:1], v[2:3]
	s_and_saveexec_b64 s[76:77], vcc
	s_cbranch_execz .LBB4_3619
; %bb.3611:                             ;   in Loop: Header=BB4_49 Depth=1
	s_mov_b32 s30, 0
	s_mov_b64 s[78:79], 0
                                        ; implicit-def: $sgpr88_sgpr89
                                        ; implicit-def: $sgpr90_sgpr91
	s_branch .LBB4_3613
.LBB4_3612:                             ;   in Loop: Header=BB4_3613 Depth=2
	s_or_b64 exec, exec, s[94:95]
	s_and_b64 s[92:93], exec, vcc
	s_or_b64 s[78:79], s[92:93], s[78:79]
	s_andn2_b64 s[88:89], s[88:89], exec
	s_and_b64 s[92:93], s[90:91], exec
	s_or_b64 s[88:89], s[88:89], s[92:93]
	s_andn2_b64 exec, exec, s[78:79]
	s_cbranch_execz .LBB4_3617
.LBB4_3613:                             ;   Parent Loop BB4_49 Depth=1
                                        ; =>  This Inner Loop Header: Depth=2
	s_add_i32 s30, s30, 1
	s_cmpk_lg_i32 s30, 0x2710
	s_cselect_b64 s[92:93], -1, 0
	s_and_b64 vcc, exec, s[92:93]
	s_cbranch_vccz .LBB4_3615
; %bb.3614:                             ;   in Loop: Header=BB4_3613 Depth=2
	s_mov_b64 vcc, -1
	s_or_b64 s[90:91], s[90:91], exec
	s_and_saveexec_b64 s[94:95], s[92:93]
	s_cbranch_execz .LBB4_3612
	s_branch .LBB4_3616
.LBB4_3615:                             ;   in Loop: Header=BB4_3613 Depth=2
	s_trap 2
	ds_read_b64 v[0:1], v0
	s_andn2_b64 s[92:93], s[92:93], exec
	s_mov_b32 s30, 0
	s_waitcnt vmcnt(0) lgkmcnt(0)
	flat_load_dword v0, v[0:1] glc
	s_waitcnt vmcnt(0) lgkmcnt(0)
	buffer_wbinvl1_vol
	v_cmp_eq_u32_e32 vcc, 0, v0
	s_and_b64 s[94:95], vcc, exec
	s_or_b64 s[92:93], s[92:93], s[94:95]
	s_mov_b64 vcc, -1
	s_or_b64 s[90:91], s[90:91], exec
	s_and_saveexec_b64 s[94:95], s[92:93]
	s_cbranch_execz .LBB4_3612
.LBB4_3616:                             ;   in Loop: Header=BB4_3613 Depth=2
	s_sleep 1
	s_trap 2
	ds_read_b64 v[0:1], v0
	s_waitcnt lgkmcnt(0)
	buffer_load_dword v2, off, s[0:3], s33 offset:80 ; 4-byte Folded Reload
	buffer_load_dword v3, off, s[0:3], s33 offset:84 ; 4-byte Folded Reload
	s_andn2_b64 s[90:91], s[90:91], exec
	s_waitcnt vmcnt(0)
	v_cmp_ge_u64_e32 vcc, v[0:1], v[2:3]
	s_orn2_b64 vcc, vcc, exec
	s_branch .LBB4_3612
.LBB4_3617:                             ;   in Loop: Header=BB4_49 Depth=1
	s_or_b64 exec, exec, s[78:79]
	s_and_saveexec_b64 s[78:79], s[88:89]
	s_xor_b64 s[78:79], exec, s[78:79]
	s_cbranch_execz .LBB4_3619
; %bb.3618:                             ;   in Loop: Header=BB4_49 Depth=1
	ds_write_b32 v0, v7
	s_trap 2
.LBB4_3619:                             ;   in Loop: Header=BB4_49 Depth=1
	s_or_b64 exec, exec, s[76:77]
	;;#ASMSTART
	s_wakeup
	;;#ASMEND
.LBB4_3620:                             ;   in Loop: Header=BB4_49 Depth=1
	s_or_b64 exec, exec, s[74:75]
.LBB4_3621:                             ;   in Loop: Header=BB4_49 Depth=1
	s_andn2_saveexec_b64 s[72:73], s[72:73]
	s_cbranch_execz .LBB4_3623
; %bb.3622:                             ;   in Loop: Header=BB4_49 Depth=1
	s_waitcnt vmcnt(0) lgkmcnt(0)
	buffer_wbinvl1_vol
	s_barrier
.LBB4_3623:                             ;   in Loop: Header=BB4_49 Depth=1
	s_or_b64 exec, exec, s[72:73]
.LBB4_3624:                             ;   in Loop: Header=BB4_49 Depth=1
	s_or_b64 exec, exec, s[20:21]
	s_trap 2
	ds_read_b32 v1, v0
	buffer_load_dword v0, off, s[0:3], s33 offset:76 ; 4-byte Folded Reload
	v_cmp_lt_i32_e32 vcc, 0, v10
	s_waitcnt lgkmcnt(0)
	v_readfirstlane_b32 s20, v1
	s_cmp_eq_u32 s20, 0
	s_cselect_b64 s[20:21], -1, 0
	s_and_b64 s[20:21], vcc, s[20:21]
	s_waitcnt vmcnt(0)
	v_and_b32_e32 v0, 16, v0
	v_cmp_ne_u32_e32 vcc, 0, v0
	s_and_b64 s[72:73], vcc, s[20:21]
	s_and_saveexec_b64 s[20:21], s[72:73]
	s_cbranch_execz .LBB4_3626
; %bb.3625:                             ;   in Loop: Header=BB4_49 Depth=1
	buffer_wbinvl1_vol
.LBB4_3626:                             ;   in Loop: Header=BB4_49 Depth=1
	s_or_b64 exec, exec, s[20:21]
	v_cmp_ne_u32_e32 vcc, 0, v0
	s_xor_b64 s[20:21], s[18:19], -1
	s_and_b64 s[72:73], vcc, s[20:21]
	s_and_saveexec_b64 s[20:21], s[72:73]
	s_cbranch_execz .LBB4_3628
; %bb.3627:                             ;   in Loop: Header=BB4_49 Depth=1
	buffer_load_dword v0, off, s[0:3], s33 offset:316 ; 4-byte Folded Reload
	buffer_load_dword v1, off, s[0:3], s33 offset:320 ; 4-byte Folded Reload
	s_waitcnt vmcnt(0)
	flat_store_dword v[0:1], v7
.LBB4_3628:                             ;   in Loop: Header=BB4_49 Depth=1
	s_or_b64 exec, exec, s[20:21]
	buffer_load_dword v0, off, s[0:3], s33 offset:76 ; 4-byte Folded Reload
	s_waitcnt vmcnt(0)
	v_and_b32_e32 v0, 48, v0
	v_cmp_ne_u32_e32 vcc, 0, v0
	s_and_saveexec_b64 s[20:21], vcc
	s_cbranch_execz .LBB4_47
; %bb.3629:                             ;   in Loop: Header=BB4_49 Depth=1
	buffer_load_dword v0, off, s[0:3], s33 offset:88 ; 4-byte Folded Reload
	buffer_load_dword v1, off, s[0:3], s33 offset:92 ; 4-byte Folded Reload
	;; [unrolled: 1-line block ×4, first 2 shown]
	s_waitcnt vmcnt(0)
	v_add_co_u32_e32 v2, vcc, 1, v2
	v_addc_co_u32_e32 v3, vcc, 0, v3, vcc
	buffer_store_dword v0, off, s[0:3], s33 offset:88 ; 4-byte Folded Spill
	s_nop 0
	buffer_store_dword v1, off, s[0:3], s33 offset:92 ; 4-byte Folded Spill
	buffer_store_dword v2, off, s[0:3], s33 offset:96 ; 4-byte Folded Spill
	;; [unrolled: 1-line block ×3, first 2 shown]
	buffer_load_dword v0, off, s[0:3], s33 offset:60 ; 4-byte Folded Reload
	s_nop 0
	buffer_load_dword v1, off, s[0:3], s33 offset:64 ; 4-byte Folded Reload
	s_waitcnt vmcnt(0)
	flat_store_dwordx2 v[0:1], v[2:3]
	s_branch .LBB4_47
.LBB4_3630:
	s_or_b64 exec, exec, s[44:45]
	buffer_load_dword v18, off, s[0:3], s33 offset:344 ; 4-byte Folded Reload
	buffer_load_dword v34, off, s[0:3], s33 offset:88 ; 4-byte Folded Reload
	;; [unrolled: 1-line block ×5, first 2 shown]
.LBB4_3631:
	s_or_b64 exec, exec, s[40:41]
                                        ; implicit-def: $vgpr0_vgpr1
                                        ; kill: killed $vgpr0_vgpr1
                                        ; implicit-def: $vgpr0_vgpr1
	buffer_store_dword v0, off, s[0:3], s33 offset:104 ; 4-byte Folded Spill
	s_nop 0
	buffer_store_dword v1, off, s[0:3], s33 offset:108 ; 4-byte Folded Spill
	buffer_store_dword v2, off, s[0:3], s33 offset:112 ; 4-byte Folded Spill
	s_waitcnt vmcnt(0)
	buffer_store_dword v3, off, s[0:3], s33 offset:116 ; 4-byte Folded Spill
                                        ; implicit-def: $vgpr0
                                        ; kill: killed $vgpr0
                                        ; implicit-def: $vgpr0_vgpr1
                                        ; kill: killed $vgpr0_vgpr1
                                        ; implicit-def: $vgpr0_vgpr1
                                        ; kill: killed $vgpr0_vgpr1
	;; [unrolled: 2-line block ×3, first 2 shown]
                                        ; implicit-def: $vgpr0
                                        ; kill: killed $vgpr0
                                        ; implicit-def: $vgpr0
                                        ; implicit-def: $vgpr1
	buffer_store_dword v1, off, s[0:3], s33 offset:248 ; 4-byte Folded Spill
	s_nop 0
	buffer_store_dword v2, off, s[0:3], s33 offset:252 ; 4-byte Folded Spill
.LBB4_3632:
	s_andn2_saveexec_b64 s[22:23], s[28:29]
	s_cbranch_execz .LBB4_7212
; %bb.3633:
	v_mov_b32_e32 v1, 0
	v_mov_b32_e32 v2, 0
	buffer_store_dword v1, off, s[0:3], s33 offset:80 ; 4-byte Folded Spill
	s_nop 0
	buffer_store_dword v2, off, s[0:3], s33 offset:84 ; 4-byte Folded Spill
	buffer_load_dword v1, off, s[0:3], s33 offset:104 ; 4-byte Folded Reload
	s_nop 0
	buffer_load_dword v2, off, s[0:3], s33 offset:108 ; 4-byte Folded Reload
	buffer_load_dword v3, off, s[0:3], s33 offset:112 ; 4-byte Folded Reload
	;; [unrolled: 1-line block ×3, first 2 shown]
	s_waitcnt vmcnt(0)
	v_cmp_ne_u64_e32 vcc, 0, v[1:2]
	s_and_saveexec_b64 s[28:29], vcc
	s_cbranch_execz .LBB4_7211
; %bb.3634:
	buffer_store_dword v34, off, s[0:3], s33 offset:88 ; 4-byte Folded Spill
	s_nop 0
	buffer_store_dword v35, off, s[0:3], s33 offset:92 ; 4-byte Folded Spill
	buffer_store_dword v36, off, s[0:3], s33 offset:96 ; 4-byte Folded Spill
	;; [unrolled: 1-line block ×3, first 2 shown]
	buffer_load_dword v2, off, s[0:3], s33 offset:268 ; 4-byte Folded Reload
	s_trap 2
	buffer_load_dword v1, off, s[0:3], s33 offset:340 ; 4-byte Folded Reload
	v_lshrrev_b32_e32 v46, 6, v18
	s_ashr_i32 s6, s48, 31
	s_lshr_b32 s6, s6, 24
	s_add_i32 s6, s48, s6
	s_ashr_i32 s38, s6, 8
	v_cmp_eq_u32_e32 vcc, 64, v18
	v_mov_b32_e32 v36, 0
	s_mov_b32 s60, -1
	v_cmp_ne_u32_e64 s[10:11], 64, v18
	v_mov_b32_e32 v35, 0
	v_lshlrev_b32_e32 v47, 10, v46
	v_and_b32_e32 v56, 0x3fc0, v18
	s_mov_b64 s[42:43], 0
	v_mov_b32_e32 v37, 0
	s_xor_b64 s[44:45], vcc, -1
	s_movk_i32 s39, 0x7f
	s_movk_i32 s49, 0xff
	;; [unrolled: 1-line block ×3, first 2 shown]
	s_mov_b64 s[46:47], 0x7f800000
	s_mov_b64 s[56:57], 0x43e00001
	s_movk_i32 s51, 0x7a
	s_mov_b64 s[58:59], 0xffffff
	s_mov_b32 s61, 0xffffff
	s_movk_i32 s52, 0xffc0
	s_mov_b32 s53, 0x3ffffc00
	v_bfrev_b32_e32 v58, 60
	v_mov_b32_e32 v59, 0x78
	v_mov_b32_e32 v60, 0xffffff82
	s_waitcnt vmcnt(0)
	v_cmp_ge_u32_e64 s[6:7], v2, v18
	v_cmp_ne_u32_sdwa s[40:41], v18, v1 src0_sel:DWORD src1_sel:WORD_0
	buffer_load_dword v1, off, s[0:3], s33 offset:324 ; 4-byte Folded Reload
	s_waitcnt vmcnt(0)
	v_and_b32_e32 v1, 63, v1
	v_cmp_eq_u32_e64 s[12:13], 0, v1
	v_and_b32_e32 v1, 63, v2
	v_cmp_le_u32_e64 s[14:15], v1, v0
	v_lshrrev_b32_e32 v0, 6, v2
	buffer_store_dword v0, off, s[0:3], s33 offset:152 ; 4-byte Folded Spill
	v_lshlrev_b32_e32 v0, 11, v0
	v_lshl_or_b32 v0, v1, 4, v0
	buffer_store_dword v0, off, s[0:3], s33 offset:184 ; 4-byte Folded Spill
	v_lshlrev_b32_e32 v0, 11, v46
	v_cmp_eq_u32_e64 s[16:17], 0, v1
	buffer_store_dword v1, off, s[0:3], s33 offset:176 ; 4-byte Folded Spill
	buffer_store_dword v0, off, s[0:3], s33 offset:128 ; 4-byte Folded Spill
	v_mov_b32_e32 v0, 0
	v_mov_b32_e32 v1, 0
	buffer_store_dword v0, off, s[0:3], s33 offset:80 ; 4-byte Folded Spill
	s_nop 0
	buffer_store_dword v1, off, s[0:3], s33 offset:84 ; 4-byte Folded Spill
	buffer_load_dword v0, off, s[0:3], s33 offset:104 ; 4-byte Folded Reload
	s_nop 0
	buffer_load_dword v1, off, s[0:3], s33 offset:108 ; 4-byte Folded Reload
	buffer_load_dword v2, off, s[0:3], s33 offset:112 ; 4-byte Folded Reload
	;; [unrolled: 1-line block ×5, first 2 shown]
	s_nop 0
	buffer_store_dword v46, off, s[0:3], s33 offset:120 ; 4-byte Folded Spill
	buffer_store_dword v47, off, s[0:3], s33 offset:148 ; 4-byte Folded Spill
	;; [unrolled: 1-line block ×3, first 2 shown]
	s_branch .LBB4_3637
.LBB4_3635:                             ;   in Loop: Header=BB4_3637 Depth=1
	s_or_b64 exec, exec, s[18:19]
.LBB4_3636:                             ;   in Loop: Header=BB4_3637 Depth=1
	s_or_b64 exec, exec, s[20:21]
	buffer_load_dword v4, off, s[0:3], s33 offset:248 ; 4-byte Folded Reload
	buffer_load_dword v5, off, s[0:3], s33 offset:252 ; 4-byte Folded Reload
	;; [unrolled: 1-line block ×6, first 2 shown]
	s_waitcnt vmcnt(0)
	v_add_co_u32_e32 v36, vcc, v36, v4
	v_addc_co_u32_e32 v37, vcc, 0, v37, vcc
	v_cmp_ge_u64_e32 vcc, v[36:37], v[0:1]
	s_or_b64 s[42:43], vcc, s[42:43]
	s_andn2_b64 exec, exec, s[42:43]
	s_cbranch_execz .LBB4_7210
.LBB4_3637:                             ; =>This Loop Header: Depth=1
                                        ;     Child Loop BB4_3645 Depth 2
                                        ;     Child Loop BB4_3670 Depth 2
	;; [unrolled: 1-line block ×10, first 2 shown]
	s_waitcnt vmcnt(0)
	v_sub_co_u32_e32 v0, vcc, v0, v36
	v_subb_co_u32_e32 v1, vcc, v1, v37, vcc
	v_cmp_lt_u64_e32 vcc, v[4:5], v[0:1]
	v_cndmask_b32_e64 v39, v1, 0, vcc
	v_cndmask_b32_e32 v38, v0, v4, vcc
	v_cmp_eq_u64_e32 vcc, 0, v[38:39]
	v_add_u32_e32 v0, 15, v38
	v_and_b32_e32 v0, 0x7ffffff0, v0
	s_or_b64 s[62:63], s[6:7], vcc
	v_max_i32_e32 v57, s38, v0
	s_xor_b64 s[18:19], s[62:63], -1
	v_mov_b32_e32 v0, v35
	s_and_saveexec_b64 s[72:73], s[18:19]
	s_cbranch_execz .LBB4_7164
; %bb.3638:                             ;   in Loop: Header=BB4_3637 Depth=1
	s_and_saveexec_b64 s[18:19], s[4:5]
	s_cbranch_execz .LBB4_3640
; %bb.3639:                             ;   in Loop: Header=BB4_3637 Depth=1
	s_trap 2
	ds_read2_b64 v[0:3], v0 offset1:1
	buffer_load_dword v4, off, s[0:3], s33 offset:284 ; 4-byte Folded Reload
	buffer_load_dword v5, off, s[0:3], s33 offset:288 ; 4-byte Folded Reload
	s_waitcnt vmcnt(0)
	v_add_co_u32_e32 v6, vcc, v36, v4
	v_addc_co_u32_e32 v7, vcc, v37, v5, vcc
	s_waitcnt lgkmcnt(0)
	ds_read_b64 v[4:5], v0
	v_add_co_u32_e32 v0, vcc, v0, v6
	v_addc_co_u32_e32 v1, vcc, v1, v7, vcc
	ds_write_b64 v0, v[0:1]
	v_add_co_u32_e32 v0, vcc, v2, v6
	v_addc_co_u32_e32 v1, vcc, v3, v7, vcc
	ds_write_b64 v0, v[0:1]
	s_waitcnt lgkmcnt(2)
	v_add_co_u32_e32 v0, vcc, v4, v6
	v_addc_co_u32_e32 v1, vcc, v5, v7, vcc
	v_cmp_ne_u64_e32 vcc, 0, v[4:5]
	v_cndmask_b32_e32 v1, 0, v1, vcc
	v_cndmask_b32_e32 v0, 0, v0, vcc
	ds_write_b64 v0, v[0:1]
.LBB4_3640:                             ;   in Loop: Header=BB4_3637 Depth=1
	s_or_b64 exec, exec, s[18:19]
	buffer_load_dword v0, off, s[0:3], s33 offset:76 ; 4-byte Folded Reload
	s_waitcnt vmcnt(0)
	v_and_b32_e32 v0, 4, v0
	v_cmp_ne_u32_e32 vcc, 0, v0
	s_and_saveexec_b64 s[20:21], vcc
	s_cbranch_execz .LBB4_3662
; %bb.3641:                             ;   in Loop: Header=BB4_3637 Depth=1
	buffer_load_dword v0, off, s[0:3], s33 offset:88 ; 4-byte Folded Reload
	buffer_load_dword v1, off, s[0:3], s33 offset:92 ; 4-byte Folded Reload
	;; [unrolled: 1-line block ×6, first 2 shown]
	s_waitcnt vmcnt(0)
	v_add_co_u32_e32 v10, vcc, 1, v2
	v_addc_co_u32_e32 v11, vcc, 0, v3, vcc
	v_cmp_lt_u64_e32 vcc, v[0:1], v[10:11]
	s_and_saveexec_b64 s[74:75], vcc
	s_cbranch_execz .LBB4_3653
; %bb.3642:                             ;   in Loop: Header=BB4_3637 Depth=1
	buffer_load_dword v0, off, s[0:3], s33 offset:76 ; 4-byte Folded Reload
	s_mov_b32 s54, 0
	s_mov_b64 s[76:77], 0
                                        ; implicit-def: $sgpr78_sgpr79
                                        ; implicit-def: $sgpr88_sgpr89
                                        ; implicit-def: $sgpr90_sgpr91
	s_waitcnt vmcnt(0)
	v_and_b32_e32 v0, 64, v0
	v_cmp_eq_u32_e32 vcc, 0, v0
	s_branch .LBB4_3645
.LBB4_3643:                             ;   in Loop: Header=BB4_3645 Depth=2
	s_or_b64 exec, exec, s[36:37]
	s_andn2_b64 s[18:19], s[90:91], exec
	s_and_b64 s[90:91], s[30:31], exec
	s_or_b64 s[90:91], s[18:19], s[90:91]
	s_andn2_b64 s[18:19], s[88:89], exec
	s_and_b64 s[88:89], s[94:95], exec
	s_or_b64 s[88:89], s[18:19], s[88:89]
.LBB4_3644:                             ;   in Loop: Header=BB4_3645 Depth=2
	s_or_b64 exec, exec, s[92:93]
	s_and_b64 s[18:19], exec, s[88:89]
	s_or_b64 s[76:77], s[18:19], s[76:77]
	s_andn2_b64 s[18:19], s[78:79], exec
	s_and_b64 s[78:79], s[90:91], exec
	s_or_b64 s[78:79], s[18:19], s[78:79]
	s_andn2_b64 exec, exec, s[76:77]
	s_cbranch_execz .LBB4_3650
.LBB4_3645:                             ;   Parent Loop BB4_3637 Depth=1
                                        ; =>  This Inner Loop Header: Depth=2
	s_sleep 1
	buffer_load_dword v0, off, s[0:3], s33 offset:60 ; 4-byte Folded Reload
	buffer_load_dword v1, off, s[0:3], s33 offset:64 ; 4-byte Folded Reload
	s_or_b64 s[90:91], s[90:91], exec
	s_or_b64 s[88:89], s[88:89], exec
	s_waitcnt vmcnt(0)
	flat_load_dwordx2 v[0:1], v[0:1] glc
	s_waitcnt vmcnt(0) lgkmcnt(0)
	buffer_store_dword v0, off, s[0:3], s33 offset:68 ; 4-byte Folded Spill
	s_nop 0
	buffer_store_dword v1, off, s[0:3], s33 offset:72 ; 4-byte Folded Spill
                                        ; implicit-def: $vgpr0
	s_and_saveexec_b64 s[92:93], vcc
	s_cbranch_execz .LBB4_3644
; %bb.3646:                             ;   in Loop: Header=BB4_3645 Depth=2
	s_cmpk_lt_i32 s54, 0x270f
	s_cselect_b64 s[34:35], -1, 0
	s_cmpk_gt_i32 s54, 0x270e
	s_mov_b64 s[94:95], -1
	s_cbranch_scc0 .LBB4_3648
; %bb.3647:                             ;   in Loop: Header=BB4_3645 Depth=2
	s_trap 2
	ds_read_b64 v[0:1], v0
	s_andn2_b64 s[34:35], s[34:35], exec
	s_mov_b32 s54, 0
	s_mov_b64 s[30:31], 0
	s_waitcnt vmcnt(0) lgkmcnt(0)
	flat_load_dword v0, v[0:1] glc
	s_waitcnt vmcnt(0) lgkmcnt(0)
	buffer_wbinvl1_vol
	v_cmp_eq_u32_e64 s[18:19], 0, v0
	s_and_b64 s[18:19], s[18:19], exec
	s_or_b64 s[34:35], s[34:35], s[18:19]
	s_and_saveexec_b64 s[36:37], s[34:35]
	s_cbranch_execz .LBB4_3643
	s_branch .LBB4_3649
.LBB4_3648:                             ;   in Loop: Header=BB4_3645 Depth=2
	s_add_i32 s54, s54, 1
	s_mov_b64 s[30:31], -1
                                        ; implicit-def: $vgpr0
	s_and_saveexec_b64 s[36:37], s[34:35]
	s_cbranch_execz .LBB4_3643
.LBB4_3649:                             ;   in Loop: Header=BB4_3645 Depth=2
	buffer_load_dword v1, off, s[0:3], s33 offset:68 ; 4-byte Folded Reload
	buffer_load_dword v2, off, s[0:3], s33 offset:72 ; 4-byte Folded Reload
	s_or_b64 s[30:31], s[30:31], exec
	s_waitcnt vmcnt(0)
	v_cmp_ge_u64_e64 s[18:19], v[1:2], v[10:11]
	s_orn2_b64 s[94:95], s[18:19], exec
	s_branch .LBB4_3643
.LBB4_3650:                             ;   in Loop: Header=BB4_3637 Depth=1
	s_or_b64 exec, exec, s[76:77]
	s_xor_b64 s[18:19], s[78:79], -1
	s_and_saveexec_b64 s[76:77], s[18:19]
	s_xor_b64 s[18:19], exec, s[76:77]
	s_cbranch_execz .LBB4_3652
; %bb.3651:                             ;   in Loop: Header=BB4_3637 Depth=1
	ds_write_b32 v0, v0
	s_trap 2
	buffer_load_dword v0, off, s[0:3], s33 offset:76 ; 4-byte Folded Reload
	s_waitcnt vmcnt(0)
	v_or_b32_e32 v0, 64, v0
	buffer_store_dword v0, off, s[0:3], s33 offset:76 ; 4-byte Folded Spill
.LBB4_3652:                             ;   in Loop: Header=BB4_3637 Depth=1
	s_or_b64 exec, exec, s[18:19]
.LBB4_3653:                             ;   in Loop: Header=BB4_3637 Depth=1
	s_or_b64 exec, exec, s[74:75]
	;;#ASMSTART
	s_wakeup
	;;#ASMEND
	buffer_load_dword v0, off, s[0:3], s33 offset:76 ; 4-byte Folded Reload
	s_mov_b64 s[18:19], -1
                                        ; implicit-def: $vgpr8_vgpr9
	s_waitcnt vmcnt(0)
	v_and_b32_e32 v0, 0x100, v0
	v_cmp_ne_u32_e32 vcc, 0, v0
	buffer_load_dword v0, off, s[0:3], s33 offset:88 ; 4-byte Folded Reload
	buffer_load_dword v1, off, s[0:3], s33 offset:92 ; 4-byte Folded Reload
	;; [unrolled: 1-line block ×4, first 2 shown]
	s_waitcnt vmcnt(0)
	v_and_b32_e32 v0, 7, v2
	s_and_saveexec_b64 s[74:75], vcc
	s_cbranch_execz .LBB4_3657
; %bb.3654:                             ;   in Loop: Header=BB4_3637 Depth=1
	buffer_load_dword v1, off, s[0:3], s33 offset:88 ; 4-byte Folded Reload
	buffer_load_dword v2, off, s[0:3], s33 offset:92 ; 4-byte Folded Reload
	;; [unrolled: 1-line block ×4, first 2 shown]
                                        ; implicit-def: $vgpr8_vgpr9
	s_waitcnt vmcnt(0)
	v_mad_u64_u32 v[12:13], s[18:19], v0, 24, v[1:2]
	flat_load_dword v1, v[12:13]
	s_waitcnt vmcnt(0) lgkmcnt(0)
	v_cmp_ne_u32_e32 vcc, 1, v1
	v_cmp_eq_u32_e64 s[18:19], 1, v1
	s_and_saveexec_b64 s[76:77], s[18:19]
	s_cbranch_execz .LBB4_3656
; %bb.3655:                             ;   in Loop: Header=BB4_3637 Depth=1
	flat_load_dword v8, v[12:13] offset:4 glc
	s_waitcnt vmcnt(0) lgkmcnt(0)
	v_ashrrev_i32_e32 v9, 31, v8
.LBB4_3656:                             ;   in Loop: Header=BB4_3637 Depth=1
	s_or_b64 exec, exec, s[76:77]
	s_orn2_b64 s[18:19], vcc, exec
.LBB4_3657:                             ;   in Loop: Header=BB4_3637 Depth=1
	s_or_b64 exec, exec, s[74:75]
	s_and_saveexec_b64 s[74:75], s[18:19]
	s_cbranch_execz .LBB4_3659
; %bb.3658:                             ;   in Loop: Header=BB4_3637 Depth=1
	buffer_load_dword v1, off, s[0:3], s33 offset:312 ; 4-byte Folded Reload
	s_waitcnt vmcnt(0)
	v_mad_i64_i32 v[8:9], s[18:19], v0, v1, 0
.LBB4_3659:                             ;   in Loop: Header=BB4_3637 Depth=1
	s_or_b64 exec, exec, s[74:75]
	buffer_load_dword v0, off, s[0:3], s33 offset:260 ; 4-byte Folded Reload
	buffer_load_dword v1, off, s[0:3], s33 offset:264 ; 4-byte Folded Reload
	s_waitcnt vmcnt(0)
	v_add_co_u32_e32 v0, vcc, v0, v8
	v_addc_co_u32_e32 v1, vcc, v1, v9, vcc
	ds_write_b64 v0, v[0:1] offset:728
	buffer_load_dword v0, off, s[0:3], s33 offset:76 ; 4-byte Folded Reload
	s_waitcnt vmcnt(0)
	v_and_b32_e32 v0, 0x2000, v0
	v_cmp_ne_u32_e32 vcc, 0, v0
	s_and_saveexec_b64 s[18:19], vcc
	s_cbranch_execz .LBB4_3661
; %bb.3660:                             ;   in Loop: Header=BB4_3637 Depth=1
	ds_read_b64 v[0:1], v0 offset:872
	s_waitcnt lgkmcnt(0)
	v_add_co_u32_e32 v0, vcc, 1, v0
	v_addc_co_u32_e32 v1, vcc, 0, v1, vcc
	ds_write_b64 v0, v[0:1] offset:872
.LBB4_3661:                             ;   in Loop: Header=BB4_3637 Depth=1
	s_or_b64 exec, exec, s[18:19]
	buffer_load_dword v0, off, s[0:3], s33 offset:88 ; 4-byte Folded Reload
	buffer_load_dword v1, off, s[0:3], s33 offset:92 ; 4-byte Folded Reload
	;; [unrolled: 1-line block ×4, first 2 shown]
	s_waitcnt vmcnt(0)
	v_mov_b32_e32 v2, v10
	v_mov_b32_e32 v3, v11
	buffer_store_dword v0, off, s[0:3], s33 offset:88 ; 4-byte Folded Spill
	s_nop 0
	buffer_store_dword v1, off, s[0:3], s33 offset:92 ; 4-byte Folded Spill
	buffer_store_dword v2, off, s[0:3], s33 offset:96 ; 4-byte Folded Spill
	;; [unrolled: 1-line block ×3, first 2 shown]
.LBB4_3662:                             ;   in Loop: Header=BB4_3637 Depth=1
	s_or_b64 exec, exec, s[20:21]
	s_and_saveexec_b64 s[18:19], s[10:11]
	s_cbranch_execz .LBB4_3681
; %bb.3663:                             ;   in Loop: Header=BB4_3637 Depth=1
	s_and_saveexec_b64 s[20:21], s[40:41]
	s_xor_b64 s[20:21], exec, s[20:21]
	s_cbranch_execz .LBB4_3678
; %bb.3664:                             ;   in Loop: Header=BB4_3637 Depth=1
	s_and_saveexec_b64 s[74:75], s[12:13]
	s_cbranch_execz .LBB4_3677
; %bb.3665:                             ;   in Loop: Header=BB4_3637 Depth=1
	s_mov_b64 s[78:79], exec
	v_mbcnt_lo_u32_b32 v0, s78, 0
	v_mbcnt_hi_u32_b32 v0, s79, v0
	v_cmp_eq_u32_e32 vcc, 0, v0
	s_waitcnt vmcnt(0) lgkmcnt(0)
	buffer_wbinvl1_vol
	s_and_saveexec_b64 s[76:77], vcc
	s_cbranch_execz .LBB4_3667
; %bb.3666:                             ;   in Loop: Header=BB4_3637 Depth=1
	s_bcnt1_i32_b64 s78, s[78:79]
	v_mov_b32_e32 v34, s78
	ds_add_u64 v0, v[34:35]
	s_trap 2
.LBB4_3667:                             ;   in Loop: Header=BB4_3637 Depth=1
	s_or_b64 exec, exec, s[76:77]
	s_trap 2
	ds_read_b64 v[0:1], v0
	s_waitcnt lgkmcnt(0)
	buffer_load_dword v2, off, s[0:3], s33 offset:80 ; 4-byte Folded Reload
	buffer_load_dword v3, off, s[0:3], s33 offset:84 ; 4-byte Folded Reload
	s_waitcnt vmcnt(1)
	v_add_co_u32_e32 v2, vcc, v2, v46
	s_waitcnt vmcnt(0)
	v_addc_co_u32_e32 v3, vcc, 0, v3, vcc
	buffer_store_dword v2, off, s[0:3], s33 offset:80 ; 4-byte Folded Spill
	s_nop 0
	buffer_store_dword v3, off, s[0:3], s33 offset:84 ; 4-byte Folded Spill
	v_cmp_lt_u64_e32 vcc, v[0:1], v[2:3]
	s_and_saveexec_b64 s[76:77], vcc
	s_cbranch_execz .LBB4_3676
; %bb.3668:                             ;   in Loop: Header=BB4_3637 Depth=1
	s_mov_b32 s30, 0
	s_mov_b64 s[78:79], 0
                                        ; implicit-def: $sgpr88_sgpr89
                                        ; implicit-def: $sgpr90_sgpr91
	s_branch .LBB4_3670
.LBB4_3669:                             ;   in Loop: Header=BB4_3670 Depth=2
	s_or_b64 exec, exec, s[94:95]
	s_and_b64 s[92:93], exec, vcc
	s_or_b64 s[78:79], s[92:93], s[78:79]
	s_andn2_b64 s[88:89], s[88:89], exec
	s_and_b64 s[92:93], s[90:91], exec
	s_or_b64 s[88:89], s[88:89], s[92:93]
	s_andn2_b64 exec, exec, s[78:79]
	s_cbranch_execz .LBB4_3674
.LBB4_3670:                             ;   Parent Loop BB4_3637 Depth=1
                                        ; =>  This Inner Loop Header: Depth=2
	s_add_i32 s30, s30, 1
	s_cmpk_lg_i32 s30, 0x2710
	s_cselect_b64 s[92:93], -1, 0
	s_and_b64 vcc, exec, s[92:93]
	s_cbranch_vccz .LBB4_3672
; %bb.3671:                             ;   in Loop: Header=BB4_3670 Depth=2
	s_mov_b64 vcc, -1
	s_or_b64 s[90:91], s[90:91], exec
	s_and_saveexec_b64 s[94:95], s[92:93]
	s_cbranch_execz .LBB4_3669
	s_branch .LBB4_3673
.LBB4_3672:                             ;   in Loop: Header=BB4_3670 Depth=2
	s_trap 2
	ds_read_b64 v[0:1], v0
	s_andn2_b64 s[92:93], s[92:93], exec
	s_mov_b32 s30, 0
	s_waitcnt vmcnt(0) lgkmcnt(0)
	flat_load_dword v0, v[0:1] glc
	s_waitcnt vmcnt(0) lgkmcnt(0)
	buffer_wbinvl1_vol
	v_cmp_eq_u32_e32 vcc, 0, v0
	s_and_b64 s[94:95], vcc, exec
	s_or_b64 s[92:93], s[92:93], s[94:95]
	s_mov_b64 vcc, -1
	s_or_b64 s[90:91], s[90:91], exec
	s_and_saveexec_b64 s[94:95], s[92:93]
	s_cbranch_execz .LBB4_3669
.LBB4_3673:                             ;   in Loop: Header=BB4_3670 Depth=2
	s_sleep 1
	s_trap 2
	ds_read_b64 v[0:1], v0
	s_waitcnt lgkmcnt(0)
	buffer_load_dword v2, off, s[0:3], s33 offset:80 ; 4-byte Folded Reload
	buffer_load_dword v3, off, s[0:3], s33 offset:84 ; 4-byte Folded Reload
	s_andn2_b64 s[90:91], s[90:91], exec
	s_waitcnt vmcnt(0)
	v_cmp_ge_u64_e32 vcc, v[0:1], v[2:3]
	s_orn2_b64 vcc, vcc, exec
	s_branch .LBB4_3669
.LBB4_3674:                             ;   in Loop: Header=BB4_3637 Depth=1
	s_or_b64 exec, exec, s[78:79]
	s_and_saveexec_b64 s[78:79], s[88:89]
	s_xor_b64 s[78:79], exec, s[78:79]
	s_cbranch_execz .LBB4_3676
; %bb.3675:                             ;   in Loop: Header=BB4_3637 Depth=1
	v_mov_b32_e32 v0, 1
	ds_write_b32 v0, v0
	s_trap 2
.LBB4_3676:                             ;   in Loop: Header=BB4_3637 Depth=1
	s_or_b64 exec, exec, s[76:77]
	;;#ASMSTART
	s_wakeup
	;;#ASMEND
.LBB4_3677:                             ;   in Loop: Header=BB4_3637 Depth=1
	s_or_b64 exec, exec, s[74:75]
.LBB4_3678:                             ;   in Loop: Header=BB4_3637 Depth=1
	s_andn2_saveexec_b64 s[20:21], s[20:21]
	s_cbranch_execz .LBB4_3680
; %bb.3679:                             ;   in Loop: Header=BB4_3637 Depth=1
	s_waitcnt vmcnt(0) lgkmcnt(0)
	buffer_wbinvl1_vol
	s_barrier
.LBB4_3680:                             ;   in Loop: Header=BB4_3637 Depth=1
	s_or_b64 exec, exec, s[20:21]
.LBB4_3681:                             ;   in Loop: Header=BB4_3637 Depth=1
	s_or_b64 exec, exec, s[18:19]
	s_trap 2
	buffer_load_dword v1, off, s[0:3], s33 offset:76 ; 4-byte Folded Reload
	ds_read_b32 v0, v0
	s_waitcnt vmcnt(0)
	v_and_b32_e32 v1, 0x4000, v1
	v_cmp_ne_u32_e32 vcc, 0, v1
	s_and_b64 s[20:21], s[44:45], vcc
	s_and_saveexec_b64 s[18:19], s[20:21]
	s_cbranch_execz .LBB4_3700
; %bb.3682:                             ;   in Loop: Header=BB4_3637 Depth=1
	s_and_saveexec_b64 s[20:21], s[40:41]
	s_xor_b64 s[20:21], exec, s[20:21]
	s_cbranch_execz .LBB4_3697
; %bb.3683:                             ;   in Loop: Header=BB4_3637 Depth=1
	s_and_saveexec_b64 s[74:75], s[12:13]
	s_cbranch_execz .LBB4_3696
; %bb.3684:                             ;   in Loop: Header=BB4_3637 Depth=1
	s_mov_b64 s[78:79], exec
	v_mbcnt_lo_u32_b32 v1, s78, 0
	v_mbcnt_hi_u32_b32 v1, s79, v1
	v_cmp_eq_u32_e32 vcc, 0, v1
	s_waitcnt lgkmcnt(0)
	buffer_wbinvl1_vol
	s_and_saveexec_b64 s[76:77], vcc
	s_cbranch_execz .LBB4_3686
; %bb.3685:                             ;   in Loop: Header=BB4_3637 Depth=1
	s_bcnt1_i32_b64 s78, s[78:79]
	v_mov_b32_e32 v34, s78
	ds_add_u64 v0, v[34:35]
	s_trap 2
.LBB4_3686:                             ;   in Loop: Header=BB4_3637 Depth=1
	s_or_b64 exec, exec, s[76:77]
	s_trap 2
	ds_read_b64 v[1:2], v0
	s_waitcnt lgkmcnt(0)
	buffer_load_dword v3, off, s[0:3], s33 offset:80 ; 4-byte Folded Reload
	buffer_load_dword v4, off, s[0:3], s33 offset:84 ; 4-byte Folded Reload
	s_waitcnt vmcnt(1)
	v_add_co_u32_e32 v3, vcc, v3, v46
	s_waitcnt vmcnt(0)
	v_addc_co_u32_e32 v4, vcc, 0, v4, vcc
	buffer_store_dword v3, off, s[0:3], s33 offset:80 ; 4-byte Folded Spill
	s_nop 0
	buffer_store_dword v4, off, s[0:3], s33 offset:84 ; 4-byte Folded Spill
	v_cmp_lt_u64_e32 vcc, v[1:2], v[3:4]
	s_and_saveexec_b64 s[76:77], vcc
	s_cbranch_execz .LBB4_3695
; %bb.3687:                             ;   in Loop: Header=BB4_3637 Depth=1
	s_mov_b32 s30, 0
	s_mov_b64 s[78:79], 0
                                        ; implicit-def: $sgpr88_sgpr89
                                        ; implicit-def: $sgpr90_sgpr91
	s_branch .LBB4_3689
.LBB4_3688:                             ;   in Loop: Header=BB4_3689 Depth=2
	s_or_b64 exec, exec, s[94:95]
	s_and_b64 s[92:93], exec, vcc
	s_or_b64 s[78:79], s[92:93], s[78:79]
	s_andn2_b64 s[88:89], s[88:89], exec
	s_and_b64 s[92:93], s[90:91], exec
	s_or_b64 s[88:89], s[88:89], s[92:93]
	s_andn2_b64 exec, exec, s[78:79]
	s_cbranch_execz .LBB4_3693
.LBB4_3689:                             ;   Parent Loop BB4_3637 Depth=1
                                        ; =>  This Inner Loop Header: Depth=2
	s_add_i32 s30, s30, 1
	s_cmpk_lg_i32 s30, 0x2710
	s_cselect_b64 s[92:93], -1, 0
	s_and_b64 vcc, exec, s[92:93]
	s_cbranch_vccz .LBB4_3691
; %bb.3690:                             ;   in Loop: Header=BB4_3689 Depth=2
	s_mov_b64 vcc, -1
	s_or_b64 s[90:91], s[90:91], exec
	s_and_saveexec_b64 s[94:95], s[92:93]
	s_cbranch_execz .LBB4_3688
	s_branch .LBB4_3692
.LBB4_3691:                             ;   in Loop: Header=BB4_3689 Depth=2
	s_trap 2
	ds_read_b64 v[1:2], v0
	s_andn2_b64 s[92:93], s[92:93], exec
	s_mov_b32 s30, 0
	s_waitcnt vmcnt(0) lgkmcnt(0)
	flat_load_dword v1, v[1:2] glc
	s_waitcnt vmcnt(0) lgkmcnt(0)
	buffer_wbinvl1_vol
	v_cmp_eq_u32_e32 vcc, 0, v1
	s_and_b64 s[94:95], vcc, exec
	s_or_b64 s[92:93], s[92:93], s[94:95]
	s_mov_b64 vcc, -1
	s_or_b64 s[90:91], s[90:91], exec
	s_and_saveexec_b64 s[94:95], s[92:93]
	s_cbranch_execz .LBB4_3688
.LBB4_3692:                             ;   in Loop: Header=BB4_3689 Depth=2
	s_sleep 1
	s_trap 2
	ds_read_b64 v[1:2], v0
	s_waitcnt lgkmcnt(0)
	buffer_load_dword v3, off, s[0:3], s33 offset:80 ; 4-byte Folded Reload
	buffer_load_dword v4, off, s[0:3], s33 offset:84 ; 4-byte Folded Reload
	s_andn2_b64 s[90:91], s[90:91], exec
	s_waitcnt vmcnt(0)
	v_cmp_ge_u64_e32 vcc, v[1:2], v[3:4]
	s_orn2_b64 vcc, vcc, exec
	s_branch .LBB4_3688
.LBB4_3693:                             ;   in Loop: Header=BB4_3637 Depth=1
	s_or_b64 exec, exec, s[78:79]
	s_and_saveexec_b64 s[78:79], s[88:89]
	s_xor_b64 s[78:79], exec, s[78:79]
	s_cbranch_execz .LBB4_3695
; %bb.3694:                             ;   in Loop: Header=BB4_3637 Depth=1
	v_mov_b32_e32 v1, 1
	ds_write_b32 v0, v1
	s_trap 2
.LBB4_3695:                             ;   in Loop: Header=BB4_3637 Depth=1
	s_or_b64 exec, exec, s[76:77]
	;;#ASMSTART
	s_wakeup
	;;#ASMEND
.LBB4_3696:                             ;   in Loop: Header=BB4_3637 Depth=1
	s_or_b64 exec, exec, s[74:75]
.LBB4_3697:                             ;   in Loop: Header=BB4_3637 Depth=1
	s_andn2_saveexec_b64 s[20:21], s[20:21]
	s_cbranch_execz .LBB4_3699
; %bb.3698:                             ;   in Loop: Header=BB4_3637 Depth=1
	s_waitcnt vmcnt(0) lgkmcnt(0)
	buffer_wbinvl1_vol
	s_barrier
.LBB4_3699:                             ;   in Loop: Header=BB4_3637 Depth=1
	s_or_b64 exec, exec, s[20:21]
.LBB4_3700:                             ;   in Loop: Header=BB4_3637 Depth=1
	s_or_b64 exec, exec, s[18:19]
	s_trap 2
	s_waitcnt lgkmcnt(0)
	ds_read_b64 v[10:11], v0
	v_min_u32_e32 v57, v57, v38
	s_waitcnt lgkmcnt(0)
	v_cmp_eq_u64_e32 vcc, 0, v[10:11]
	s_cbranch_vccnz .LBB4_5318
; %bb.3701:                             ;   in Loop: Header=BB4_3637 Depth=1
	s_trap 2
	ds_read_b64 v[18:19], v0
	s_waitcnt lgkmcnt(0)
	v_cmp_eq_u64_e32 vcc, 0, v[18:19]
	s_cbranch_vccnz .LBB4_5318
; %bb.3702:                             ;   in Loop: Header=BB4_3637 Depth=1
	s_mov_b64 s[20:21], -1
	s_and_saveexec_b64 s[18:19], s[14:15]
	s_cbranch_execz .LBB4_3704
; %bb.3703:                             ;   in Loop: Header=BB4_3637 Depth=1
	ds_read_b32 v1, v0 offset:720
	s_waitcnt lgkmcnt(0)
	v_and_b32_e32 v1, 15, v1
	v_cmp_eq_u32_e32 vcc, 0, v1
	s_orn2_b64 s[20:21], vcc, exec
.LBB4_3704:                             ;   in Loop: Header=BB4_3637 Depth=1
	s_or_b64 exec, exec, s[18:19]
	s_and_saveexec_b64 s[18:19], s[16:17]
	s_cbranch_execz .LBB4_3706
; %bb.3705:                             ;   in Loop: Header=BB4_3637 Depth=1
	ds_read_b32 v1, v0 offset:784
	s_waitcnt lgkmcnt(0)
	v_and_b32_e32 v1, 15, v1
	v_cmp_eq_u32_e32 vcc, 0, v1
	s_and_b64 s[74:75], s[20:21], vcc
	s_andn2_b64 s[20:21], s[20:21], exec
	s_and_b64 s[74:75], s[74:75], exec
	s_or_b64 s[20:21], s[20:21], s[74:75]
.LBB4_3706:                             ;   in Loop: Header=BB4_3637 Depth=1
	s_or_b64 exec, exec, s[18:19]
	buffer_load_dword v3, off, s[0:3], s33 offset:268 ; 4-byte Folded Reload
	s_xor_b64 s[20:21], s[20:21], -1
	v_cmp_eq_u32_e32 vcc, 0, v0
	v_cndmask_b32_e64 v0, 0, 1, s[20:21]
	v_cndmask_b32_e32 v1, 0, v57, vcc
	s_mov_b64 s[18:19], -1
	v_cmp_ne_u32_e32 vcc, 0, v0
	v_mov_b32_e32 v0, 0
	buffer_store_dword v1, off, s[0:3], s33 offset:140 ; 4-byte Folded Spill
	s_cbranch_vccnz .LBB4_6135
; %bb.3707:                             ;   in Loop: Header=BB4_3637 Depth=1
	buffer_load_dword v0, off, s[0:3], s33 offset:140 ; 4-byte Folded Reload
	buffer_load_dword v1, off, s[0:3], s33 offset:152 ; 4-byte Folded Reload
	s_waitcnt vmcnt(3)
	v_mov_b32_e32 v3, 0x7f800001
	buffer_store_dword v57, off, s[0:3], s33 offset:144 ; 4-byte Folded Spill
	s_waitcnt vmcnt(2)
	v_lshrrev_b32_e32 v0, 11, v0
	s_waitcnt vmcnt(1)
	v_sub_u32_e32 v57, v0, v1
	v_cmp_lt_i32_e32 vcc, 0, v57
	s_and_saveexec_b64 s[20:21], vcc
	s_cbranch_execz .LBB4_5320
; %bb.3708:                             ;   in Loop: Header=BB4_3637 Depth=1
	s_trap 2
	buffer_load_dword v2, off, s[0:3], s33 offset:184 ; 4-byte Folded Reload
	ds_read_b64 v[0:1], v0
	s_waitcnt lgkmcnt(0)
	v_readfirstlane_b32 s18, v0
	s_and_b32 s19, s18, 7
	s_flbit_i32_b32 s19, s19
	s_min_u32 s19, s19, 32
	s_and_b32 s74, s18, 0x7f
	s_bfe_u32 s75, s18, 0x40003
	s_sub_i32 s76, s19, 28
	s_sub_i32 s19, 29, s19
	s_cmp_lt_u32 s74, 8
	s_cselect_b32 s76, s76, 0
	s_cselect_b32 s19, s19, s75
	s_lshl_b32 s75, s18, 24
	s_lshl_b32 s19, s19, 23
	s_and_b32 s75, s75, 0x80000000
	s_add_i32 s19, s19, 0x3c000000
	s_or_b32 s19, s75, s19
	s_cmpk_lg_i32 s74, 0x7f
	s_mov_b64 s[74:75], 0
	s_waitcnt vmcnt(0)
	v_add_co_u32_e32 v52, vcc, v10, v2
	buffer_store_dword v10, off, s[0:3], s33 offset:168 ; 4-byte Folded Spill
	s_nop 0
	buffer_store_dword v11, off, s[0:3], s33 offset:172 ; 4-byte Folded Spill
	v_addc_co_u32_e32 v53, vcc, 0, v11, vcc
	v_add_co_u32_e32 v54, vcc, v0, v2
	v_addc_co_u32_e32 v55, vcc, 0, v1, vcc
	v_add_co_u32_e32 v39, vcc, v18, v2
	buffer_store_dword v18, off, s[0:3], s33 offset:160 ; 4-byte Folded Spill
	s_nop 0
	buffer_store_dword v19, off, s[0:3], s33 offset:164 ; 4-byte Folded Spill
	v_lshlrev_b64 v[0:1], s76, v[0:1]
	v_lshlrev_b32_e32 v0, 20, v0
	v_and_b32_e32 v0, 0x700000, v0
	v_or_b32_e32 v0, s19, v0
	v_addc_co_u32_e32 v40, vcc, 0, v19, vcc
	s_cselect_b64 vcc, -1, 0
	v_cndmask_b32_e32 v0, v3, v0, vcc
	s_and_b32 s92, s18, 0xff
	buffer_store_dword v0, off, s[0:3], s33 offset:136 ; 4-byte Folded Spill
	s_branch .LBB4_3710
.LBB4_3709:                             ;   in Loop: Header=BB4_3710 Depth=2
	s_or_b64 exec, exec, s[18:19]
	v_lshl_or_b32 v3, v3, 8, v61
	v_lshlrev_b32_e32 v11, 16, v31
	v_lshlrev_b32_e32 v12, 24, v23
	v_or3_b32 v28, v3, v11, v12
	v_lshl_or_b32 v0, v4, 8, v0
	v_lshlrev_b32_e32 v3, 16, v8
	v_lshlrev_b32_e32 v4, 24, v27
	v_or3_b32 v27, v0, v3, v4
	;; [unrolled: 4-line block ×3, first 2 shown]
	v_lshlrev_b32_e32 v0, 24, v17
	v_lshlrev_b32_e32 v2, 16, v41
	v_lshl_or_b32 v3, v50, 8, v32
	v_or3_b32 v30, v3, v2, v0
	v_lshl_or_b32 v0, v24, 8, v7
	v_lshlrev_b32_e32 v2, 16, v16
	v_lshlrev_b32_e32 v3, 24, v49
	v_or3_b32 v3, v0, v2, v3
	v_lshl_or_b32 v0, v33, 8, v19
	v_lshlrev_b32_e32 v2, 16, v48
	v_lshlrev_b32_e32 v4, 24, v51
	;; [unrolled: 4-line block ×3, first 2 shown]
	v_or3_b32 v4, v0, v4, v5
	v_lshlrev_b32_e32 v0, 24, v10
	v_lshlrev_b32_e32 v5, 16, v14
	v_lshl_or_b32 v1, v6, 8, v1
	v_or3_b32 v5, v1, v5, v0
	global_store_dwordx4 v[39:40], v[27:30], off glc slc
	global_store_dwordx4 v[39:40], v[2:5], off offset:1024 glc slc
	buffer_load_dword v1, off, s[0:3], s33 offset:128 ; 4-byte Folded Reload
	buffer_load_dword v0, off, s[0:3], s33 offset:120 ; 4-byte Folded Reload
	s_waitcnt vmcnt(1)
	v_add_co_u32_e32 v52, vcc, v52, v1
	v_addc_co_u32_e32 v53, vcc, 0, v53, vcc
	v_add_co_u32_e32 v54, vcc, v54, v1
	v_addc_co_u32_e32 v55, vcc, 0, v55, vcc
	s_waitcnt vmcnt(0)
	v_sub_u32_e32 v57, v57, v0
	v_cmp_gt_i32_e32 vcc, 1, v57
	s_or_b64 s[74:75], vcc, s[74:75]
	v_add_co_u32_e32 v39, vcc, v39, v1
	v_addc_co_u32_e32 v40, vcc, 0, v40, vcc
	s_andn2_b64 exec, exec, s[74:75]
	s_cbranch_execz .LBB4_5319
.LBB4_3710:                             ;   Parent Loop BB4_3637 Depth=1
                                        ; =>  This Inner Loop Header: Depth=2
	s_cmpk_lt_i32 s92, 0x80
	s_cbranch_scc1 .LBB4_3714
; %bb.3711:                             ;   in Loop: Header=BB4_3710 Depth=2
	s_and_b32 s18, 0xffff, s92
	s_cmpk_eq_i32 s18, 0x80
	s_mov_b64 s[18:19], -1
	s_cbranch_scc0 .LBB4_3713
; %bb.3712:                             ;   in Loop: Header=BB4_3710 Depth=2
	s_mov_b64 s[18:19], 0
.LBB4_3713:                             ;   in Loop: Header=BB4_3710 Depth=2
	s_brev_b32 s78, 1
	s_branch .LBB4_3716
.LBB4_3714:                             ;   in Loop: Header=BB4_3710 Depth=2
	s_mov_b64 s[18:19], 0
	s_brev_b32 s78, 1
	s_cbranch_execz .LBB4_3716
; %bb.3715:                             ;   in Loop: Header=BB4_3710 Depth=2
	s_and_b32 s18, 0xffff, s92
	s_cmp_lg_u32 s18, 0
	s_mov_b32 s78, 0
	s_cselect_b64 s[18:19], -1, 0
.LBB4_3716:                             ;   in Loop: Header=BB4_3710 Depth=2
	s_andn2_b64 vcc, exec, s[18:19]
	v_mov_b32_e32 v3, s78
	s_cbranch_vccnz .LBB4_3718
; %bb.3717:                             ;   in Loop: Header=BB4_3710 Depth=2
	buffer_load_dword v3, off, s[0:3], s33 offset:136 ; 4-byte Folded Reload
.LBB4_3718:                             ;   in Loop: Header=BB4_3710 Depth=2
	global_load_dwordx4 v[10:13], v[52:53], off glc slc
	v_mov_b32_e32 v0, 0
	s_waitcnt vmcnt(0)
	v_cmp_ne_u16_sdwa s[76:77], v10, v35 src0_sel:BYTE_0 src1_sel:DWORD
	s_and_saveexec_b64 s[18:19], s[76:77]
	s_cbranch_execz .LBB4_3724
; %bb.3719:                             ;   in Loop: Header=BB4_3710 Depth=2
	v_cmp_ne_u16_sdwa s[78:79], v10, s50 src0_sel:BYTE_0 src1_sel:DWORD
	v_bfrev_b32_e32 v0, 1
	s_and_saveexec_b64 s[76:77], s[78:79]
	s_cbranch_execz .LBB4_3723
; %bb.3720:                             ;   in Loop: Header=BB4_3710 Depth=2
	v_and_b32_e32 v1, 0x7f, v10
	v_cmp_ne_u32_e32 vcc, s39, v1
	v_mov_b32_e32 v0, 0x7f800001
	s_and_saveexec_b64 s[78:79], vcc
	s_cbranch_execz .LBB4_3722
; %bb.3721:                             ;   in Loop: Header=BB4_3710 Depth=2
	v_and_b32_e32 v0, 7, v10
	v_ffbh_u32_e32 v0, v0
	v_min_u32_e32 v0, 32, v0
	v_lshrrev_b32_e32 v2, 3, v1
	v_cmp_gt_u32_e32 vcc, 8, v1
	v_subrev_u32_e32 v1, 28, v0
	v_sub_u32_e32 v0, 29, v0
	v_cndmask_b32_e32 v2, v2, v0, vcc
	v_cndmask_b32_e32 v0, 0, v1, vcc
	v_lshlrev_b64 v[0:1], v0, v[10:11]
	v_lshlrev_b32_e32 v1, 24, v10
	v_lshlrev_b32_e32 v0, 20, v0
	v_and_b32_e32 v0, 0x700000, v0
	v_and_b32_e32 v1, 0x80000000, v1
	v_lshl_add_u32 v2, v2, 23, v58
	v_or3_b32 v0, v1, v2, v0
.LBB4_3722:                             ;   in Loop: Header=BB4_3710 Depth=2
	s_or_b64 exec, exec, s[78:79]
.LBB4_3723:                             ;   in Loop: Header=BB4_3710 Depth=2
	s_or_b64 exec, exec, s[76:77]
.LBB4_3724:                             ;   in Loop: Header=BB4_3710 Depth=2
	s_or_b64 exec, exec, s[18:19]
	v_mul_f32_e32 v2, v3, v0
	v_and_b32_e32 v34, 0x7f800000, v2
	v_cmp_ne_u64_e32 vcc, s[46:47], v[34:35]
                                        ; implicit-def: $vgpr0
	s_and_saveexec_b64 s[18:19], vcc
	s_xor_b64 s[76:77], exec, s[18:19]
	s_cbranch_execz .LBB4_3738
; %bb.3725:                             ;   in Loop: Header=BB4_3710 Depth=2
	v_and_b32_e32 v34, 0x7fffffff, v2
	v_cmp_gt_u64_e32 vcc, s[56:57], v[34:35]
	v_and_b32_sdwa v1, v2, s50 dst_sel:DWORD dst_unused:UNUSED_PAD src0_sel:BYTE_3 src1_sel:DWORD
                                        ; implicit-def: $vgpr0
	s_and_saveexec_b64 s[18:19], vcc
	s_xor_b64 s[78:79], exec, s[18:19]
	s_cbranch_execz .LBB4_3735
; %bb.3726:                             ;   in Loop: Header=BB4_3710 Depth=2
	v_mov_b32_e32 v0, 0
	v_cmp_ne_u32_e32 vcc, 0, v2
	s_and_saveexec_b64 s[88:89], vcc
	s_cbranch_execz .LBB4_3734
; %bb.3727:                             ;   in Loop: Header=BB4_3710 Depth=2
	v_bfe_u32 v0, v2, 23, 8
	v_and_b32_e32 v4, 0x7fffff, v2
	v_cmp_gt_u32_e64 s[18:19], s51, v0
	v_sub_u32_e32 v2, 0x79, v0
	v_cmp_eq_u32_e32 vcc, 0, v0
	v_cndmask_b32_e64 v2, 0, v2, s[18:19]
	v_or_b32_e32 v5, 0x800000, v4
	v_cndmask_b32_e32 v2, v2, v59, vcc
	v_cndmask_b32_e32 v34, v5, v4, vcc
	v_add_u32_e32 v4, 20, v2
	v_lshlrev_b64 v[4:5], v4, -1
	v_add_u32_e32 v6, 19, v2
	v_lshlrev_b64 v[6:7], v6, 1
	v_lshrrev_b64 v[14:15], v2, v[34:35]
	v_bfi_b32 v5, v5, 0, 0
	v_bfi_b32 v4, v4, 0, v34
	v_cmp_eq_u64_e64 s[18:19], v[4:5], v[6:7]
	v_mov_b32_e32 v16, v15
	v_mov_b32_e32 v15, v14
	s_and_saveexec_b64 s[90:91], s[18:19]
; %bb.3728:                             ;   in Loop: Header=BB4_3710 Depth=2
	v_bfe_u32 v4, v14, 20, 1
	v_add_co_u32_e64 v4, s[18:19], v14, v4
	v_add_co_u32_e64 v15, s[18:19], -1, v4
; %bb.3729:                             ;   in Loop: Header=BB4_3710 Depth=2
	s_or_b64 exec, exec, s[90:91]
	v_add_u32_e32 v0, 0xffffff81, v0
	v_cndmask_b32_e32 v0, v0, v60, vcc
	v_lshrrev_b32_e32 v4, 23, v14
	v_add3_u32 v4, v2, v0, v4
	v_add_u32_e32 v2, 6, v4
	v_and_b32_e32 v0, 0xfffff, v15
	v_add_u32_e32 v34, v0, v14
	v_cmp_ne_u32_e32 vcc, 0, v2
                                        ; implicit-def: $vgpr14_vgpr15
                                        ; implicit-def: $vgpr0
	s_and_saveexec_b64 s[18:19], vcc
	s_xor_b64 s[18:19], exec, s[18:19]
; %bb.3730:                             ;   in Loop: Header=BB4_3710 Depth=2
	v_cmp_lt_u64_e32 vcc, s[58:59], v[34:35]
	v_add_u32_e32 v0, 7, v4
	v_cndmask_b32_e32 v0, v2, v0, vcc
	v_cndmask_b32_e64 v2, 0, 1, vcc
	v_lshrrev_b64 v[14:15], v2, v[34:35]
; %bb.3731:                             ;   in Loop: Header=BB4_3710 Depth=2
	s_andn2_saveexec_b64 s[18:19], s[18:19]
; %bb.3732:                             ;   in Loop: Header=BB4_3710 Depth=2
	v_mov_b32_e32 v14, v34
	v_bfe_u32 v0, v34, 23, 1
	v_mov_b32_e32 v15, v35
; %bb.3733:                             ;   in Loop: Header=BB4_3710 Depth=2
	s_or_b64 exec, exec, s[18:19]
	v_lshrrev_b64 v[4:5], 20, v[14:15]
	v_cmp_gt_i32_e32 vcc, 16, v0
	v_cndmask_b32_e32 v5, 0, v5, vcc
	v_cndmask_b32_e32 v4, 7, v4, vcc
	v_cmp_eq_u32_e32 vcc, 0, v0
	v_min_i32_e32 v0, 15, v0
	v_cmp_eq_u64_e64 s[18:19], 0, v[4:5]
	v_lshlrev_b32_e32 v0, 3, v0
	v_and_b32_e32 v0, 0xf8, v0
	v_and_or_b32 v0, v4, 7, v0
	s_and_b64 s[18:19], vcc, s[18:19]
	v_cndmask_b32_e64 v0, v0, 0, s[18:19]
	v_or_b32_e32 v0, v0, v1
.LBB4_3734:                             ;   in Loop: Header=BB4_3710 Depth=2
	s_or_b64 exec, exec, s[88:89]
                                        ; implicit-def: $vgpr1
.LBB4_3735:                             ;   in Loop: Header=BB4_3710 Depth=2
	s_andn2_saveexec_b64 s[18:19], s[78:79]
; %bb.3736:                             ;   in Loop: Header=BB4_3710 Depth=2
	v_or_b32_e32 v0, 0x7e, v1
; %bb.3737:                             ;   in Loop: Header=BB4_3710 Depth=2
	s_or_b64 exec, exec, s[18:19]
                                        ; implicit-def: $vgpr2
.LBB4_3738:                             ;   in Loop: Header=BB4_3710 Depth=2
	s_andn2_saveexec_b64 s[18:19], s[76:77]
; %bb.3739:                             ;   in Loop: Header=BB4_3710 Depth=2
	v_or_b32_sdwa v0, v2, s39 dst_sel:DWORD dst_unused:UNUSED_PAD src0_sel:BYTE_3 src1_sel:DWORD
; %bb.3740:                             ;   in Loop: Header=BB4_3710 Depth=2
	s_or_b64 exec, exec, s[18:19]
	v_lshrrev_b16_e32 v14, 8, v10
	v_cmp_ne_u16_e32 vcc, 0, v14
	v_mov_b32_e32 v1, 0
	s_and_saveexec_b64 s[18:19], vcc
	s_cbranch_execz .LBB4_3746
; %bb.3741:                             ;   in Loop: Header=BB4_3710 Depth=2
	v_cmp_ne_u16_e32 vcc, s50, v14
	v_bfrev_b32_e32 v1, 1
	s_and_saveexec_b64 s[76:77], vcc
	s_cbranch_execz .LBB4_3745
; %bb.3742:                             ;   in Loop: Header=BB4_3710 Depth=2
	v_and_b32_e32 v2, 0x7f, v14
	v_cmp_ne_u32_e32 vcc, s39, v2
	v_mov_b32_e32 v1, 0x7f800001
	s_and_saveexec_b64 s[78:79], vcc
	s_cbranch_execz .LBB4_3744
; %bb.3743:                             ;   in Loop: Header=BB4_3710 Depth=2
	v_and_b32_e32 v4, 7, v14
	v_ffbh_u32_e32 v1, v4
	v_min_u32_e32 v6, 32, v1
	v_subrev_u32_e32 v1, 28, v6
	v_lshrrev_b32_e32 v5, 3, v2
	v_cmp_gt_u32_e32 vcc, 8, v2
	v_lshlrev_b64 v[1:2], v1, v[14:15]
	v_sub_u32_e32 v2, 29, v6
	v_and_b32_e32 v1, 7, v1
	v_cndmask_b32_e32 v2, v5, v2, vcc
	v_cndmask_b32_e32 v1, v4, v1, vcc
	v_lshlrev_b32_e32 v4, 16, v10
	v_lshlrev_b32_e32 v1, 20, v1
	v_and_b32_e32 v4, 0x80000000, v4
	v_lshl_add_u32 v2, v2, 23, v58
	v_or3_b32 v1, v4, v2, v1
.LBB4_3744:                             ;   in Loop: Header=BB4_3710 Depth=2
	s_or_b64 exec, exec, s[78:79]
.LBB4_3745:                             ;   in Loop: Header=BB4_3710 Depth=2
	s_or_b64 exec, exec, s[76:77]
.LBB4_3746:                             ;   in Loop: Header=BB4_3710 Depth=2
	s_or_b64 exec, exec, s[18:19]
	v_mul_f32_e32 v2, v3, v1
	v_and_b32_e32 v34, 0x7f800000, v2
	v_cmp_ne_u64_e32 vcc, s[46:47], v[34:35]
                                        ; implicit-def: $vgpr4
	s_and_saveexec_b64 s[18:19], vcc
	s_xor_b64 s[76:77], exec, s[18:19]
	s_cbranch_execz .LBB4_3760
; %bb.3747:                             ;   in Loop: Header=BB4_3710 Depth=2
	v_and_b32_e32 v34, 0x7fffffff, v2
	v_cmp_gt_u64_e32 vcc, s[56:57], v[34:35]
	v_and_b32_sdwa v1, v2, s50 dst_sel:DWORD dst_unused:UNUSED_PAD src0_sel:BYTE_3 src1_sel:DWORD
                                        ; implicit-def: $vgpr4
	s_and_saveexec_b64 s[18:19], vcc
	s_xor_b64 s[78:79], exec, s[18:19]
	s_cbranch_execz .LBB4_3757
; %bb.3748:                             ;   in Loop: Header=BB4_3710 Depth=2
	v_mov_b32_e32 v4, 0
	v_cmp_ne_u32_e32 vcc, 0, v2
	s_and_saveexec_b64 s[88:89], vcc
	s_cbranch_execz .LBB4_3756
; %bb.3749:                             ;   in Loop: Header=BB4_3710 Depth=2
	v_and_b32_e32 v5, 0x7fffff, v2
	v_bfe_u32 v2, v2, 23, 8
	v_cmp_gt_u32_e64 s[18:19], s51, v2
	v_sub_u32_e32 v4, 0x79, v2
	v_cmp_eq_u32_e32 vcc, 0, v2
	v_cndmask_b32_e64 v4, 0, v4, s[18:19]
	v_or_b32_e32 v6, 0x800000, v5
	v_cndmask_b32_e32 v4, v4, v59, vcc
	v_cndmask_b32_e32 v34, v6, v5, vcc
	v_add_u32_e32 v5, 20, v4
	v_lshlrev_b64 v[5:6], v5, -1
	v_add_u32_e32 v7, 19, v4
	v_lshlrev_b64 v[7:8], v7, 1
	v_lshrrev_b64 v[14:15], v4, v[34:35]
	v_bfi_b32 v6, v6, 0, 0
	v_bfi_b32 v5, v5, 0, v34
	v_cmp_eq_u64_e64 s[18:19], v[5:6], v[7:8]
	v_mov_b32_e32 v16, v15
	v_mov_b32_e32 v15, v14
	s_and_saveexec_b64 s[90:91], s[18:19]
; %bb.3750:                             ;   in Loop: Header=BB4_3710 Depth=2
	v_bfe_u32 v5, v14, 20, 1
	v_add_co_u32_e64 v5, s[18:19], v14, v5
	v_add_co_u32_e64 v15, s[18:19], -1, v5
; %bb.3751:                             ;   in Loop: Header=BB4_3710 Depth=2
	s_or_b64 exec, exec, s[90:91]
	v_add_u32_e32 v2, 0xffffff81, v2
	v_cndmask_b32_e32 v2, v2, v60, vcc
	v_lshrrev_b32_e32 v5, 23, v14
	v_add3_u32 v5, v4, v2, v5
	v_add_u32_e32 v4, 6, v5
	v_and_b32_e32 v2, 0xfffff, v15
	v_add_u32_e32 v34, v2, v14
	v_cmp_ne_u32_e32 vcc, 0, v4
                                        ; implicit-def: $vgpr14_vgpr15
                                        ; implicit-def: $vgpr2
	s_and_saveexec_b64 s[18:19], vcc
	s_xor_b64 s[18:19], exec, s[18:19]
; %bb.3752:                             ;   in Loop: Header=BB4_3710 Depth=2
	v_cmp_lt_u64_e32 vcc, s[58:59], v[34:35]
	v_add_u32_e32 v2, 7, v5
	v_cndmask_b32_e32 v2, v4, v2, vcc
	v_cndmask_b32_e64 v4, 0, 1, vcc
	v_lshrrev_b64 v[14:15], v4, v[34:35]
; %bb.3753:                             ;   in Loop: Header=BB4_3710 Depth=2
	s_andn2_saveexec_b64 s[18:19], s[18:19]
; %bb.3754:                             ;   in Loop: Header=BB4_3710 Depth=2
	v_mov_b32_e32 v14, v34
	v_bfe_u32 v2, v34, 23, 1
	v_mov_b32_e32 v15, v35
; %bb.3755:                             ;   in Loop: Header=BB4_3710 Depth=2
	s_or_b64 exec, exec, s[18:19]
	v_lshrrev_b64 v[4:5], 20, v[14:15]
	v_cmp_gt_i32_e32 vcc, 16, v2
	v_cndmask_b32_e32 v5, 0, v5, vcc
	v_cndmask_b32_e32 v4, 7, v4, vcc
	v_cmp_eq_u32_e32 vcc, 0, v2
	v_min_i32_e32 v2, 15, v2
	v_cmp_eq_u64_e64 s[18:19], 0, v[4:5]
	v_lshlrev_b32_e32 v2, 3, v2
	v_and_b32_e32 v2, 0xf8, v2
	v_and_or_b32 v2, v4, 7, v2
	s_and_b64 s[18:19], vcc, s[18:19]
	v_cndmask_b32_e64 v2, v2, 0, s[18:19]
	v_or_b32_e32 v4, v2, v1
.LBB4_3756:                             ;   in Loop: Header=BB4_3710 Depth=2
	s_or_b64 exec, exec, s[88:89]
                                        ; implicit-def: $vgpr1
.LBB4_3757:                             ;   in Loop: Header=BB4_3710 Depth=2
	s_andn2_saveexec_b64 s[18:19], s[78:79]
; %bb.3758:                             ;   in Loop: Header=BB4_3710 Depth=2
	v_or_b32_e32 v4, 0x7e, v1
; %bb.3759:                             ;   in Loop: Header=BB4_3710 Depth=2
	s_or_b64 exec, exec, s[18:19]
                                        ; implicit-def: $vgpr2
.LBB4_3760:                             ;   in Loop: Header=BB4_3710 Depth=2
	s_andn2_saveexec_b64 s[18:19], s[76:77]
; %bb.3761:                             ;   in Loop: Header=BB4_3710 Depth=2
	v_or_b32_sdwa v4, v2, s39 dst_sel:DWORD dst_unused:UNUSED_PAD src0_sel:BYTE_3 src1_sel:DWORD
; %bb.3762:                             ;   in Loop: Header=BB4_3710 Depth=2
	s_or_b64 exec, exec, s[18:19]
	v_lshrrev_b32_e32 v14, 16, v10
	v_cmp_ne_u16_sdwa s[76:77], v14, v35 src0_sel:BYTE_0 src1_sel:DWORD
	v_mov_b32_e32 v1, 0
	s_and_saveexec_b64 s[18:19], s[76:77]
	s_cbranch_execz .LBB4_3768
; %bb.3763:                             ;   in Loop: Header=BB4_3710 Depth=2
	v_cmp_ne_u16_sdwa s[78:79], v14, s50 src0_sel:BYTE_0 src1_sel:DWORD
	v_bfrev_b32_e32 v1, 1
	s_and_saveexec_b64 s[76:77], s[78:79]
	s_cbranch_execz .LBB4_3767
; %bb.3764:                             ;   in Loop: Header=BB4_3710 Depth=2
	v_bfe_u32 v2, v10, 16, 7
	v_cmp_ne_u32_e32 vcc, s39, v2
	v_mov_b32_e32 v1, 0x7f800001
	s_and_saveexec_b64 s[78:79], vcc
	s_cbranch_execz .LBB4_3766
; %bb.3765:                             ;   in Loop: Header=BB4_3710 Depth=2
	v_and_b32_e32 v5, 7, v14
	v_ffbh_u32_e32 v1, v5
	v_min_u32_e32 v7, 32, v1
	v_subrev_u32_e32 v1, 28, v7
	v_lshrrev_b32_e32 v6, 3, v2
	v_cmp_gt_u32_e32 vcc, 8, v2
	v_lshlrev_b64 v[1:2], v1, v[14:15]
	v_sub_u32_e32 v2, 29, v7
	v_and_b32_e32 v1, 7, v1
	v_cndmask_b32_e32 v2, v6, v2, vcc
	v_cndmask_b32_e32 v1, v5, v1, vcc
	v_lshlrev_b32_e32 v5, 24, v14
	v_lshlrev_b32_e32 v1, 20, v1
	v_and_b32_e32 v5, 0x80000000, v5
	v_lshl_add_u32 v2, v2, 23, v58
	v_or3_b32 v1, v5, v2, v1
.LBB4_3766:                             ;   in Loop: Header=BB4_3710 Depth=2
	s_or_b64 exec, exec, s[78:79]
.LBB4_3767:                             ;   in Loop: Header=BB4_3710 Depth=2
	s_or_b64 exec, exec, s[76:77]
.LBB4_3768:                             ;   in Loop: Header=BB4_3710 Depth=2
	s_or_b64 exec, exec, s[18:19]
	v_mul_f32_e32 v2, v3, v1
	v_and_b32_e32 v34, 0x7f800000, v2
	v_cmp_ne_u64_e32 vcc, s[46:47], v[34:35]
                                        ; implicit-def: $vgpr8
	s_and_saveexec_b64 s[18:19], vcc
	s_xor_b64 s[76:77], exec, s[18:19]
	s_cbranch_execz .LBB4_3782
; %bb.3769:                             ;   in Loop: Header=BB4_3710 Depth=2
	v_and_b32_e32 v34, 0x7fffffff, v2
	v_cmp_gt_u64_e32 vcc, s[56:57], v[34:35]
	v_and_b32_sdwa v1, v2, s50 dst_sel:DWORD dst_unused:UNUSED_PAD src0_sel:BYTE_3 src1_sel:DWORD
                                        ; implicit-def: $vgpr8
	s_and_saveexec_b64 s[18:19], vcc
	s_xor_b64 s[78:79], exec, s[18:19]
	s_cbranch_execz .LBB4_3779
; %bb.3770:                             ;   in Loop: Header=BB4_3710 Depth=2
	v_mov_b32_e32 v8, 0
	v_cmp_ne_u32_e32 vcc, 0, v2
	s_and_saveexec_b64 s[88:89], vcc
	s_cbranch_execz .LBB4_3778
; %bb.3771:                             ;   in Loop: Header=BB4_3710 Depth=2
	v_and_b32_e32 v6, 0x7fffff, v2
	v_bfe_u32 v2, v2, 23, 8
	v_cmp_gt_u32_e64 s[18:19], s51, v2
	v_sub_u32_e32 v5, 0x79, v2
	v_cmp_eq_u32_e32 vcc, 0, v2
	v_cndmask_b32_e64 v5, 0, v5, s[18:19]
	v_or_b32_e32 v7, 0x800000, v6
	v_cndmask_b32_e32 v5, v5, v59, vcc
	v_cndmask_b32_e32 v34, v7, v6, vcc
	v_add_u32_e32 v6, 20, v5
	v_lshlrev_b64 v[6:7], v6, -1
	v_add_u32_e32 v8, 19, v5
	v_lshlrev_b64 v[8:9], v8, 1
	v_lshrrev_b64 v[14:15], v5, v[34:35]
	v_bfi_b32 v7, v7, 0, 0
	v_bfi_b32 v6, v6, 0, v34
	v_cmp_eq_u64_e64 s[18:19], v[6:7], v[8:9]
	v_mov_b32_e32 v16, v15
	v_mov_b32_e32 v15, v14
	s_and_saveexec_b64 s[90:91], s[18:19]
; %bb.3772:                             ;   in Loop: Header=BB4_3710 Depth=2
	v_bfe_u32 v6, v14, 20, 1
	v_add_co_u32_e64 v6, s[18:19], v14, v6
	v_add_co_u32_e64 v15, s[18:19], -1, v6
; %bb.3773:                             ;   in Loop: Header=BB4_3710 Depth=2
	s_or_b64 exec, exec, s[90:91]
	v_add_u32_e32 v2, 0xffffff81, v2
	v_cndmask_b32_e32 v2, v2, v60, vcc
	v_lshrrev_b32_e32 v6, 23, v14
	v_add3_u32 v6, v5, v2, v6
	v_add_u32_e32 v5, 6, v6
	v_and_b32_e32 v2, 0xfffff, v15
	v_add_u32_e32 v34, v2, v14
	v_cmp_ne_u32_e32 vcc, 0, v5
                                        ; implicit-def: $vgpr14_vgpr15
                                        ; implicit-def: $vgpr2
	s_and_saveexec_b64 s[18:19], vcc
	s_xor_b64 s[18:19], exec, s[18:19]
; %bb.3774:                             ;   in Loop: Header=BB4_3710 Depth=2
	v_cmp_lt_u64_e32 vcc, s[58:59], v[34:35]
	v_add_u32_e32 v2, 7, v6
	v_cndmask_b32_e32 v2, v5, v2, vcc
	v_cndmask_b32_e64 v5, 0, 1, vcc
	v_lshrrev_b64 v[14:15], v5, v[34:35]
; %bb.3775:                             ;   in Loop: Header=BB4_3710 Depth=2
	s_andn2_saveexec_b64 s[18:19], s[18:19]
; %bb.3776:                             ;   in Loop: Header=BB4_3710 Depth=2
	v_mov_b32_e32 v14, v34
	v_bfe_u32 v2, v34, 23, 1
	v_mov_b32_e32 v15, v35
; %bb.3777:                             ;   in Loop: Header=BB4_3710 Depth=2
	s_or_b64 exec, exec, s[18:19]
	v_lshrrev_b64 v[5:6], 20, v[14:15]
	v_cmp_gt_i32_e32 vcc, 16, v2
	v_cndmask_b32_e32 v6, 0, v6, vcc
	v_cndmask_b32_e32 v5, 7, v5, vcc
	v_cmp_eq_u32_e32 vcc, 0, v2
	v_min_i32_e32 v2, 15, v2
	v_cmp_eq_u64_e64 s[18:19], 0, v[5:6]
	v_lshlrev_b32_e32 v2, 3, v2
	v_and_b32_e32 v2, 0xf8, v2
	v_and_or_b32 v2, v5, 7, v2
	s_and_b64 s[18:19], vcc, s[18:19]
	v_cndmask_b32_e64 v2, v2, 0, s[18:19]
	v_or_b32_e32 v8, v2, v1
.LBB4_3778:                             ;   in Loop: Header=BB4_3710 Depth=2
	s_or_b64 exec, exec, s[88:89]
                                        ; implicit-def: $vgpr1
.LBB4_3779:                             ;   in Loop: Header=BB4_3710 Depth=2
	s_andn2_saveexec_b64 s[18:19], s[78:79]
; %bb.3780:                             ;   in Loop: Header=BB4_3710 Depth=2
	v_or_b32_e32 v8, 0x7e, v1
; %bb.3781:                             ;   in Loop: Header=BB4_3710 Depth=2
	s_or_b64 exec, exec, s[18:19]
                                        ; implicit-def: $vgpr2
.LBB4_3782:                             ;   in Loop: Header=BB4_3710 Depth=2
	s_andn2_saveexec_b64 s[18:19], s[76:77]
; %bb.3783:                             ;   in Loop: Header=BB4_3710 Depth=2
	v_or_b32_sdwa v8, v2, s39 dst_sel:DWORD dst_unused:UNUSED_PAD src0_sel:BYTE_3 src1_sel:DWORD
; %bb.3784:                             ;   in Loop: Header=BB4_3710 Depth=2
	s_or_b64 exec, exec, s[18:19]
	v_cmp_lt_u32_e32 vcc, s61, v10
	v_mov_b32_e32 v1, 0
	s_and_saveexec_b64 s[18:19], vcc
	s_cbranch_execz .LBB4_3790
; %bb.3785:                             ;   in Loop: Header=BB4_3710 Depth=2
	v_lshrrev_b32_e32 v14, 24, v10
	v_cmp_ne_u32_e32 vcc, s50, v14
	v_bfrev_b32_e32 v1, 1
	s_and_saveexec_b64 s[76:77], vcc
	s_cbranch_execz .LBB4_3789
; %bb.3786:                             ;   in Loop: Header=BB4_3710 Depth=2
	v_bfe_u32 v2, v10, 24, 7
	v_cmp_ne_u32_e32 vcc, s39, v2
	v_mov_b32_e32 v1, 0x7f800001
	s_and_saveexec_b64 s[78:79], vcc
	s_cbranch_execz .LBB4_3788
; %bb.3787:                             ;   in Loop: Header=BB4_3710 Depth=2
	v_and_b32_e32 v5, 7, v14
	v_ffbh_u32_e32 v1, v5
	v_min_u32_e32 v7, 32, v1
	v_subrev_u32_e32 v1, 28, v7
	v_lshrrev_b32_e32 v6, 3, v2
	v_cmp_gt_u32_e32 vcc, 8, v2
	v_lshlrev_b64 v[1:2], v1, v[14:15]
	v_sub_u32_e32 v2, 29, v7
	v_and_b32_e32 v1, 7, v1
	v_cndmask_b32_e32 v2, v6, v2, vcc
	v_cndmask_b32_e32 v1, v5, v1, vcc
	v_lshlrev_b32_e32 v5, 24, v14
	v_lshlrev_b32_e32 v1, 20, v1
	v_and_b32_e32 v5, 0x80000000, v5
	v_lshl_add_u32 v2, v2, 23, v58
	v_or3_b32 v1, v5, v2, v1
.LBB4_3788:                             ;   in Loop: Header=BB4_3710 Depth=2
	s_or_b64 exec, exec, s[78:79]
.LBB4_3789:                             ;   in Loop: Header=BB4_3710 Depth=2
	s_or_b64 exec, exec, s[76:77]
.LBB4_3790:                             ;   in Loop: Header=BB4_3710 Depth=2
	s_or_b64 exec, exec, s[18:19]
	v_mul_f32_e32 v2, v3, v1
	v_and_b32_e32 v34, 0x7f800000, v2
	v_cmp_ne_u64_e32 vcc, s[46:47], v[34:35]
                                        ; implicit-def: $vgpr27
	s_and_saveexec_b64 s[18:19], vcc
	s_xor_b64 s[76:77], exec, s[18:19]
	s_cbranch_execz .LBB4_3804
; %bb.3791:                             ;   in Loop: Header=BB4_3710 Depth=2
	v_and_b32_e32 v34, 0x7fffffff, v2
	v_cmp_gt_u64_e32 vcc, s[56:57], v[34:35]
	v_and_b32_sdwa v1, v2, s50 dst_sel:DWORD dst_unused:UNUSED_PAD src0_sel:BYTE_3 src1_sel:DWORD
                                        ; implicit-def: $vgpr27
	s_and_saveexec_b64 s[18:19], vcc
	s_xor_b64 s[78:79], exec, s[18:19]
	s_cbranch_execz .LBB4_3801
; %bb.3792:                             ;   in Loop: Header=BB4_3710 Depth=2
	v_mov_b32_e32 v27, 0
	v_cmp_ne_u32_e32 vcc, 0, v2
	s_and_saveexec_b64 s[88:89], vcc
	s_cbranch_execz .LBB4_3800
; %bb.3793:                             ;   in Loop: Header=BB4_3710 Depth=2
	v_and_b32_e32 v6, 0x7fffff, v2
	v_bfe_u32 v2, v2, 23, 8
	v_cmp_gt_u32_e64 s[18:19], s51, v2
	v_sub_u32_e32 v5, 0x79, v2
	v_cmp_eq_u32_e32 vcc, 0, v2
	v_cndmask_b32_e64 v5, 0, v5, s[18:19]
	v_or_b32_e32 v7, 0x800000, v6
	v_cndmask_b32_e32 v5, v5, v59, vcc
	v_cndmask_b32_e32 v34, v7, v6, vcc
	v_add_u32_e32 v6, 20, v5
	v_lshlrev_b64 v[6:7], v6, -1
	v_add_u32_e32 v9, 19, v5
	v_lshlrev_b64 v[14:15], v9, 1
	v_bfi_b32 v7, v7, 0, 0
	v_bfi_b32 v6, v6, 0, v34
	v_cmp_eq_u64_e64 s[18:19], v[6:7], v[14:15]
	v_lshrrev_b64 v[14:15], v5, v[34:35]
	v_mov_b32_e32 v16, v15
	v_mov_b32_e32 v15, v14
	s_and_saveexec_b64 s[90:91], s[18:19]
; %bb.3794:                             ;   in Loop: Header=BB4_3710 Depth=2
	v_bfe_u32 v6, v14, 20, 1
	v_add_co_u32_e64 v6, s[18:19], v14, v6
	v_add_co_u32_e64 v15, s[18:19], -1, v6
; %bb.3795:                             ;   in Loop: Header=BB4_3710 Depth=2
	s_or_b64 exec, exec, s[90:91]
	v_add_u32_e32 v2, 0xffffff81, v2
	v_cndmask_b32_e32 v2, v2, v60, vcc
	v_lshrrev_b32_e32 v6, 23, v14
	v_add3_u32 v6, v5, v2, v6
	v_add_u32_e32 v5, 6, v6
	v_and_b32_e32 v2, 0xfffff, v15
	v_add_u32_e32 v34, v2, v14
	v_cmp_ne_u32_e32 vcc, 0, v5
                                        ; implicit-def: $vgpr14_vgpr15
                                        ; implicit-def: $vgpr2
	s_and_saveexec_b64 s[18:19], vcc
	s_xor_b64 s[18:19], exec, s[18:19]
; %bb.3796:                             ;   in Loop: Header=BB4_3710 Depth=2
	v_cmp_lt_u64_e32 vcc, s[58:59], v[34:35]
	v_add_u32_e32 v2, 7, v6
	v_cndmask_b32_e32 v2, v5, v2, vcc
	v_cndmask_b32_e64 v5, 0, 1, vcc
	v_lshrrev_b64 v[14:15], v5, v[34:35]
; %bb.3797:                             ;   in Loop: Header=BB4_3710 Depth=2
	s_andn2_saveexec_b64 s[18:19], s[18:19]
; %bb.3798:                             ;   in Loop: Header=BB4_3710 Depth=2
	v_mov_b32_e32 v14, v34
	v_bfe_u32 v2, v34, 23, 1
	v_mov_b32_e32 v15, v35
; %bb.3799:                             ;   in Loop: Header=BB4_3710 Depth=2
	s_or_b64 exec, exec, s[18:19]
	v_lshrrev_b64 v[5:6], 20, v[14:15]
	v_cmp_gt_i32_e32 vcc, 16, v2
	v_cndmask_b32_e32 v6, 0, v6, vcc
	v_cndmask_b32_e32 v5, 7, v5, vcc
	v_cmp_eq_u32_e32 vcc, 0, v2
	v_min_i32_e32 v2, 15, v2
	v_cmp_eq_u64_e64 s[18:19], 0, v[5:6]
	v_lshlrev_b32_e32 v2, 3, v2
	v_and_b32_e32 v2, 0xf8, v2
	v_and_or_b32 v2, v5, 7, v2
	s_and_b64 s[18:19], vcc, s[18:19]
	v_cndmask_b32_e64 v2, v2, 0, s[18:19]
	v_or_b32_e32 v27, v2, v1
.LBB4_3800:                             ;   in Loop: Header=BB4_3710 Depth=2
	s_or_b64 exec, exec, s[88:89]
                                        ; implicit-def: $vgpr1
.LBB4_3801:                             ;   in Loop: Header=BB4_3710 Depth=2
	s_andn2_saveexec_b64 s[18:19], s[78:79]
; %bb.3802:                             ;   in Loop: Header=BB4_3710 Depth=2
	v_or_b32_e32 v27, 0x7e, v1
; %bb.3803:                             ;   in Loop: Header=BB4_3710 Depth=2
	s_or_b64 exec, exec, s[18:19]
                                        ; implicit-def: $vgpr2
.LBB4_3804:                             ;   in Loop: Header=BB4_3710 Depth=2
	s_andn2_saveexec_b64 s[18:19], s[76:77]
; %bb.3805:                             ;   in Loop: Header=BB4_3710 Depth=2
	v_or_b32_sdwa v27, v2, s39 dst_sel:DWORD dst_unused:UNUSED_PAD src0_sel:BYTE_3 src1_sel:DWORD
; %bb.3806:                             ;   in Loop: Header=BB4_3710 Depth=2
	s_or_b64 exec, exec, s[18:19]
	v_mov_b32_e32 v34, v11
	v_cmp_ne_u16_sdwa s[76:77], v11, v35 src0_sel:BYTE_0 src1_sel:DWORD
	v_mov_b32_e32 v1, 0
	s_and_saveexec_b64 s[18:19], s[76:77]
	s_cbranch_execz .LBB4_3812
; %bb.3807:                             ;   in Loop: Header=BB4_3710 Depth=2
	v_cmp_ne_u16_sdwa s[78:79], v11, s50 src0_sel:BYTE_0 src1_sel:DWORD
	v_bfrev_b32_e32 v1, 1
	s_and_saveexec_b64 s[76:77], s[78:79]
	s_cbranch_execz .LBB4_3811
; %bb.3808:                             ;   in Loop: Header=BB4_3710 Depth=2
	v_and_b32_e32 v2, 0x7f, v11
	v_cmp_ne_u32_e32 vcc, s39, v2
	v_mov_b32_e32 v1, 0x7f800001
	s_and_saveexec_b64 s[78:79], vcc
	s_cbranch_execz .LBB4_3810
; %bb.3809:                             ;   in Loop: Header=BB4_3710 Depth=2
	v_and_b32_e32 v1, 7, v11
	v_ffbh_u32_e32 v1, v1
	v_min_u32_e32 v1, 32, v1
	v_lshrrev_b32_e32 v5, 3, v2
	v_cmp_gt_u32_e32 vcc, 8, v2
	v_subrev_u32_e32 v2, 28, v1
	v_sub_u32_e32 v1, 29, v1
	v_cndmask_b32_e32 v5, v5, v1, vcc
	v_cndmask_b32_e32 v1, 0, v2, vcc
	v_lshlrev_b64 v[1:2], v1, v[34:35]
	v_lshlrev_b32_e32 v2, 24, v34
	v_lshlrev_b32_e32 v1, 20, v1
	v_and_b32_e32 v1, 0x700000, v1
	v_and_b32_e32 v2, 0x80000000, v2
	v_lshl_add_u32 v5, v5, 23, v58
	v_or3_b32 v1, v2, v5, v1
.LBB4_3810:                             ;   in Loop: Header=BB4_3710 Depth=2
	s_or_b64 exec, exec, s[78:79]
.LBB4_3811:                             ;   in Loop: Header=BB4_3710 Depth=2
	s_or_b64 exec, exec, s[76:77]
.LBB4_3812:                             ;   in Loop: Header=BB4_3710 Depth=2
	s_or_b64 exec, exec, s[18:19]
	v_mul_f32_e32 v2, v3, v1
	v_and_b32_e32 v5, 0x7f800000, v2
	v_mov_b32_e32 v6, v35
	v_cmp_ne_u64_e32 vcc, s[46:47], v[5:6]
                                        ; implicit-def: $vgpr61
	s_and_saveexec_b64 s[18:19], vcc
	s_xor_b64 s[76:77], exec, s[18:19]
	s_cbranch_execz .LBB4_3826
; %bb.3813:                             ;   in Loop: Header=BB4_3710 Depth=2
	v_and_b32_e32 v5, 0x7fffffff, v2
	v_mov_b32_e32 v6, v35
	v_cmp_gt_u64_e32 vcc, s[56:57], v[5:6]
	v_and_b32_sdwa v1, v2, s50 dst_sel:DWORD dst_unused:UNUSED_PAD src0_sel:BYTE_3 src1_sel:DWORD
                                        ; implicit-def: $vgpr61
	s_and_saveexec_b64 s[18:19], vcc
	s_xor_b64 s[78:79], exec, s[18:19]
	s_cbranch_execz .LBB4_3823
; %bb.3814:                             ;   in Loop: Header=BB4_3710 Depth=2
	v_mov_b32_e32 v61, 0
	v_cmp_ne_u32_e32 vcc, 0, v2
	s_and_saveexec_b64 s[88:89], vcc
	s_cbranch_execz .LBB4_3822
; %bb.3815:                             ;   in Loop: Header=BB4_3710 Depth=2
	v_and_b32_e32 v6, 0x7fffff, v2
	v_bfe_u32 v2, v2, 23, 8
	v_cmp_gt_u32_e64 s[18:19], s51, v2
	v_sub_u32_e32 v5, 0x79, v2
	v_cmp_eq_u32_e32 vcc, 0, v2
	v_cndmask_b32_e64 v5, 0, v5, s[18:19]
	v_cndmask_b32_e32 v5, v5, v59, vcc
	v_add_u32_e32 v9, 20, v5
	v_or_b32_e32 v7, 0x800000, v6
	v_lshlrev_b64 v[14:15], v9, -1
	v_add_u32_e32 v9, 19, v5
	v_cndmask_b32_e32 v6, v7, v6, vcc
	v_lshlrev_b64 v[16:17], v9, 1
	v_mov_b32_e32 v7, v35
	v_bfi_b32 v15, v15, 0, 0
	v_bfi_b32 v14, v14, 0, v6
	v_cmp_eq_u64_e64 s[18:19], v[14:15], v[16:17]
	v_lshrrev_b64 v[14:15], v5, v[6:7]
	v_mov_b32_e32 v16, v15
	v_mov_b32_e32 v15, v14
	s_and_saveexec_b64 s[90:91], s[18:19]
; %bb.3816:                             ;   in Loop: Header=BB4_3710 Depth=2
	v_bfe_u32 v6, v14, 20, 1
	v_add_co_u32_e64 v6, s[18:19], v14, v6
	v_add_co_u32_e64 v15, s[18:19], -1, v6
; %bb.3817:                             ;   in Loop: Header=BB4_3710 Depth=2
	s_or_b64 exec, exec, s[90:91]
	v_add_u32_e32 v2, 0xffffff81, v2
	v_cndmask_b32_e32 v2, v2, v60, vcc
	v_lshrrev_b32_e32 v6, 23, v14
	v_add3_u32 v6, v5, v2, v6
	v_add_u32_e32 v5, 6, v6
	v_and_b32_e32 v2, 0xfffff, v15
	v_add_u32_e32 v14, v2, v14
	v_mov_b32_e32 v15, v35
	v_cmp_ne_u32_e32 vcc, 0, v5
                                        ; implicit-def: $vgpr2
	s_and_saveexec_b64 s[18:19], vcc
	s_xor_b64 s[18:19], exec, s[18:19]
; %bb.3818:                             ;   in Loop: Header=BB4_3710 Depth=2
	v_cmp_lt_u64_e32 vcc, s[58:59], v[14:15]
	v_add_u32_e32 v2, 7, v6
	v_cndmask_b32_e32 v2, v5, v2, vcc
	v_cndmask_b32_e64 v5, 0, 1, vcc
	v_lshrrev_b64 v[14:15], v5, v[14:15]
; %bb.3819:                             ;   in Loop: Header=BB4_3710 Depth=2
	s_andn2_saveexec_b64 s[18:19], s[18:19]
; %bb.3820:                             ;   in Loop: Header=BB4_3710 Depth=2
	v_bfe_u32 v2, v14, 23, 1
; %bb.3821:                             ;   in Loop: Header=BB4_3710 Depth=2
	s_or_b64 exec, exec, s[18:19]
	v_lshrrev_b64 v[5:6], 20, v[14:15]
	v_cmp_gt_i32_e32 vcc, 16, v2
	v_cndmask_b32_e32 v6, 0, v6, vcc
	v_cndmask_b32_e32 v5, 7, v5, vcc
	v_cmp_eq_u32_e32 vcc, 0, v2
	v_min_i32_e32 v2, 15, v2
	v_cmp_eq_u64_e64 s[18:19], 0, v[5:6]
	v_lshlrev_b32_e32 v2, 3, v2
	v_and_b32_e32 v2, 0xf8, v2
	v_and_or_b32 v2, v5, 7, v2
	s_and_b64 s[18:19], vcc, s[18:19]
	v_cndmask_b32_e64 v2, v2, 0, s[18:19]
	v_or_b32_e32 v61, v2, v1
.LBB4_3822:                             ;   in Loop: Header=BB4_3710 Depth=2
	s_or_b64 exec, exec, s[88:89]
                                        ; implicit-def: $vgpr1
.LBB4_3823:                             ;   in Loop: Header=BB4_3710 Depth=2
	s_andn2_saveexec_b64 s[18:19], s[78:79]
; %bb.3824:                             ;   in Loop: Header=BB4_3710 Depth=2
	v_or_b32_e32 v61, 0x7e, v1
; %bb.3825:                             ;   in Loop: Header=BB4_3710 Depth=2
	s_or_b64 exec, exec, s[18:19]
                                        ; implicit-def: $vgpr2
.LBB4_3826:                             ;   in Loop: Header=BB4_3710 Depth=2
	s_andn2_saveexec_b64 s[18:19], s[76:77]
; %bb.3827:                             ;   in Loop: Header=BB4_3710 Depth=2
	v_or_b32_sdwa v61, v2, s39 dst_sel:DWORD dst_unused:UNUSED_PAD src0_sel:BYTE_3 src1_sel:DWORD
; %bb.3828:                             ;   in Loop: Header=BB4_3710 Depth=2
	s_or_b64 exec, exec, s[18:19]
	v_lshrrev_b16_e32 v14, 8, v34
	v_cmp_ne_u16_e32 vcc, 0, v14
	v_mov_b32_e32 v1, 0
	s_and_saveexec_b64 s[18:19], vcc
	s_cbranch_execz .LBB4_3834
; %bb.3829:                             ;   in Loop: Header=BB4_3710 Depth=2
	v_cmp_ne_u16_e32 vcc, s50, v14
	v_bfrev_b32_e32 v1, 1
	s_and_saveexec_b64 s[76:77], vcc
	s_cbranch_execz .LBB4_3833
; %bb.3830:                             ;   in Loop: Header=BB4_3710 Depth=2
	v_and_b32_e32 v2, 0x7f, v14
	v_cmp_ne_u32_e32 vcc, s39, v2
	v_mov_b32_e32 v1, 0x7f800001
	s_and_saveexec_b64 s[78:79], vcc
	s_cbranch_execz .LBB4_3832
; %bb.3831:                             ;   in Loop: Header=BB4_3710 Depth=2
	v_and_b32_e32 v5, 7, v14
	v_ffbh_u32_e32 v1, v5
	v_min_u32_e32 v7, 32, v1
	v_subrev_u32_e32 v1, 28, v7
	v_lshrrev_b32_e32 v6, 3, v2
	v_cmp_gt_u32_e32 vcc, 8, v2
	v_lshlrev_b64 v[1:2], v1, v[14:15]
	v_sub_u32_e32 v2, 29, v7
	v_and_b32_e32 v1, 7, v1
	v_cndmask_b32_e32 v2, v6, v2, vcc
	v_cndmask_b32_e32 v1, v5, v1, vcc
	v_lshlrev_b32_e32 v5, 16, v34
	v_lshlrev_b32_e32 v1, 20, v1
	v_and_b32_e32 v5, 0x80000000, v5
	v_lshl_add_u32 v2, v2, 23, v58
	v_or3_b32 v1, v5, v2, v1
.LBB4_3832:                             ;   in Loop: Header=BB4_3710 Depth=2
	s_or_b64 exec, exec, s[78:79]
.LBB4_3833:                             ;   in Loop: Header=BB4_3710 Depth=2
	s_or_b64 exec, exec, s[76:77]
.LBB4_3834:                             ;   in Loop: Header=BB4_3710 Depth=2
	s_or_b64 exec, exec, s[18:19]
	v_mul_f32_e32 v2, v3, v1
	v_and_b32_e32 v34, 0x7f800000, v2
	v_cmp_ne_u64_e32 vcc, s[46:47], v[34:35]
                                        ; implicit-def: $vgpr31
	s_and_saveexec_b64 s[18:19], vcc
	s_xor_b64 s[76:77], exec, s[18:19]
	s_cbranch_execz .LBB4_3848
; %bb.3835:                             ;   in Loop: Header=BB4_3710 Depth=2
	v_and_b32_e32 v34, 0x7fffffff, v2
	v_cmp_gt_u64_e32 vcc, s[56:57], v[34:35]
	v_and_b32_sdwa v1, v2, s50 dst_sel:DWORD dst_unused:UNUSED_PAD src0_sel:BYTE_3 src1_sel:DWORD
                                        ; implicit-def: $vgpr31
	s_and_saveexec_b64 s[18:19], vcc
	s_xor_b64 s[78:79], exec, s[18:19]
	s_cbranch_execz .LBB4_3845
; %bb.3836:                             ;   in Loop: Header=BB4_3710 Depth=2
	v_mov_b32_e32 v31, 0
	v_cmp_ne_u32_e32 vcc, 0, v2
	s_and_saveexec_b64 s[88:89], vcc
	s_cbranch_execz .LBB4_3844
; %bb.3837:                             ;   in Loop: Header=BB4_3710 Depth=2
	v_and_b32_e32 v6, 0x7fffff, v2
	v_bfe_u32 v2, v2, 23, 8
	v_cmp_gt_u32_e64 s[18:19], s51, v2
	v_sub_u32_e32 v5, 0x79, v2
	v_cmp_eq_u32_e32 vcc, 0, v2
	v_cndmask_b32_e64 v5, 0, v5, s[18:19]
	v_or_b32_e32 v7, 0x800000, v6
	v_cndmask_b32_e32 v5, v5, v59, vcc
	v_cndmask_b32_e32 v34, v7, v6, vcc
	v_add_u32_e32 v6, 20, v5
	v_lshlrev_b64 v[6:7], v6, -1
	v_add_u32_e32 v9, 19, v5
	v_lshlrev_b64 v[14:15], v9, 1
	v_bfi_b32 v7, v7, 0, 0
	v_bfi_b32 v6, v6, 0, v34
	v_cmp_eq_u64_e64 s[18:19], v[6:7], v[14:15]
	v_lshrrev_b64 v[14:15], v5, v[34:35]
	v_mov_b32_e32 v16, v15
	v_mov_b32_e32 v15, v14
	s_and_saveexec_b64 s[90:91], s[18:19]
; %bb.3838:                             ;   in Loop: Header=BB4_3710 Depth=2
	v_bfe_u32 v6, v14, 20, 1
	v_add_co_u32_e64 v6, s[18:19], v14, v6
	v_add_co_u32_e64 v15, s[18:19], -1, v6
; %bb.3839:                             ;   in Loop: Header=BB4_3710 Depth=2
	s_or_b64 exec, exec, s[90:91]
	v_add_u32_e32 v2, 0xffffff81, v2
	v_cndmask_b32_e32 v2, v2, v60, vcc
	v_lshrrev_b32_e32 v6, 23, v14
	v_add3_u32 v6, v5, v2, v6
	v_add_u32_e32 v5, 6, v6
	v_and_b32_e32 v2, 0xfffff, v15
	v_add_u32_e32 v34, v2, v14
	v_cmp_ne_u32_e32 vcc, 0, v5
                                        ; implicit-def: $vgpr14_vgpr15
                                        ; implicit-def: $vgpr2
	s_and_saveexec_b64 s[18:19], vcc
	s_xor_b64 s[18:19], exec, s[18:19]
; %bb.3840:                             ;   in Loop: Header=BB4_3710 Depth=2
	v_cmp_lt_u64_e32 vcc, s[58:59], v[34:35]
	v_add_u32_e32 v2, 7, v6
	v_cndmask_b32_e32 v2, v5, v2, vcc
	v_cndmask_b32_e64 v5, 0, 1, vcc
	v_lshrrev_b64 v[14:15], v5, v[34:35]
; %bb.3841:                             ;   in Loop: Header=BB4_3710 Depth=2
	s_andn2_saveexec_b64 s[18:19], s[18:19]
; %bb.3842:                             ;   in Loop: Header=BB4_3710 Depth=2
	v_mov_b32_e32 v14, v34
	v_bfe_u32 v2, v34, 23, 1
	v_mov_b32_e32 v15, v35
; %bb.3843:                             ;   in Loop: Header=BB4_3710 Depth=2
	s_or_b64 exec, exec, s[18:19]
	v_lshrrev_b64 v[5:6], 20, v[14:15]
	v_cmp_gt_i32_e32 vcc, 16, v2
	v_cndmask_b32_e32 v6, 0, v6, vcc
	v_cndmask_b32_e32 v5, 7, v5, vcc
	v_cmp_eq_u32_e32 vcc, 0, v2
	v_min_i32_e32 v2, 15, v2
	v_cmp_eq_u64_e64 s[18:19], 0, v[5:6]
	v_lshlrev_b32_e32 v2, 3, v2
	v_and_b32_e32 v2, 0xf8, v2
	v_and_or_b32 v2, v5, 7, v2
	s_and_b64 s[18:19], vcc, s[18:19]
	v_cndmask_b32_e64 v2, v2, 0, s[18:19]
	v_or_b32_e32 v31, v2, v1
.LBB4_3844:                             ;   in Loop: Header=BB4_3710 Depth=2
	s_or_b64 exec, exec, s[88:89]
                                        ; implicit-def: $vgpr1
.LBB4_3845:                             ;   in Loop: Header=BB4_3710 Depth=2
	s_andn2_saveexec_b64 s[18:19], s[78:79]
; %bb.3846:                             ;   in Loop: Header=BB4_3710 Depth=2
	v_or_b32_e32 v31, 0x7e, v1
; %bb.3847:                             ;   in Loop: Header=BB4_3710 Depth=2
	s_or_b64 exec, exec, s[18:19]
                                        ; implicit-def: $vgpr2
.LBB4_3848:                             ;   in Loop: Header=BB4_3710 Depth=2
	s_andn2_saveexec_b64 s[18:19], s[76:77]
; %bb.3849:                             ;   in Loop: Header=BB4_3710 Depth=2
	v_or_b32_sdwa v31, v2, s39 dst_sel:DWORD dst_unused:UNUSED_PAD src0_sel:BYTE_3 src1_sel:DWORD
; %bb.3850:                             ;   in Loop: Header=BB4_3710 Depth=2
	s_or_b64 exec, exec, s[18:19]
	v_lshrrev_b32_e32 v14, 16, v11
	v_cmp_ne_u16_sdwa s[76:77], v14, v35 src0_sel:BYTE_0 src1_sel:DWORD
	v_mov_b32_e32 v1, 0
	s_and_saveexec_b64 s[18:19], s[76:77]
	s_cbranch_execz .LBB4_3856
; %bb.3851:                             ;   in Loop: Header=BB4_3710 Depth=2
	v_cmp_ne_u16_sdwa s[78:79], v14, s50 src0_sel:BYTE_0 src1_sel:DWORD
	v_bfrev_b32_e32 v1, 1
	s_and_saveexec_b64 s[76:77], s[78:79]
	s_cbranch_execz .LBB4_3855
; %bb.3852:                             ;   in Loop: Header=BB4_3710 Depth=2
	v_bfe_u32 v2, v11, 16, 7
	v_cmp_ne_u32_e32 vcc, s39, v2
	v_mov_b32_e32 v1, 0x7f800001
	s_and_saveexec_b64 s[78:79], vcc
	s_cbranch_execz .LBB4_3854
; %bb.3853:                             ;   in Loop: Header=BB4_3710 Depth=2
	v_and_b32_e32 v5, 7, v14
	v_ffbh_u32_e32 v1, v5
	v_min_u32_e32 v7, 32, v1
	v_subrev_u32_e32 v1, 28, v7
	v_lshrrev_b32_e32 v6, 3, v2
	v_cmp_gt_u32_e32 vcc, 8, v2
	v_lshlrev_b64 v[1:2], v1, v[14:15]
	v_sub_u32_e32 v2, 29, v7
	v_and_b32_e32 v1, 7, v1
	v_cndmask_b32_e32 v2, v6, v2, vcc
	v_cndmask_b32_e32 v1, v5, v1, vcc
	v_lshlrev_b32_e32 v5, 24, v14
	v_lshlrev_b32_e32 v1, 20, v1
	v_and_b32_e32 v5, 0x80000000, v5
	v_lshl_add_u32 v2, v2, 23, v58
	v_or3_b32 v1, v5, v2, v1
.LBB4_3854:                             ;   in Loop: Header=BB4_3710 Depth=2
	s_or_b64 exec, exec, s[78:79]
.LBB4_3855:                             ;   in Loop: Header=BB4_3710 Depth=2
	s_or_b64 exec, exec, s[76:77]
.LBB4_3856:                             ;   in Loop: Header=BB4_3710 Depth=2
	s_or_b64 exec, exec, s[18:19]
	v_mul_f32_e32 v2, v3, v1
	v_and_b32_e32 v34, 0x7f800000, v2
	v_cmp_ne_u64_e32 vcc, s[46:47], v[34:35]
                                        ; implicit-def: $vgpr46
	s_and_saveexec_b64 s[18:19], vcc
	s_xor_b64 s[76:77], exec, s[18:19]
	s_cbranch_execz .LBB4_3870
; %bb.3857:                             ;   in Loop: Header=BB4_3710 Depth=2
	v_and_b32_e32 v34, 0x7fffffff, v2
	v_cmp_gt_u64_e32 vcc, s[56:57], v[34:35]
	v_and_b32_sdwa v1, v2, s50 dst_sel:DWORD dst_unused:UNUSED_PAD src0_sel:BYTE_3 src1_sel:DWORD
                                        ; implicit-def: $vgpr46
	s_and_saveexec_b64 s[18:19], vcc
	s_xor_b64 s[78:79], exec, s[18:19]
	s_cbranch_execz .LBB4_3867
; %bb.3858:                             ;   in Loop: Header=BB4_3710 Depth=2
	v_mov_b32_e32 v46, 0
	v_cmp_ne_u32_e32 vcc, 0, v2
	s_and_saveexec_b64 s[88:89], vcc
	s_cbranch_execz .LBB4_3866
; %bb.3859:                             ;   in Loop: Header=BB4_3710 Depth=2
	v_and_b32_e32 v6, 0x7fffff, v2
	v_bfe_u32 v2, v2, 23, 8
	v_cmp_gt_u32_e64 s[18:19], s51, v2
	v_sub_u32_e32 v5, 0x79, v2
	v_cmp_eq_u32_e32 vcc, 0, v2
	v_cndmask_b32_e64 v5, 0, v5, s[18:19]
	v_or_b32_e32 v7, 0x800000, v6
	v_cndmask_b32_e32 v5, v5, v59, vcc
	v_cndmask_b32_e32 v34, v7, v6, vcc
	v_add_u32_e32 v6, 20, v5
	v_lshlrev_b64 v[6:7], v6, -1
	v_add_u32_e32 v9, 19, v5
	v_lshlrev_b64 v[14:15], v9, 1
	v_bfi_b32 v7, v7, 0, 0
	v_bfi_b32 v6, v6, 0, v34
	v_cmp_eq_u64_e64 s[18:19], v[6:7], v[14:15]
	v_lshrrev_b64 v[14:15], v5, v[34:35]
	v_mov_b32_e32 v16, v15
	v_mov_b32_e32 v15, v14
	s_and_saveexec_b64 s[90:91], s[18:19]
; %bb.3860:                             ;   in Loop: Header=BB4_3710 Depth=2
	v_bfe_u32 v6, v14, 20, 1
	v_add_co_u32_e64 v6, s[18:19], v14, v6
	v_add_co_u32_e64 v15, s[18:19], -1, v6
; %bb.3861:                             ;   in Loop: Header=BB4_3710 Depth=2
	s_or_b64 exec, exec, s[90:91]
	v_add_u32_e32 v2, 0xffffff81, v2
	v_cndmask_b32_e32 v2, v2, v60, vcc
	v_lshrrev_b32_e32 v6, 23, v14
	v_add3_u32 v6, v5, v2, v6
	v_add_u32_e32 v5, 6, v6
	v_and_b32_e32 v2, 0xfffff, v15
	v_add_u32_e32 v34, v2, v14
	v_cmp_ne_u32_e32 vcc, 0, v5
                                        ; implicit-def: $vgpr14_vgpr15
                                        ; implicit-def: $vgpr2
	s_and_saveexec_b64 s[18:19], vcc
	s_xor_b64 s[18:19], exec, s[18:19]
; %bb.3862:                             ;   in Loop: Header=BB4_3710 Depth=2
	v_cmp_lt_u64_e32 vcc, s[58:59], v[34:35]
	v_add_u32_e32 v2, 7, v6
	v_cndmask_b32_e32 v2, v5, v2, vcc
	v_cndmask_b32_e64 v5, 0, 1, vcc
	v_lshrrev_b64 v[14:15], v5, v[34:35]
; %bb.3863:                             ;   in Loop: Header=BB4_3710 Depth=2
	s_andn2_saveexec_b64 s[18:19], s[18:19]
; %bb.3864:                             ;   in Loop: Header=BB4_3710 Depth=2
	v_mov_b32_e32 v14, v34
	v_bfe_u32 v2, v34, 23, 1
	v_mov_b32_e32 v15, v35
; %bb.3865:                             ;   in Loop: Header=BB4_3710 Depth=2
	s_or_b64 exec, exec, s[18:19]
	v_lshrrev_b64 v[5:6], 20, v[14:15]
	v_cmp_gt_i32_e32 vcc, 16, v2
	v_cndmask_b32_e32 v6, 0, v6, vcc
	v_cndmask_b32_e32 v5, 7, v5, vcc
	v_cmp_eq_u32_e32 vcc, 0, v2
	v_min_i32_e32 v2, 15, v2
	v_cmp_eq_u64_e64 s[18:19], 0, v[5:6]
	v_lshlrev_b32_e32 v2, 3, v2
	v_and_b32_e32 v2, 0xf8, v2
	v_and_or_b32 v2, v5, 7, v2
	s_and_b64 s[18:19], vcc, s[18:19]
	v_cndmask_b32_e64 v2, v2, 0, s[18:19]
	v_or_b32_e32 v46, v2, v1
.LBB4_3866:                             ;   in Loop: Header=BB4_3710 Depth=2
	s_or_b64 exec, exec, s[88:89]
                                        ; implicit-def: $vgpr1
.LBB4_3867:                             ;   in Loop: Header=BB4_3710 Depth=2
	s_andn2_saveexec_b64 s[18:19], s[78:79]
; %bb.3868:                             ;   in Loop: Header=BB4_3710 Depth=2
	v_or_b32_e32 v46, 0x7e, v1
; %bb.3869:                             ;   in Loop: Header=BB4_3710 Depth=2
	s_or_b64 exec, exec, s[18:19]
                                        ; implicit-def: $vgpr2
.LBB4_3870:                             ;   in Loop: Header=BB4_3710 Depth=2
	s_andn2_saveexec_b64 s[18:19], s[76:77]
; %bb.3871:                             ;   in Loop: Header=BB4_3710 Depth=2
	v_or_b32_sdwa v46, v2, s39 dst_sel:DWORD dst_unused:UNUSED_PAD src0_sel:BYTE_3 src1_sel:DWORD
; %bb.3872:                             ;   in Loop: Header=BB4_3710 Depth=2
	s_or_b64 exec, exec, s[18:19]
	v_cmp_lt_u64_e32 vcc, s[60:61], v[10:11]
	v_mov_b32_e32 v1, 0
	s_and_saveexec_b64 s[18:19], vcc
	s_cbranch_execz .LBB4_3878
; %bb.3873:                             ;   in Loop: Header=BB4_3710 Depth=2
	v_lshrrev_b32_e32 v10, 24, v11
	v_cmp_ne_u32_e32 vcc, s50, v10
	v_bfrev_b32_e32 v1, 1
	s_and_saveexec_b64 s[76:77], vcc
	s_cbranch_execz .LBB4_3877
; %bb.3874:                             ;   in Loop: Header=BB4_3710 Depth=2
	v_bfe_u32 v2, v11, 24, 7
	v_cmp_ne_u32_e32 vcc, s39, v2
	v_mov_b32_e32 v1, 0x7f800001
	s_and_saveexec_b64 s[78:79], vcc
	s_cbranch_execz .LBB4_3876
; %bb.3875:                             ;   in Loop: Header=BB4_3710 Depth=2
	v_and_b32_e32 v5, 7, v10
	v_ffbh_u32_e32 v1, v5
	v_min_u32_e32 v7, 32, v1
	v_subrev_u32_e32 v1, 28, v7
	v_lshrrev_b32_e32 v6, 3, v2
	v_cmp_gt_u32_e32 vcc, 8, v2
	v_lshlrev_b64 v[1:2], v1, v[10:11]
	v_sub_u32_e32 v2, 29, v7
	v_and_b32_e32 v1, 7, v1
	v_cndmask_b32_e32 v2, v6, v2, vcc
	v_cndmask_b32_e32 v1, v5, v1, vcc
	v_lshlrev_b32_e32 v5, 24, v10
	v_lshlrev_b32_e32 v1, 20, v1
	v_and_b32_e32 v5, 0x80000000, v5
	v_lshl_add_u32 v2, v2, 23, v58
	v_or3_b32 v1, v5, v2, v1
.LBB4_3876:                             ;   in Loop: Header=BB4_3710 Depth=2
	s_or_b64 exec, exec, s[78:79]
.LBB4_3877:                             ;   in Loop: Header=BB4_3710 Depth=2
	s_or_b64 exec, exec, s[76:77]
.LBB4_3878:                             ;   in Loop: Header=BB4_3710 Depth=2
	s_or_b64 exec, exec, s[18:19]
	v_mul_f32_e32 v2, v3, v1
	v_and_b32_e32 v34, 0x7f800000, v2
	v_cmp_ne_u64_e32 vcc, s[46:47], v[34:35]
                                        ; implicit-def: $vgpr23
	s_and_saveexec_b64 s[18:19], vcc
	s_xor_b64 s[76:77], exec, s[18:19]
	s_cbranch_execz .LBB4_3892
; %bb.3879:                             ;   in Loop: Header=BB4_3710 Depth=2
	v_and_b32_e32 v34, 0x7fffffff, v2
	v_cmp_gt_u64_e32 vcc, s[56:57], v[34:35]
	v_and_b32_sdwa v1, v2, s50 dst_sel:DWORD dst_unused:UNUSED_PAD src0_sel:BYTE_3 src1_sel:DWORD
                                        ; implicit-def: $vgpr23
	s_and_saveexec_b64 s[18:19], vcc
	s_xor_b64 s[78:79], exec, s[18:19]
	s_cbranch_execz .LBB4_3889
; %bb.3880:                             ;   in Loop: Header=BB4_3710 Depth=2
	v_mov_b32_e32 v23, 0
	v_cmp_ne_u32_e32 vcc, 0, v2
	s_and_saveexec_b64 s[88:89], vcc
	s_cbranch_execz .LBB4_3888
; %bb.3881:                             ;   in Loop: Header=BB4_3710 Depth=2
	v_and_b32_e32 v6, 0x7fffff, v2
	v_bfe_u32 v2, v2, 23, 8
	v_cmp_gt_u32_e64 s[18:19], s51, v2
	v_sub_u32_e32 v5, 0x79, v2
	v_cmp_eq_u32_e32 vcc, 0, v2
	v_cndmask_b32_e64 v5, 0, v5, s[18:19]
	v_or_b32_e32 v7, 0x800000, v6
	v_cndmask_b32_e32 v5, v5, v59, vcc
	v_cndmask_b32_e32 v34, v7, v6, vcc
	v_add_u32_e32 v6, 20, v5
	v_lshlrev_b64 v[6:7], v6, -1
	v_add_u32_e32 v9, 19, v5
	v_lshlrev_b64 v[9:10], v9, 1
	v_bfi_b32 v7, v7, 0, 0
	v_bfi_b32 v6, v6, 0, v34
	v_cmp_eq_u64_e64 s[18:19], v[6:7], v[9:10]
	v_lshrrev_b64 v[10:11], v5, v[34:35]
	v_mov_b32_e32 v15, v11
	v_mov_b32_e32 v14, v10
	s_and_saveexec_b64 s[90:91], s[18:19]
; %bb.3882:                             ;   in Loop: Header=BB4_3710 Depth=2
	v_bfe_u32 v6, v10, 20, 1
	v_add_co_u32_e64 v6, s[18:19], v10, v6
	v_add_co_u32_e64 v14, s[18:19], -1, v6
; %bb.3883:                             ;   in Loop: Header=BB4_3710 Depth=2
	s_or_b64 exec, exec, s[90:91]
	v_add_u32_e32 v2, 0xffffff81, v2
	v_cndmask_b32_e32 v2, v2, v60, vcc
	v_lshrrev_b32_e32 v6, 23, v10
	v_add3_u32 v6, v5, v2, v6
	v_add_u32_e32 v5, 6, v6
	v_and_b32_e32 v2, 0xfffff, v14
	v_add_u32_e32 v34, v2, v10
	v_cmp_ne_u32_e32 vcc, 0, v5
                                        ; implicit-def: $vgpr10_vgpr11
                                        ; implicit-def: $vgpr2
	s_and_saveexec_b64 s[18:19], vcc
	s_xor_b64 s[18:19], exec, s[18:19]
; %bb.3884:                             ;   in Loop: Header=BB4_3710 Depth=2
	v_cmp_lt_u64_e32 vcc, s[58:59], v[34:35]
	v_add_u32_e32 v2, 7, v6
	v_cndmask_b32_e32 v2, v5, v2, vcc
	v_cndmask_b32_e64 v5, 0, 1, vcc
	v_lshrrev_b64 v[10:11], v5, v[34:35]
; %bb.3885:                             ;   in Loop: Header=BB4_3710 Depth=2
	s_andn2_saveexec_b64 s[18:19], s[18:19]
; %bb.3886:                             ;   in Loop: Header=BB4_3710 Depth=2
	v_mov_b32_e32 v10, v34
	v_bfe_u32 v2, v34, 23, 1
	v_mov_b32_e32 v11, v35
; %bb.3887:                             ;   in Loop: Header=BB4_3710 Depth=2
	s_or_b64 exec, exec, s[18:19]
	v_lshrrev_b64 v[5:6], 20, v[10:11]
	v_cmp_gt_i32_e32 vcc, 16, v2
	v_cndmask_b32_e32 v6, 0, v6, vcc
	v_cndmask_b32_e32 v5, 7, v5, vcc
	v_cmp_eq_u32_e32 vcc, 0, v2
	v_min_i32_e32 v2, 15, v2
	v_cmp_eq_u64_e64 s[18:19], 0, v[5:6]
	v_lshlrev_b32_e32 v2, 3, v2
	v_and_b32_e32 v2, 0xf8, v2
	v_and_or_b32 v2, v5, 7, v2
	s_and_b64 s[18:19], vcc, s[18:19]
	v_cndmask_b32_e64 v2, v2, 0, s[18:19]
	v_or_b32_e32 v23, v2, v1
.LBB4_3888:                             ;   in Loop: Header=BB4_3710 Depth=2
	s_or_b64 exec, exec, s[88:89]
                                        ; implicit-def: $vgpr1
.LBB4_3889:                             ;   in Loop: Header=BB4_3710 Depth=2
	s_andn2_saveexec_b64 s[18:19], s[78:79]
; %bb.3890:                             ;   in Loop: Header=BB4_3710 Depth=2
	v_or_b32_e32 v23, 0x7e, v1
; %bb.3891:                             ;   in Loop: Header=BB4_3710 Depth=2
	s_or_b64 exec, exec, s[18:19]
                                        ; implicit-def: $vgpr2
.LBB4_3892:                             ;   in Loop: Header=BB4_3710 Depth=2
	s_andn2_saveexec_b64 s[18:19], s[76:77]
; %bb.3893:                             ;   in Loop: Header=BB4_3710 Depth=2
	v_or_b32_sdwa v23, v2, s39 dst_sel:DWORD dst_unused:UNUSED_PAD src0_sel:BYTE_3 src1_sel:DWORD
; %bb.3894:                             ;   in Loop: Header=BB4_3710 Depth=2
	s_or_b64 exec, exec, s[18:19]
	v_cmp_ne_u16_sdwa s[76:77], v12, v35 src0_sel:BYTE_0 src1_sel:DWORD
	v_mov_b32_e32 v1, 0
	s_and_saveexec_b64 s[18:19], s[76:77]
	s_cbranch_execz .LBB4_3900
; %bb.3895:                             ;   in Loop: Header=BB4_3710 Depth=2
	v_cmp_ne_u16_sdwa s[78:79], v12, s50 src0_sel:BYTE_0 src1_sel:DWORD
	v_bfrev_b32_e32 v1, 1
	s_and_saveexec_b64 s[76:77], s[78:79]
	s_cbranch_execz .LBB4_3899
; %bb.3896:                             ;   in Loop: Header=BB4_3710 Depth=2
	v_and_b32_e32 v2, 0x7f, v12
	v_cmp_ne_u32_e32 vcc, s39, v2
	v_mov_b32_e32 v1, 0x7f800001
	s_and_saveexec_b64 s[78:79], vcc
	s_cbranch_execz .LBB4_3898
; %bb.3897:                             ;   in Loop: Header=BB4_3710 Depth=2
	v_and_b32_e32 v1, 7, v12
	v_ffbh_u32_e32 v1, v1
	v_min_u32_e32 v1, 32, v1
	v_lshrrev_b32_e32 v5, 3, v2
	v_cmp_gt_u32_e32 vcc, 8, v2
	v_subrev_u32_e32 v2, 28, v1
	v_sub_u32_e32 v1, 29, v1
	v_cndmask_b32_e32 v5, v5, v1, vcc
	v_cndmask_b32_e32 v1, 0, v2, vcc
	v_lshlrev_b64 v[1:2], v1, v[12:13]
	v_lshlrev_b32_e32 v2, 24, v12
	v_lshlrev_b32_e32 v1, 20, v1
	v_and_b32_e32 v1, 0x700000, v1
	v_and_b32_e32 v2, 0x80000000, v2
	v_lshl_add_u32 v5, v5, 23, v58
	v_or3_b32 v1, v2, v5, v1
.LBB4_3898:                             ;   in Loop: Header=BB4_3710 Depth=2
	s_or_b64 exec, exec, s[78:79]
.LBB4_3899:                             ;   in Loop: Header=BB4_3710 Depth=2
	s_or_b64 exec, exec, s[76:77]
.LBB4_3900:                             ;   in Loop: Header=BB4_3710 Depth=2
	s_or_b64 exec, exec, s[18:19]
	v_mul_f32_e32 v2, v3, v1
	v_and_b32_e32 v34, 0x7f800000, v2
	v_cmp_ne_u64_e32 vcc, s[46:47], v[34:35]
                                        ; implicit-def: $vgpr20
	s_and_saveexec_b64 s[18:19], vcc
	s_xor_b64 s[76:77], exec, s[18:19]
	s_cbranch_execz .LBB4_3914
; %bb.3901:                             ;   in Loop: Header=BB4_3710 Depth=2
	v_and_b32_e32 v34, 0x7fffffff, v2
	v_cmp_gt_u64_e32 vcc, s[56:57], v[34:35]
	v_and_b32_sdwa v1, v2, s50 dst_sel:DWORD dst_unused:UNUSED_PAD src0_sel:BYTE_3 src1_sel:DWORD
                                        ; implicit-def: $vgpr20
	s_and_saveexec_b64 s[18:19], vcc
	s_xor_b64 s[78:79], exec, s[18:19]
	s_cbranch_execz .LBB4_3911
; %bb.3902:                             ;   in Loop: Header=BB4_3710 Depth=2
	v_mov_b32_e32 v20, 0
	v_cmp_ne_u32_e32 vcc, 0, v2
	s_and_saveexec_b64 s[88:89], vcc
	s_cbranch_execz .LBB4_3910
; %bb.3903:                             ;   in Loop: Header=BB4_3710 Depth=2
	v_and_b32_e32 v6, 0x7fffff, v2
	v_bfe_u32 v2, v2, 23, 8
	v_cmp_gt_u32_e64 s[18:19], s51, v2
	v_sub_u32_e32 v5, 0x79, v2
	v_cmp_eq_u32_e32 vcc, 0, v2
	v_cndmask_b32_e64 v5, 0, v5, s[18:19]
	v_or_b32_e32 v7, 0x800000, v6
	v_cndmask_b32_e32 v5, v5, v59, vcc
	v_cndmask_b32_e32 v34, v7, v6, vcc
	v_add_u32_e32 v6, 20, v5
	v_lshlrev_b64 v[6:7], v6, -1
	v_add_u32_e32 v9, 19, v5
	v_lshlrev_b64 v[9:10], v9, 1
	v_bfi_b32 v7, v7, 0, 0
	v_bfi_b32 v6, v6, 0, v34
	v_cmp_eq_u64_e64 s[18:19], v[6:7], v[9:10]
	v_lshrrev_b64 v[10:11], v5, v[34:35]
	v_mov_b32_e32 v15, v11
	v_mov_b32_e32 v14, v10
	s_and_saveexec_b64 s[90:91], s[18:19]
; %bb.3904:                             ;   in Loop: Header=BB4_3710 Depth=2
	v_bfe_u32 v6, v10, 20, 1
	v_add_co_u32_e64 v6, s[18:19], v10, v6
	v_add_co_u32_e64 v14, s[18:19], -1, v6
; %bb.3905:                             ;   in Loop: Header=BB4_3710 Depth=2
	s_or_b64 exec, exec, s[90:91]
	v_add_u32_e32 v2, 0xffffff81, v2
	v_cndmask_b32_e32 v2, v2, v60, vcc
	v_lshrrev_b32_e32 v6, 23, v10
	v_add3_u32 v6, v5, v2, v6
	v_add_u32_e32 v5, 6, v6
	v_and_b32_e32 v2, 0xfffff, v14
	v_add_u32_e32 v34, v2, v10
	v_cmp_ne_u32_e32 vcc, 0, v5
                                        ; implicit-def: $vgpr10_vgpr11
                                        ; implicit-def: $vgpr2
	s_and_saveexec_b64 s[18:19], vcc
	s_xor_b64 s[18:19], exec, s[18:19]
; %bb.3906:                             ;   in Loop: Header=BB4_3710 Depth=2
	v_cmp_lt_u64_e32 vcc, s[58:59], v[34:35]
	v_add_u32_e32 v2, 7, v6
	v_cndmask_b32_e32 v2, v5, v2, vcc
	v_cndmask_b32_e64 v5, 0, 1, vcc
	v_lshrrev_b64 v[10:11], v5, v[34:35]
; %bb.3907:                             ;   in Loop: Header=BB4_3710 Depth=2
	s_andn2_saveexec_b64 s[18:19], s[18:19]
; %bb.3908:                             ;   in Loop: Header=BB4_3710 Depth=2
	v_mov_b32_e32 v10, v34
	v_bfe_u32 v2, v34, 23, 1
	v_mov_b32_e32 v11, v35
; %bb.3909:                             ;   in Loop: Header=BB4_3710 Depth=2
	s_or_b64 exec, exec, s[18:19]
	v_lshrrev_b64 v[5:6], 20, v[10:11]
	v_cmp_gt_i32_e32 vcc, 16, v2
	v_cndmask_b32_e32 v6, 0, v6, vcc
	v_cndmask_b32_e32 v5, 7, v5, vcc
	v_cmp_eq_u32_e32 vcc, 0, v2
	v_min_i32_e32 v2, 15, v2
	v_cmp_eq_u64_e64 s[18:19], 0, v[5:6]
	v_lshlrev_b32_e32 v2, 3, v2
	v_and_b32_e32 v2, 0xf8, v2
	v_and_or_b32 v2, v5, 7, v2
	s_and_b64 s[18:19], vcc, s[18:19]
	v_cndmask_b32_e64 v2, v2, 0, s[18:19]
	v_or_b32_e32 v20, v2, v1
.LBB4_3910:                             ;   in Loop: Header=BB4_3710 Depth=2
	s_or_b64 exec, exec, s[88:89]
                                        ; implicit-def: $vgpr1
.LBB4_3911:                             ;   in Loop: Header=BB4_3710 Depth=2
	s_andn2_saveexec_b64 s[18:19], s[78:79]
; %bb.3912:                             ;   in Loop: Header=BB4_3710 Depth=2
	v_or_b32_e32 v20, 0x7e, v1
; %bb.3913:                             ;   in Loop: Header=BB4_3710 Depth=2
	s_or_b64 exec, exec, s[18:19]
                                        ; implicit-def: $vgpr2
.LBB4_3914:                             ;   in Loop: Header=BB4_3710 Depth=2
	s_andn2_saveexec_b64 s[18:19], s[76:77]
; %bb.3915:                             ;   in Loop: Header=BB4_3710 Depth=2
	v_or_b32_sdwa v20, v2, s39 dst_sel:DWORD dst_unused:UNUSED_PAD src0_sel:BYTE_3 src1_sel:DWORD
; %bb.3916:                             ;   in Loop: Header=BB4_3710 Depth=2
	s_or_b64 exec, exec, s[18:19]
	v_lshrrev_b16_e32 v10, 8, v12
	v_cmp_ne_u16_e32 vcc, 0, v10
	v_mov_b32_e32 v1, 0
	s_and_saveexec_b64 s[18:19], vcc
	s_cbranch_execz .LBB4_3922
; %bb.3917:                             ;   in Loop: Header=BB4_3710 Depth=2
	v_cmp_ne_u16_e32 vcc, s50, v10
	v_bfrev_b32_e32 v1, 1
	s_and_saveexec_b64 s[76:77], vcc
	s_cbranch_execz .LBB4_3921
; %bb.3918:                             ;   in Loop: Header=BB4_3710 Depth=2
	v_and_b32_e32 v2, 0x7f, v10
	v_cmp_ne_u32_e32 vcc, s39, v2
	v_mov_b32_e32 v1, 0x7f800001
	s_and_saveexec_b64 s[78:79], vcc
	s_cbranch_execz .LBB4_3920
; %bb.3919:                             ;   in Loop: Header=BB4_3710 Depth=2
	v_and_b32_e32 v5, 7, v10
	v_ffbh_u32_e32 v1, v5
	v_min_u32_e32 v7, 32, v1
	v_subrev_u32_e32 v1, 28, v7
	v_lshrrev_b32_e32 v6, 3, v2
	v_cmp_gt_u32_e32 vcc, 8, v2
	v_lshlrev_b64 v[1:2], v1, v[10:11]
	v_sub_u32_e32 v2, 29, v7
	v_and_b32_e32 v1, 7, v1
	v_cndmask_b32_e32 v2, v6, v2, vcc
	v_cndmask_b32_e32 v1, v5, v1, vcc
	v_lshlrev_b32_e32 v5, 16, v12
	v_lshlrev_b32_e32 v1, 20, v1
	v_and_b32_e32 v5, 0x80000000, v5
	v_lshl_add_u32 v2, v2, 23, v58
	v_or3_b32 v1, v5, v2, v1
.LBB4_3920:                             ;   in Loop: Header=BB4_3710 Depth=2
	s_or_b64 exec, exec, s[78:79]
.LBB4_3921:                             ;   in Loop: Header=BB4_3710 Depth=2
	s_or_b64 exec, exec, s[76:77]
.LBB4_3922:                             ;   in Loop: Header=BB4_3710 Depth=2
	s_or_b64 exec, exec, s[18:19]
	v_mul_f32_e32 v2, v3, v1
	v_and_b32_e32 v34, 0x7f800000, v2
	v_cmp_ne_u64_e32 vcc, s[46:47], v[34:35]
                                        ; implicit-def: $vgpr45
	s_and_saveexec_b64 s[18:19], vcc
	s_xor_b64 s[76:77], exec, s[18:19]
	s_cbranch_execz .LBB4_3936
; %bb.3923:                             ;   in Loop: Header=BB4_3710 Depth=2
	v_and_b32_e32 v34, 0x7fffffff, v2
	v_cmp_gt_u64_e32 vcc, s[56:57], v[34:35]
	v_and_b32_sdwa v1, v2, s50 dst_sel:DWORD dst_unused:UNUSED_PAD src0_sel:BYTE_3 src1_sel:DWORD
                                        ; implicit-def: $vgpr45
	s_and_saveexec_b64 s[18:19], vcc
	s_xor_b64 s[78:79], exec, s[18:19]
	s_cbranch_execz .LBB4_3933
; %bb.3924:                             ;   in Loop: Header=BB4_3710 Depth=2
	v_mov_b32_e32 v45, 0
	v_cmp_ne_u32_e32 vcc, 0, v2
	s_and_saveexec_b64 s[88:89], vcc
	s_cbranch_execz .LBB4_3932
; %bb.3925:                             ;   in Loop: Header=BB4_3710 Depth=2
	v_and_b32_e32 v6, 0x7fffff, v2
	v_bfe_u32 v2, v2, 23, 8
	v_cmp_gt_u32_e64 s[18:19], s51, v2
	v_sub_u32_e32 v5, 0x79, v2
	v_cmp_eq_u32_e32 vcc, 0, v2
	v_cndmask_b32_e64 v5, 0, v5, s[18:19]
	v_or_b32_e32 v7, 0x800000, v6
	v_cndmask_b32_e32 v5, v5, v59, vcc
	v_cndmask_b32_e32 v34, v7, v6, vcc
	v_add_u32_e32 v6, 20, v5
	v_lshlrev_b64 v[6:7], v6, -1
	v_add_u32_e32 v9, 19, v5
	v_lshlrev_b64 v[9:10], v9, 1
	v_bfi_b32 v7, v7, 0, 0
	v_bfi_b32 v6, v6, 0, v34
	v_cmp_eq_u64_e64 s[18:19], v[6:7], v[9:10]
	v_lshrrev_b64 v[10:11], v5, v[34:35]
	v_mov_b32_e32 v15, v11
	v_mov_b32_e32 v14, v10
	s_and_saveexec_b64 s[90:91], s[18:19]
; %bb.3926:                             ;   in Loop: Header=BB4_3710 Depth=2
	v_bfe_u32 v6, v10, 20, 1
	v_add_co_u32_e64 v6, s[18:19], v10, v6
	v_add_co_u32_e64 v14, s[18:19], -1, v6
; %bb.3927:                             ;   in Loop: Header=BB4_3710 Depth=2
	s_or_b64 exec, exec, s[90:91]
	v_add_u32_e32 v2, 0xffffff81, v2
	v_cndmask_b32_e32 v2, v2, v60, vcc
	v_lshrrev_b32_e32 v6, 23, v10
	v_add3_u32 v6, v5, v2, v6
	v_add_u32_e32 v5, 6, v6
	v_and_b32_e32 v2, 0xfffff, v14
	v_add_u32_e32 v34, v2, v10
	v_cmp_ne_u32_e32 vcc, 0, v5
                                        ; implicit-def: $vgpr10_vgpr11
                                        ; implicit-def: $vgpr2
	s_and_saveexec_b64 s[18:19], vcc
	s_xor_b64 s[18:19], exec, s[18:19]
; %bb.3928:                             ;   in Loop: Header=BB4_3710 Depth=2
	v_cmp_lt_u64_e32 vcc, s[58:59], v[34:35]
	v_add_u32_e32 v2, 7, v6
	v_cndmask_b32_e32 v2, v5, v2, vcc
	v_cndmask_b32_e64 v5, 0, 1, vcc
	v_lshrrev_b64 v[10:11], v5, v[34:35]
; %bb.3929:                             ;   in Loop: Header=BB4_3710 Depth=2
	s_andn2_saveexec_b64 s[18:19], s[18:19]
; %bb.3930:                             ;   in Loop: Header=BB4_3710 Depth=2
	v_mov_b32_e32 v10, v34
	v_bfe_u32 v2, v34, 23, 1
	v_mov_b32_e32 v11, v35
; %bb.3931:                             ;   in Loop: Header=BB4_3710 Depth=2
	s_or_b64 exec, exec, s[18:19]
	v_lshrrev_b64 v[5:6], 20, v[10:11]
	v_cmp_gt_i32_e32 vcc, 16, v2
	v_cndmask_b32_e32 v6, 0, v6, vcc
	v_cndmask_b32_e32 v5, 7, v5, vcc
	v_cmp_eq_u32_e32 vcc, 0, v2
	v_min_i32_e32 v2, 15, v2
	v_cmp_eq_u64_e64 s[18:19], 0, v[5:6]
	v_lshlrev_b32_e32 v2, 3, v2
	v_and_b32_e32 v2, 0xf8, v2
	v_and_or_b32 v2, v5, 7, v2
	s_and_b64 s[18:19], vcc, s[18:19]
	v_cndmask_b32_e64 v2, v2, 0, s[18:19]
	v_or_b32_e32 v45, v2, v1
.LBB4_3932:                             ;   in Loop: Header=BB4_3710 Depth=2
	s_or_b64 exec, exec, s[88:89]
                                        ; implicit-def: $vgpr1
.LBB4_3933:                             ;   in Loop: Header=BB4_3710 Depth=2
	s_andn2_saveexec_b64 s[18:19], s[78:79]
; %bb.3934:                             ;   in Loop: Header=BB4_3710 Depth=2
	v_or_b32_e32 v45, 0x7e, v1
; %bb.3935:                             ;   in Loop: Header=BB4_3710 Depth=2
	s_or_b64 exec, exec, s[18:19]
                                        ; implicit-def: $vgpr2
.LBB4_3936:                             ;   in Loop: Header=BB4_3710 Depth=2
	s_andn2_saveexec_b64 s[18:19], s[76:77]
; %bb.3937:                             ;   in Loop: Header=BB4_3710 Depth=2
	v_or_b32_sdwa v45, v2, s39 dst_sel:DWORD dst_unused:UNUSED_PAD src0_sel:BYTE_3 src1_sel:DWORD
; %bb.3938:                             ;   in Loop: Header=BB4_3710 Depth=2
	s_or_b64 exec, exec, s[18:19]
	v_lshrrev_b32_e32 v10, 16, v12
	v_cmp_ne_u16_sdwa s[76:77], v10, v35 src0_sel:BYTE_0 src1_sel:DWORD
	v_mov_b32_e32 v1, 0
	s_and_saveexec_b64 s[18:19], s[76:77]
	s_cbranch_execz .LBB4_3944
; %bb.3939:                             ;   in Loop: Header=BB4_3710 Depth=2
	v_cmp_ne_u16_sdwa s[78:79], v10, s50 src0_sel:BYTE_0 src1_sel:DWORD
	v_bfrev_b32_e32 v1, 1
	s_and_saveexec_b64 s[76:77], s[78:79]
	s_cbranch_execz .LBB4_3943
; %bb.3940:                             ;   in Loop: Header=BB4_3710 Depth=2
	v_bfe_u32 v2, v12, 16, 7
	v_cmp_ne_u32_e32 vcc, s39, v2
	v_mov_b32_e32 v1, 0x7f800001
	s_and_saveexec_b64 s[78:79], vcc
	s_cbranch_execz .LBB4_3942
; %bb.3941:                             ;   in Loop: Header=BB4_3710 Depth=2
	v_and_b32_e32 v5, 7, v10
	v_ffbh_u32_e32 v1, v5
	v_min_u32_e32 v7, 32, v1
	v_subrev_u32_e32 v1, 28, v7
	v_lshrrev_b32_e32 v6, 3, v2
	v_cmp_gt_u32_e32 vcc, 8, v2
	v_lshlrev_b64 v[1:2], v1, v[10:11]
	v_sub_u32_e32 v2, 29, v7
	v_and_b32_e32 v1, 7, v1
	v_cndmask_b32_e32 v2, v6, v2, vcc
	v_cndmask_b32_e32 v1, v5, v1, vcc
	v_lshlrev_b32_e32 v5, 24, v10
	v_lshlrev_b32_e32 v1, 20, v1
	v_and_b32_e32 v5, 0x80000000, v5
	v_lshl_add_u32 v2, v2, 23, v58
	v_or3_b32 v1, v5, v2, v1
.LBB4_3942:                             ;   in Loop: Header=BB4_3710 Depth=2
	s_or_b64 exec, exec, s[78:79]
.LBB4_3943:                             ;   in Loop: Header=BB4_3710 Depth=2
	s_or_b64 exec, exec, s[76:77]
.LBB4_3944:                             ;   in Loop: Header=BB4_3710 Depth=2
	s_or_b64 exec, exec, s[18:19]
	v_mul_f32_e32 v5, v3, v1
	v_and_b32_e32 v34, 0x7f800000, v5
	v_cmp_ne_u64_e32 vcc, s[46:47], v[34:35]
                                        ; implicit-def: $vgpr2
	s_and_saveexec_b64 s[18:19], vcc
	s_xor_b64 s[76:77], exec, s[18:19]
	s_cbranch_execz .LBB4_3958
; %bb.3945:                             ;   in Loop: Header=BB4_3710 Depth=2
	v_and_b32_e32 v34, 0x7fffffff, v5
	v_cmp_gt_u64_e32 vcc, s[56:57], v[34:35]
	v_and_b32_sdwa v1, v5, s50 dst_sel:DWORD dst_unused:UNUSED_PAD src0_sel:BYTE_3 src1_sel:DWORD
                                        ; implicit-def: $vgpr2
	s_and_saveexec_b64 s[18:19], vcc
	s_xor_b64 s[78:79], exec, s[18:19]
	s_cbranch_execz .LBB4_3955
; %bb.3946:                             ;   in Loop: Header=BB4_3710 Depth=2
	v_mov_b32_e32 v2, 0
	v_cmp_ne_u32_e32 vcc, 0, v5
	s_and_saveexec_b64 s[88:89], vcc
	s_cbranch_execz .LBB4_3954
; %bb.3947:                             ;   in Loop: Header=BB4_3710 Depth=2
	v_bfe_u32 v2, v5, 23, 8
	v_and_b32_e32 v6, 0x7fffff, v5
	v_cmp_gt_u32_e64 s[18:19], s51, v2
	v_sub_u32_e32 v5, 0x79, v2
	v_cmp_eq_u32_e32 vcc, 0, v2
	v_cndmask_b32_e64 v5, 0, v5, s[18:19]
	v_or_b32_e32 v7, 0x800000, v6
	v_cndmask_b32_e32 v5, v5, v59, vcc
	v_cndmask_b32_e32 v34, v7, v6, vcc
	v_add_u32_e32 v6, 20, v5
	v_lshlrev_b64 v[6:7], v6, -1
	v_add_u32_e32 v9, 19, v5
	v_lshlrev_b64 v[9:10], v9, 1
	v_bfi_b32 v7, v7, 0, 0
	v_bfi_b32 v6, v6, 0, v34
	v_cmp_eq_u64_e64 s[18:19], v[6:7], v[9:10]
	v_lshrrev_b64 v[10:11], v5, v[34:35]
	v_mov_b32_e32 v15, v11
	v_mov_b32_e32 v14, v10
	s_and_saveexec_b64 s[90:91], s[18:19]
; %bb.3948:                             ;   in Loop: Header=BB4_3710 Depth=2
	v_bfe_u32 v6, v10, 20, 1
	v_add_co_u32_e64 v6, s[18:19], v10, v6
	v_add_co_u32_e64 v14, s[18:19], -1, v6
; %bb.3949:                             ;   in Loop: Header=BB4_3710 Depth=2
	s_or_b64 exec, exec, s[90:91]
	v_add_u32_e32 v2, 0xffffff81, v2
	v_cndmask_b32_e32 v2, v2, v60, vcc
	v_lshrrev_b32_e32 v6, 23, v10
	v_add3_u32 v6, v5, v2, v6
	v_add_u32_e32 v5, 6, v6
	v_and_b32_e32 v2, 0xfffff, v14
	v_add_u32_e32 v34, v2, v10
	v_cmp_ne_u32_e32 vcc, 0, v5
                                        ; implicit-def: $vgpr10_vgpr11
                                        ; implicit-def: $vgpr2
	s_and_saveexec_b64 s[18:19], vcc
	s_xor_b64 s[18:19], exec, s[18:19]
; %bb.3950:                             ;   in Loop: Header=BB4_3710 Depth=2
	v_cmp_lt_u64_e32 vcc, s[58:59], v[34:35]
	v_add_u32_e32 v2, 7, v6
	v_cndmask_b32_e32 v2, v5, v2, vcc
	v_cndmask_b32_e64 v5, 0, 1, vcc
	v_lshrrev_b64 v[10:11], v5, v[34:35]
; %bb.3951:                             ;   in Loop: Header=BB4_3710 Depth=2
	s_andn2_saveexec_b64 s[18:19], s[18:19]
; %bb.3952:                             ;   in Loop: Header=BB4_3710 Depth=2
	v_mov_b32_e32 v10, v34
	v_bfe_u32 v2, v34, 23, 1
	v_mov_b32_e32 v11, v35
; %bb.3953:                             ;   in Loop: Header=BB4_3710 Depth=2
	s_or_b64 exec, exec, s[18:19]
	v_lshrrev_b64 v[5:6], 20, v[10:11]
	v_cmp_gt_i32_e32 vcc, 16, v2
	v_cndmask_b32_e32 v6, 0, v6, vcc
	v_cndmask_b32_e32 v5, 7, v5, vcc
	v_cmp_eq_u32_e32 vcc, 0, v2
	v_min_i32_e32 v2, 15, v2
	v_cmp_eq_u64_e64 s[18:19], 0, v[5:6]
	v_lshlrev_b32_e32 v2, 3, v2
	v_and_b32_e32 v2, 0xf8, v2
	v_and_or_b32 v2, v5, 7, v2
	s_and_b64 s[18:19], vcc, s[18:19]
	v_cndmask_b32_e64 v2, v2, 0, s[18:19]
	v_or_b32_e32 v2, v2, v1
.LBB4_3954:                             ;   in Loop: Header=BB4_3710 Depth=2
	s_or_b64 exec, exec, s[88:89]
                                        ; implicit-def: $vgpr1
.LBB4_3955:                             ;   in Loop: Header=BB4_3710 Depth=2
	s_andn2_saveexec_b64 s[18:19], s[78:79]
; %bb.3956:                             ;   in Loop: Header=BB4_3710 Depth=2
	v_or_b32_e32 v2, 0x7e, v1
; %bb.3957:                             ;   in Loop: Header=BB4_3710 Depth=2
	s_or_b64 exec, exec, s[18:19]
                                        ; implicit-def: $vgpr5
.LBB4_3958:                             ;   in Loop: Header=BB4_3710 Depth=2
	s_andn2_saveexec_b64 s[18:19], s[76:77]
; %bb.3959:                             ;   in Loop: Header=BB4_3710 Depth=2
	v_or_b32_sdwa v2, v5, s39 dst_sel:DWORD dst_unused:UNUSED_PAD src0_sel:BYTE_3 src1_sel:DWORD
; %bb.3960:                             ;   in Loop: Header=BB4_3710 Depth=2
	s_or_b64 exec, exec, s[18:19]
	v_cmp_lt_u32_e32 vcc, s61, v12
	v_mov_b32_e32 v1, 0
	s_and_saveexec_b64 s[18:19], vcc
	s_cbranch_execz .LBB4_3966
; %bb.3961:                             ;   in Loop: Header=BB4_3710 Depth=2
	v_lshrrev_b32_e32 v10, 24, v12
	v_cmp_ne_u32_e32 vcc, s50, v10
	v_bfrev_b32_e32 v1, 1
	s_and_saveexec_b64 s[76:77], vcc
	s_cbranch_execz .LBB4_3965
; %bb.3962:                             ;   in Loop: Header=BB4_3710 Depth=2
	v_bfe_u32 v5, v12, 24, 7
	v_cmp_ne_u32_e32 vcc, s39, v5
	v_mov_b32_e32 v1, 0x7f800001
	s_and_saveexec_b64 s[78:79], vcc
	s_cbranch_execz .LBB4_3964
; %bb.3963:                             ;   in Loop: Header=BB4_3710 Depth=2
	v_and_b32_e32 v1, 7, v10
	v_lshrrev_b32_e32 v7, 3, v5
	v_cmp_gt_u32_e32 vcc, 8, v5
	v_ffbh_u32_e32 v5, v1
	v_min_u32_e32 v9, 32, v5
	v_subrev_u32_e32 v5, 28, v9
	v_lshlrev_b64 v[5:6], v5, v[10:11]
	v_sub_u32_e32 v6, 29, v9
	v_and_b32_e32 v5, 7, v5
	v_cndmask_b32_e32 v6, v7, v6, vcc
	v_cndmask_b32_e32 v1, v1, v5, vcc
	v_lshlrev_b32_e32 v5, 24, v10
	v_lshlrev_b32_e32 v1, 20, v1
	v_and_b32_e32 v5, 0x80000000, v5
	v_lshl_add_u32 v6, v6, 23, v58
	v_or3_b32 v1, v5, v6, v1
.LBB4_3964:                             ;   in Loop: Header=BB4_3710 Depth=2
	s_or_b64 exec, exec, s[78:79]
.LBB4_3965:                             ;   in Loop: Header=BB4_3710 Depth=2
	s_or_b64 exec, exec, s[76:77]
.LBB4_3966:                             ;   in Loop: Header=BB4_3710 Depth=2
	s_or_b64 exec, exec, s[18:19]
	v_mul_f32_e32 v5, v3, v1
	v_and_b32_e32 v34, 0x7f800000, v5
	v_cmp_ne_u64_e32 vcc, s[46:47], v[34:35]
                                        ; implicit-def: $vgpr22
	s_and_saveexec_b64 s[18:19], vcc
	s_xor_b64 s[76:77], exec, s[18:19]
	s_cbranch_execz .LBB4_3980
; %bb.3967:                             ;   in Loop: Header=BB4_3710 Depth=2
	v_and_b32_e32 v34, 0x7fffffff, v5
	v_cmp_gt_u64_e32 vcc, s[56:57], v[34:35]
	v_and_b32_sdwa v1, v5, s50 dst_sel:DWORD dst_unused:UNUSED_PAD src0_sel:BYTE_3 src1_sel:DWORD
                                        ; implicit-def: $vgpr22
	s_and_saveexec_b64 s[18:19], vcc
	s_xor_b64 s[78:79], exec, s[18:19]
	s_cbranch_execz .LBB4_3977
; %bb.3968:                             ;   in Loop: Header=BB4_3710 Depth=2
	v_mov_b32_e32 v22, 0
	v_cmp_ne_u32_e32 vcc, 0, v5
	s_and_saveexec_b64 s[88:89], vcc
	s_cbranch_execz .LBB4_3976
; %bb.3969:                             ;   in Loop: Header=BB4_3710 Depth=2
	v_and_b32_e32 v7, 0x7fffff, v5
	v_bfe_u32 v5, v5, 23, 8
	v_cmp_gt_u32_e64 s[18:19], s51, v5
	v_sub_u32_e32 v6, 0x79, v5
	v_cmp_eq_u32_e32 vcc, 0, v5
	v_cndmask_b32_e64 v6, 0, v6, s[18:19]
	v_or_b32_e32 v9, 0x800000, v7
	v_cndmask_b32_e32 v6, v6, v59, vcc
	v_cndmask_b32_e32 v34, v9, v7, vcc
	v_add_u32_e32 v7, 20, v6
	v_lshlrev_b64 v[9:10], v7, -1
	v_add_u32_e32 v7, 19, v6
	v_lshlrev_b64 v[14:15], v7, 1
	v_bfi_b32 v10, v10, 0, 0
	v_bfi_b32 v9, v9, 0, v34
	v_cmp_eq_u64_e64 s[18:19], v[9:10], v[14:15]
	v_lshrrev_b64 v[10:11], v6, v[34:35]
	v_mov_b32_e32 v15, v11
	v_mov_b32_e32 v14, v10
	s_and_saveexec_b64 s[90:91], s[18:19]
; %bb.3970:                             ;   in Loop: Header=BB4_3710 Depth=2
	v_bfe_u32 v7, v10, 20, 1
	v_add_co_u32_e64 v7, s[18:19], v10, v7
	v_add_co_u32_e64 v14, s[18:19], -1, v7
; %bb.3971:                             ;   in Loop: Header=BB4_3710 Depth=2
	s_or_b64 exec, exec, s[90:91]
	v_add_u32_e32 v5, 0xffffff81, v5
	v_cndmask_b32_e32 v5, v5, v60, vcc
	v_lshrrev_b32_e32 v7, 23, v10
	v_add3_u32 v7, v6, v5, v7
	v_add_u32_e32 v6, 6, v7
	v_and_b32_e32 v5, 0xfffff, v14
	v_add_u32_e32 v34, v5, v10
	v_cmp_ne_u32_e32 vcc, 0, v6
                                        ; implicit-def: $vgpr10_vgpr11
                                        ; implicit-def: $vgpr5
	s_and_saveexec_b64 s[18:19], vcc
	s_xor_b64 s[18:19], exec, s[18:19]
; %bb.3972:                             ;   in Loop: Header=BB4_3710 Depth=2
	v_cmp_lt_u64_e32 vcc, s[58:59], v[34:35]
	v_add_u32_e32 v5, 7, v7
	v_cndmask_b32_e32 v5, v6, v5, vcc
	v_cndmask_b32_e64 v6, 0, 1, vcc
	v_lshrrev_b64 v[10:11], v6, v[34:35]
; %bb.3973:                             ;   in Loop: Header=BB4_3710 Depth=2
	s_andn2_saveexec_b64 s[18:19], s[18:19]
; %bb.3974:                             ;   in Loop: Header=BB4_3710 Depth=2
	v_mov_b32_e32 v10, v34
	v_bfe_u32 v5, v34, 23, 1
	v_mov_b32_e32 v11, v35
; %bb.3975:                             ;   in Loop: Header=BB4_3710 Depth=2
	s_or_b64 exec, exec, s[18:19]
	v_lshrrev_b64 v[6:7], 20, v[10:11]
	v_cmp_gt_i32_e32 vcc, 16, v5
	v_cndmask_b32_e32 v7, 0, v7, vcc
	v_cndmask_b32_e32 v6, 7, v6, vcc
	v_cmp_eq_u32_e32 vcc, 0, v5
	v_min_i32_e32 v5, 15, v5
	v_cmp_eq_u64_e64 s[18:19], 0, v[6:7]
	v_lshlrev_b32_e32 v5, 3, v5
	v_and_b32_e32 v5, 0xf8, v5
	v_and_or_b32 v5, v6, 7, v5
	s_and_b64 s[18:19], vcc, s[18:19]
	v_cndmask_b32_e64 v5, v5, 0, s[18:19]
	v_or_b32_e32 v22, v5, v1
.LBB4_3976:                             ;   in Loop: Header=BB4_3710 Depth=2
	s_or_b64 exec, exec, s[88:89]
                                        ; implicit-def: $vgpr1
.LBB4_3977:                             ;   in Loop: Header=BB4_3710 Depth=2
	s_andn2_saveexec_b64 s[18:19], s[78:79]
; %bb.3978:                             ;   in Loop: Header=BB4_3710 Depth=2
	v_or_b32_e32 v22, 0x7e, v1
; %bb.3979:                             ;   in Loop: Header=BB4_3710 Depth=2
	s_or_b64 exec, exec, s[18:19]
                                        ; implicit-def: $vgpr5
.LBB4_3980:                             ;   in Loop: Header=BB4_3710 Depth=2
	s_andn2_saveexec_b64 s[18:19], s[76:77]
; %bb.3981:                             ;   in Loop: Header=BB4_3710 Depth=2
	v_or_b32_sdwa v22, v5, s39 dst_sel:DWORD dst_unused:UNUSED_PAD src0_sel:BYTE_3 src1_sel:DWORD
; %bb.3982:                             ;   in Loop: Header=BB4_3710 Depth=2
	s_or_b64 exec, exec, s[18:19]
	v_mov_b32_e32 v34, v13
	v_cmp_ne_u16_sdwa s[76:77], v13, v35 src0_sel:BYTE_0 src1_sel:DWORD
	v_mov_b32_e32 v1, 0
	s_and_saveexec_b64 s[18:19], s[76:77]
	s_cbranch_execz .LBB4_3988
; %bb.3983:                             ;   in Loop: Header=BB4_3710 Depth=2
	v_cmp_ne_u16_sdwa s[78:79], v13, s50 src0_sel:BYTE_0 src1_sel:DWORD
	v_bfrev_b32_e32 v1, 1
	s_and_saveexec_b64 s[76:77], s[78:79]
	s_cbranch_execz .LBB4_3987
; %bb.3984:                             ;   in Loop: Header=BB4_3710 Depth=2
	v_and_b32_e32 v5, 0x7f, v13
	v_cmp_ne_u32_e32 vcc, s39, v5
	v_mov_b32_e32 v1, 0x7f800001
	s_and_saveexec_b64 s[78:79], vcc
	s_cbranch_execz .LBB4_3986
; %bb.3985:                             ;   in Loop: Header=BB4_3710 Depth=2
	v_and_b32_e32 v1, 7, v13
	v_ffbh_u32_e32 v1, v1
	v_min_u32_e32 v1, 32, v1
	v_lshrrev_b32_e32 v6, 3, v5
	v_cmp_gt_u32_e32 vcc, 8, v5
	v_subrev_u32_e32 v5, 28, v1
	v_sub_u32_e32 v1, 29, v1
	v_cndmask_b32_e32 v5, 0, v5, vcc
	v_cndmask_b32_e32 v1, v6, v1, vcc
	v_lshlrev_b64 v[5:6], v5, v[34:35]
	v_lshlrev_b32_e32 v6, 24, v34
	v_lshlrev_b32_e32 v5, 20, v5
	v_and_b32_e32 v5, 0x700000, v5
	v_and_b32_e32 v6, 0x80000000, v6
	v_lshl_add_u32 v1, v1, 23, v58
	v_or3_b32 v1, v6, v1, v5
.LBB4_3986:                             ;   in Loop: Header=BB4_3710 Depth=2
	s_or_b64 exec, exec, s[78:79]
.LBB4_3987:                             ;   in Loop: Header=BB4_3710 Depth=2
	s_or_b64 exec, exec, s[76:77]
.LBB4_3988:                             ;   in Loop: Header=BB4_3710 Depth=2
	s_or_b64 exec, exec, s[18:19]
	v_mul_f32_e32 v5, v3, v1
	v_and_b32_e32 v6, 0x7f800000, v5
	v_mov_b32_e32 v7, v35
	v_cmp_ne_u64_e32 vcc, s[46:47], v[6:7]
                                        ; implicit-def: $vgpr32
	s_and_saveexec_b64 s[18:19], vcc
	s_xor_b64 s[76:77], exec, s[18:19]
	s_cbranch_execz .LBB4_4002
; %bb.3989:                             ;   in Loop: Header=BB4_3710 Depth=2
	v_and_b32_e32 v6, 0x7fffffff, v5
	v_mov_b32_e32 v7, v35
	v_cmp_gt_u64_e32 vcc, s[56:57], v[6:7]
	v_and_b32_sdwa v1, v5, s50 dst_sel:DWORD dst_unused:UNUSED_PAD src0_sel:BYTE_3 src1_sel:DWORD
                                        ; implicit-def: $vgpr32
	s_and_saveexec_b64 s[18:19], vcc
	s_xor_b64 s[78:79], exec, s[18:19]
	s_cbranch_execz .LBB4_3999
; %bb.3990:                             ;   in Loop: Header=BB4_3710 Depth=2
	v_mov_b32_e32 v32, 0
	v_cmp_ne_u32_e32 vcc, 0, v5
	s_and_saveexec_b64 s[88:89], vcc
	s_cbranch_execz .LBB4_3998
; %bb.3991:                             ;   in Loop: Header=BB4_3710 Depth=2
	v_and_b32_e32 v7, 0x7fffff, v5
	v_bfe_u32 v5, v5, 23, 8
	v_cmp_gt_u32_e64 s[18:19], s51, v5
	v_sub_u32_e32 v6, 0x79, v5
	v_cmp_eq_u32_e32 vcc, 0, v5
	v_cndmask_b32_e64 v6, 0, v6, s[18:19]
	v_or_b32_e32 v9, 0x800000, v7
	v_cndmask_b32_e32 v6, v6, v59, vcc
	v_cndmask_b32_e32 v9, v9, v7, vcc
	v_add_u32_e32 v7, 20, v6
	v_mov_b32_e32 v10, v35
	v_lshlrev_b64 v[14:15], v7, -1
	v_add_u32_e32 v7, 19, v6
	v_lshlrev_b64 v[16:17], v7, 1
	v_lshrrev_b64 v[10:11], v6, v[9:10]
	v_bfi_b32 v15, v15, 0, 0
	v_bfi_b32 v14, v14, 0, v9
	v_cmp_eq_u64_e64 s[18:19], v[14:15], v[16:17]
	v_mov_b32_e32 v15, v11
	v_mov_b32_e32 v14, v10
	s_and_saveexec_b64 s[90:91], s[18:19]
; %bb.3992:                             ;   in Loop: Header=BB4_3710 Depth=2
	v_bfe_u32 v7, v10, 20, 1
	v_add_co_u32_e64 v7, s[18:19], v10, v7
	v_add_co_u32_e64 v14, s[18:19], -1, v7
; %bb.3993:                             ;   in Loop: Header=BB4_3710 Depth=2
	s_or_b64 exec, exec, s[90:91]
	v_add_u32_e32 v5, 0xffffff81, v5
	v_cndmask_b32_e32 v5, v5, v60, vcc
	v_lshrrev_b32_e32 v7, 23, v10
	v_add3_u32 v7, v6, v5, v7
	v_add_u32_e32 v6, 6, v7
	v_and_b32_e32 v5, 0xfffff, v14
	v_add_u32_e32 v10, v5, v10
	v_mov_b32_e32 v11, v35
	v_cmp_ne_u32_e32 vcc, 0, v6
                                        ; implicit-def: $vgpr5
	s_and_saveexec_b64 s[18:19], vcc
	s_xor_b64 s[18:19], exec, s[18:19]
; %bb.3994:                             ;   in Loop: Header=BB4_3710 Depth=2
	v_cmp_lt_u64_e32 vcc, s[58:59], v[10:11]
	v_add_u32_e32 v5, 7, v7
	v_cndmask_b32_e32 v5, v6, v5, vcc
	v_cndmask_b32_e64 v6, 0, 1, vcc
	v_lshrrev_b64 v[10:11], v6, v[10:11]
; %bb.3995:                             ;   in Loop: Header=BB4_3710 Depth=2
	s_andn2_saveexec_b64 s[18:19], s[18:19]
; %bb.3996:                             ;   in Loop: Header=BB4_3710 Depth=2
	v_bfe_u32 v5, v10, 23, 1
; %bb.3997:                             ;   in Loop: Header=BB4_3710 Depth=2
	s_or_b64 exec, exec, s[18:19]
	v_lshrrev_b64 v[6:7], 20, v[10:11]
	v_cmp_gt_i32_e32 vcc, 16, v5
	v_cndmask_b32_e32 v7, 0, v7, vcc
	v_cndmask_b32_e32 v6, 7, v6, vcc
	v_cmp_eq_u32_e32 vcc, 0, v5
	v_min_i32_e32 v5, 15, v5
	v_cmp_eq_u64_e64 s[18:19], 0, v[6:7]
	v_lshlrev_b32_e32 v5, 3, v5
	v_and_b32_e32 v5, 0xf8, v5
	v_and_or_b32 v5, v6, 7, v5
	s_and_b64 s[18:19], vcc, s[18:19]
	v_cndmask_b32_e64 v5, v5, 0, s[18:19]
	v_or_b32_e32 v32, v5, v1
.LBB4_3998:                             ;   in Loop: Header=BB4_3710 Depth=2
	s_or_b64 exec, exec, s[88:89]
                                        ; implicit-def: $vgpr1
.LBB4_3999:                             ;   in Loop: Header=BB4_3710 Depth=2
	s_andn2_saveexec_b64 s[18:19], s[78:79]
; %bb.4000:                             ;   in Loop: Header=BB4_3710 Depth=2
	v_or_b32_e32 v32, 0x7e, v1
; %bb.4001:                             ;   in Loop: Header=BB4_3710 Depth=2
	s_or_b64 exec, exec, s[18:19]
                                        ; implicit-def: $vgpr5
.LBB4_4002:                             ;   in Loop: Header=BB4_3710 Depth=2
	s_andn2_saveexec_b64 s[18:19], s[76:77]
; %bb.4003:                             ;   in Loop: Header=BB4_3710 Depth=2
	v_or_b32_sdwa v32, v5, s39 dst_sel:DWORD dst_unused:UNUSED_PAD src0_sel:BYTE_3 src1_sel:DWORD
; %bb.4004:                             ;   in Loop: Header=BB4_3710 Depth=2
	s_or_b64 exec, exec, s[18:19]
	v_lshrrev_b16_e32 v10, 8, v34
	v_cmp_ne_u16_e32 vcc, 0, v10
	v_mov_b32_e32 v1, 0
	s_and_saveexec_b64 s[18:19], vcc
	s_cbranch_execz .LBB4_4010
; %bb.4005:                             ;   in Loop: Header=BB4_3710 Depth=2
	v_cmp_ne_u16_e32 vcc, s50, v10
	v_bfrev_b32_e32 v1, 1
	s_and_saveexec_b64 s[76:77], vcc
	s_cbranch_execz .LBB4_4009
; %bb.4006:                             ;   in Loop: Header=BB4_3710 Depth=2
	v_and_b32_e32 v5, 0x7f, v10
	v_cmp_ne_u32_e32 vcc, s39, v5
	v_mov_b32_e32 v1, 0x7f800001
	s_and_saveexec_b64 s[78:79], vcc
	s_cbranch_execz .LBB4_4008
; %bb.4007:                             ;   in Loop: Header=BB4_3710 Depth=2
	v_and_b32_e32 v1, 7, v10
	v_lshrrev_b32_e32 v7, 3, v5
	v_cmp_gt_u32_e32 vcc, 8, v5
	v_ffbh_u32_e32 v5, v1
	v_min_u32_e32 v9, 32, v5
	v_subrev_u32_e32 v5, 28, v9
	v_lshlrev_b64 v[5:6], v5, v[10:11]
	v_sub_u32_e32 v6, 29, v9
	v_and_b32_e32 v5, 7, v5
	v_cndmask_b32_e32 v6, v7, v6, vcc
	v_cndmask_b32_e32 v1, v1, v5, vcc
	v_lshlrev_b32_e32 v5, 16, v34
	v_lshlrev_b32_e32 v1, 20, v1
	v_and_b32_e32 v5, 0x80000000, v5
	v_lshl_add_u32 v6, v6, 23, v58
	v_or3_b32 v1, v5, v6, v1
.LBB4_4008:                             ;   in Loop: Header=BB4_3710 Depth=2
	s_or_b64 exec, exec, s[78:79]
.LBB4_4009:                             ;   in Loop: Header=BB4_3710 Depth=2
	s_or_b64 exec, exec, s[76:77]
.LBB4_4010:                             ;   in Loop: Header=BB4_3710 Depth=2
	s_or_b64 exec, exec, s[18:19]
	v_mul_f32_e32 v5, v3, v1
	v_and_b32_e32 v34, 0x7f800000, v5
	v_cmp_ne_u64_e32 vcc, s[46:47], v[34:35]
                                        ; implicit-def: $vgpr62
	s_and_saveexec_b64 s[18:19], vcc
	s_xor_b64 s[76:77], exec, s[18:19]
	s_cbranch_execz .LBB4_4024
; %bb.4011:                             ;   in Loop: Header=BB4_3710 Depth=2
	v_and_b32_e32 v34, 0x7fffffff, v5
	v_cmp_gt_u64_e32 vcc, s[56:57], v[34:35]
	v_and_b32_sdwa v1, v5, s50 dst_sel:DWORD dst_unused:UNUSED_PAD src0_sel:BYTE_3 src1_sel:DWORD
                                        ; implicit-def: $vgpr62
	s_and_saveexec_b64 s[18:19], vcc
	s_xor_b64 s[78:79], exec, s[18:19]
	s_cbranch_execz .LBB4_4021
; %bb.4012:                             ;   in Loop: Header=BB4_3710 Depth=2
	v_mov_b32_e32 v62, 0
	v_cmp_ne_u32_e32 vcc, 0, v5
	s_and_saveexec_b64 s[88:89], vcc
	s_cbranch_execz .LBB4_4020
; %bb.4013:                             ;   in Loop: Header=BB4_3710 Depth=2
	v_and_b32_e32 v7, 0x7fffff, v5
	v_bfe_u32 v5, v5, 23, 8
	v_cmp_gt_u32_e64 s[18:19], s51, v5
	v_sub_u32_e32 v6, 0x79, v5
	v_cmp_eq_u32_e32 vcc, 0, v5
	v_cndmask_b32_e64 v6, 0, v6, s[18:19]
	v_or_b32_e32 v9, 0x800000, v7
	v_cndmask_b32_e32 v6, v6, v59, vcc
	v_cndmask_b32_e32 v34, v9, v7, vcc
	v_add_u32_e32 v7, 20, v6
	v_lshlrev_b64 v[9:10], v7, -1
	v_add_u32_e32 v7, 19, v6
	v_lshlrev_b64 v[14:15], v7, 1
	v_bfi_b32 v10, v10, 0, 0
	v_bfi_b32 v9, v9, 0, v34
	v_cmp_eq_u64_e64 s[18:19], v[9:10], v[14:15]
	v_lshrrev_b64 v[10:11], v6, v[34:35]
	v_mov_b32_e32 v15, v11
	v_mov_b32_e32 v14, v10
	s_and_saveexec_b64 s[90:91], s[18:19]
; %bb.4014:                             ;   in Loop: Header=BB4_3710 Depth=2
	v_bfe_u32 v7, v10, 20, 1
	v_add_co_u32_e64 v7, s[18:19], v10, v7
	v_add_co_u32_e64 v14, s[18:19], -1, v7
; %bb.4015:                             ;   in Loop: Header=BB4_3710 Depth=2
	s_or_b64 exec, exec, s[90:91]
	v_add_u32_e32 v5, 0xffffff81, v5
	v_cndmask_b32_e32 v5, v5, v60, vcc
	v_lshrrev_b32_e32 v7, 23, v10
	v_add3_u32 v7, v6, v5, v7
	v_add_u32_e32 v6, 6, v7
	v_and_b32_e32 v5, 0xfffff, v14
	v_add_u32_e32 v34, v5, v10
	v_cmp_ne_u32_e32 vcc, 0, v6
                                        ; implicit-def: $vgpr10_vgpr11
                                        ; implicit-def: $vgpr5
	s_and_saveexec_b64 s[18:19], vcc
	s_xor_b64 s[18:19], exec, s[18:19]
; %bb.4016:                             ;   in Loop: Header=BB4_3710 Depth=2
	v_cmp_lt_u64_e32 vcc, s[58:59], v[34:35]
	v_add_u32_e32 v5, 7, v7
	v_cndmask_b32_e32 v5, v6, v5, vcc
	v_cndmask_b32_e64 v6, 0, 1, vcc
	v_lshrrev_b64 v[10:11], v6, v[34:35]
; %bb.4017:                             ;   in Loop: Header=BB4_3710 Depth=2
	s_andn2_saveexec_b64 s[18:19], s[18:19]
; %bb.4018:                             ;   in Loop: Header=BB4_3710 Depth=2
	v_mov_b32_e32 v10, v34
	v_bfe_u32 v5, v34, 23, 1
	v_mov_b32_e32 v11, v35
; %bb.4019:                             ;   in Loop: Header=BB4_3710 Depth=2
	s_or_b64 exec, exec, s[18:19]
	v_lshrrev_b64 v[6:7], 20, v[10:11]
	v_cmp_gt_i32_e32 vcc, 16, v5
	v_cndmask_b32_e32 v7, 0, v7, vcc
	v_cndmask_b32_e32 v6, 7, v6, vcc
	v_cmp_eq_u32_e32 vcc, 0, v5
	v_min_i32_e32 v5, 15, v5
	v_cmp_eq_u64_e64 s[18:19], 0, v[6:7]
	v_lshlrev_b32_e32 v5, 3, v5
	v_and_b32_e32 v5, 0xf8, v5
	v_and_or_b32 v5, v6, 7, v5
	s_and_b64 s[18:19], vcc, s[18:19]
	v_cndmask_b32_e64 v5, v5, 0, s[18:19]
	v_or_b32_e32 v62, v5, v1
.LBB4_4020:                             ;   in Loop: Header=BB4_3710 Depth=2
	s_or_b64 exec, exec, s[88:89]
                                        ; implicit-def: $vgpr1
.LBB4_4021:                             ;   in Loop: Header=BB4_3710 Depth=2
	s_andn2_saveexec_b64 s[18:19], s[78:79]
; %bb.4022:                             ;   in Loop: Header=BB4_3710 Depth=2
	v_or_b32_e32 v62, 0x7e, v1
; %bb.4023:                             ;   in Loop: Header=BB4_3710 Depth=2
	s_or_b64 exec, exec, s[18:19]
                                        ; implicit-def: $vgpr5
.LBB4_4024:                             ;   in Loop: Header=BB4_3710 Depth=2
	s_andn2_saveexec_b64 s[18:19], s[76:77]
; %bb.4025:                             ;   in Loop: Header=BB4_3710 Depth=2
	v_or_b32_sdwa v62, v5, s39 dst_sel:DWORD dst_unused:UNUSED_PAD src0_sel:BYTE_3 src1_sel:DWORD
; %bb.4026:                             ;   in Loop: Header=BB4_3710 Depth=2
	s_or_b64 exec, exec, s[18:19]
	v_lshrrev_b32_e32 v10, 16, v13
	v_cmp_ne_u16_sdwa s[76:77], v10, v35 src0_sel:BYTE_0 src1_sel:DWORD
	v_mov_b32_e32 v1, 0
	s_and_saveexec_b64 s[18:19], s[76:77]
	s_cbranch_execz .LBB4_4032
; %bb.4027:                             ;   in Loop: Header=BB4_3710 Depth=2
	v_cmp_ne_u16_sdwa s[78:79], v10, s50 src0_sel:BYTE_0 src1_sel:DWORD
	v_bfrev_b32_e32 v1, 1
	s_and_saveexec_b64 s[76:77], s[78:79]
	s_cbranch_execz .LBB4_4031
; %bb.4028:                             ;   in Loop: Header=BB4_3710 Depth=2
	v_bfe_u32 v5, v13, 16, 7
	v_cmp_ne_u32_e32 vcc, s39, v5
	v_mov_b32_e32 v1, 0x7f800001
	s_and_saveexec_b64 s[78:79], vcc
	s_cbranch_execz .LBB4_4030
; %bb.4029:                             ;   in Loop: Header=BB4_3710 Depth=2
	v_and_b32_e32 v1, 7, v10
	v_lshrrev_b32_e32 v7, 3, v5
	v_cmp_gt_u32_e32 vcc, 8, v5
	v_ffbh_u32_e32 v5, v1
	v_min_u32_e32 v9, 32, v5
	v_subrev_u32_e32 v5, 28, v9
	v_lshlrev_b64 v[5:6], v5, v[10:11]
	v_sub_u32_e32 v6, 29, v9
	v_and_b32_e32 v5, 7, v5
	v_cndmask_b32_e32 v6, v7, v6, vcc
	v_cndmask_b32_e32 v1, v1, v5, vcc
	v_lshlrev_b32_e32 v5, 24, v10
	v_lshlrev_b32_e32 v1, 20, v1
	v_and_b32_e32 v5, 0x80000000, v5
	v_lshl_add_u32 v6, v6, 23, v58
	v_or3_b32 v1, v5, v6, v1
.LBB4_4030:                             ;   in Loop: Header=BB4_3710 Depth=2
	s_or_b64 exec, exec, s[78:79]
.LBB4_4031:                             ;   in Loop: Header=BB4_3710 Depth=2
	s_or_b64 exec, exec, s[76:77]
.LBB4_4032:                             ;   in Loop: Header=BB4_3710 Depth=2
	s_or_b64 exec, exec, s[18:19]
	v_mul_f32_e32 v5, v3, v1
	v_and_b32_e32 v34, 0x7f800000, v5
	v_cmp_ne_u64_e32 vcc, s[46:47], v[34:35]
                                        ; implicit-def: $vgpr50
	s_and_saveexec_b64 s[18:19], vcc
	s_xor_b64 s[76:77], exec, s[18:19]
	s_cbranch_execz .LBB4_4046
; %bb.4033:                             ;   in Loop: Header=BB4_3710 Depth=2
	v_and_b32_e32 v34, 0x7fffffff, v5
	v_cmp_gt_u64_e32 vcc, s[56:57], v[34:35]
	v_and_b32_sdwa v1, v5, s50 dst_sel:DWORD dst_unused:UNUSED_PAD src0_sel:BYTE_3 src1_sel:DWORD
                                        ; implicit-def: $vgpr50
	s_and_saveexec_b64 s[18:19], vcc
	s_xor_b64 s[78:79], exec, s[18:19]
	s_cbranch_execz .LBB4_4043
; %bb.4034:                             ;   in Loop: Header=BB4_3710 Depth=2
	v_mov_b32_e32 v50, 0
	v_cmp_ne_u32_e32 vcc, 0, v5
	s_and_saveexec_b64 s[88:89], vcc
	s_cbranch_execz .LBB4_4042
; %bb.4035:                             ;   in Loop: Header=BB4_3710 Depth=2
	v_and_b32_e32 v7, 0x7fffff, v5
	v_bfe_u32 v5, v5, 23, 8
	v_cmp_gt_u32_e64 s[18:19], s51, v5
	v_sub_u32_e32 v6, 0x79, v5
	v_cmp_eq_u32_e32 vcc, 0, v5
	v_cndmask_b32_e64 v6, 0, v6, s[18:19]
	v_or_b32_e32 v9, 0x800000, v7
	v_cndmask_b32_e32 v6, v6, v59, vcc
	v_cndmask_b32_e32 v34, v9, v7, vcc
	v_add_u32_e32 v7, 20, v6
	v_lshlrev_b64 v[9:10], v7, -1
	v_add_u32_e32 v7, 19, v6
	v_lshlrev_b64 v[14:15], v7, 1
	v_bfi_b32 v10, v10, 0, 0
	v_bfi_b32 v9, v9, 0, v34
	v_cmp_eq_u64_e64 s[18:19], v[9:10], v[14:15]
	v_lshrrev_b64 v[10:11], v6, v[34:35]
	v_mov_b32_e32 v15, v11
	v_mov_b32_e32 v14, v10
	s_and_saveexec_b64 s[90:91], s[18:19]
; %bb.4036:                             ;   in Loop: Header=BB4_3710 Depth=2
	v_bfe_u32 v7, v10, 20, 1
	v_add_co_u32_e64 v7, s[18:19], v10, v7
	v_add_co_u32_e64 v14, s[18:19], -1, v7
; %bb.4037:                             ;   in Loop: Header=BB4_3710 Depth=2
	s_or_b64 exec, exec, s[90:91]
	v_add_u32_e32 v5, 0xffffff81, v5
	v_cndmask_b32_e32 v5, v5, v60, vcc
	v_lshrrev_b32_e32 v7, 23, v10
	v_add3_u32 v7, v6, v5, v7
	v_add_u32_e32 v6, 6, v7
	v_and_b32_e32 v5, 0xfffff, v14
	v_add_u32_e32 v34, v5, v10
	v_cmp_ne_u32_e32 vcc, 0, v6
                                        ; implicit-def: $vgpr10_vgpr11
                                        ; implicit-def: $vgpr5
	s_and_saveexec_b64 s[18:19], vcc
	s_xor_b64 s[18:19], exec, s[18:19]
; %bb.4038:                             ;   in Loop: Header=BB4_3710 Depth=2
	v_cmp_lt_u64_e32 vcc, s[58:59], v[34:35]
	v_add_u32_e32 v5, 7, v7
	v_cndmask_b32_e32 v5, v6, v5, vcc
	v_cndmask_b32_e64 v6, 0, 1, vcc
	v_lshrrev_b64 v[10:11], v6, v[34:35]
; %bb.4039:                             ;   in Loop: Header=BB4_3710 Depth=2
	s_andn2_saveexec_b64 s[18:19], s[18:19]
; %bb.4040:                             ;   in Loop: Header=BB4_3710 Depth=2
	v_mov_b32_e32 v10, v34
	v_bfe_u32 v5, v34, 23, 1
	v_mov_b32_e32 v11, v35
; %bb.4041:                             ;   in Loop: Header=BB4_3710 Depth=2
	s_or_b64 exec, exec, s[18:19]
	v_lshrrev_b64 v[6:7], 20, v[10:11]
	v_cmp_gt_i32_e32 vcc, 16, v5
	v_cndmask_b32_e32 v7, 0, v7, vcc
	v_cndmask_b32_e32 v6, 7, v6, vcc
	v_cmp_eq_u32_e32 vcc, 0, v5
	v_min_i32_e32 v5, 15, v5
	v_cmp_eq_u64_e64 s[18:19], 0, v[6:7]
	v_lshlrev_b32_e32 v5, 3, v5
	v_and_b32_e32 v5, 0xf8, v5
	v_and_or_b32 v5, v6, 7, v5
	s_and_b64 s[18:19], vcc, s[18:19]
	v_cndmask_b32_e64 v5, v5, 0, s[18:19]
	v_or_b32_e32 v50, v5, v1
.LBB4_4042:                             ;   in Loop: Header=BB4_3710 Depth=2
	s_or_b64 exec, exec, s[88:89]
                                        ; implicit-def: $vgpr1
.LBB4_4043:                             ;   in Loop: Header=BB4_3710 Depth=2
	s_andn2_saveexec_b64 s[18:19], s[78:79]
; %bb.4044:                             ;   in Loop: Header=BB4_3710 Depth=2
	v_or_b32_e32 v50, 0x7e, v1
; %bb.4045:                             ;   in Loop: Header=BB4_3710 Depth=2
	s_or_b64 exec, exec, s[18:19]
                                        ; implicit-def: $vgpr5
.LBB4_4046:                             ;   in Loop: Header=BB4_3710 Depth=2
	s_andn2_saveexec_b64 s[18:19], s[76:77]
; %bb.4047:                             ;   in Loop: Header=BB4_3710 Depth=2
	v_or_b32_sdwa v50, v5, s39 dst_sel:DWORD dst_unused:UNUSED_PAD src0_sel:BYTE_3 src1_sel:DWORD
; %bb.4048:                             ;   in Loop: Header=BB4_3710 Depth=2
	s_or_b64 exec, exec, s[18:19]
	v_cmp_lt_u64_e32 vcc, s[60:61], v[12:13]
	v_mov_b32_e32 v1, 0
	s_and_saveexec_b64 s[18:19], vcc
	s_cbranch_execz .LBB4_4054
; %bb.4049:                             ;   in Loop: Header=BB4_3710 Depth=2
	v_lshrrev_b32_e32 v10, 24, v13
	v_cmp_ne_u32_e32 vcc, s50, v10
	v_bfrev_b32_e32 v1, 1
	s_and_saveexec_b64 s[76:77], vcc
	s_cbranch_execz .LBB4_4053
; %bb.4050:                             ;   in Loop: Header=BB4_3710 Depth=2
	v_bfe_u32 v5, v13, 24, 7
	v_cmp_ne_u32_e32 vcc, s39, v5
	v_mov_b32_e32 v1, 0x7f800001
	s_and_saveexec_b64 s[78:79], vcc
	s_cbranch_execz .LBB4_4052
; %bb.4051:                             ;   in Loop: Header=BB4_3710 Depth=2
	v_and_b32_e32 v1, 7, v10
	v_lshrrev_b32_e32 v7, 3, v5
	v_cmp_gt_u32_e32 vcc, 8, v5
	v_ffbh_u32_e32 v5, v1
	v_min_u32_e32 v9, 32, v5
	v_subrev_u32_e32 v5, 28, v9
	v_lshlrev_b64 v[5:6], v5, v[10:11]
	v_sub_u32_e32 v6, 29, v9
	v_and_b32_e32 v5, 7, v5
	v_cndmask_b32_e32 v6, v7, v6, vcc
	v_cndmask_b32_e32 v1, v1, v5, vcc
	v_lshlrev_b32_e32 v5, 24, v10
	v_lshlrev_b32_e32 v1, 20, v1
	v_and_b32_e32 v5, 0x80000000, v5
	v_lshl_add_u32 v6, v6, 23, v58
	v_or3_b32 v1, v5, v6, v1
.LBB4_4052:                             ;   in Loop: Header=BB4_3710 Depth=2
	s_or_b64 exec, exec, s[78:79]
.LBB4_4053:                             ;   in Loop: Header=BB4_3710 Depth=2
	s_or_b64 exec, exec, s[76:77]
.LBB4_4054:                             ;   in Loop: Header=BB4_3710 Depth=2
	s_or_b64 exec, exec, s[18:19]
	v_mul_f32_e32 v5, v3, v1
	v_and_b32_e32 v34, 0x7f800000, v5
	v_cmp_ne_u64_e32 vcc, s[46:47], v[34:35]
                                        ; implicit-def: $vgpr47
	s_and_saveexec_b64 s[18:19], vcc
	s_xor_b64 s[76:77], exec, s[18:19]
	s_cbranch_execz .LBB4_4068
; %bb.4055:                             ;   in Loop: Header=BB4_3710 Depth=2
	v_and_b32_e32 v34, 0x7fffffff, v5
	v_cmp_gt_u64_e32 vcc, s[56:57], v[34:35]
	v_and_b32_sdwa v1, v5, s50 dst_sel:DWORD dst_unused:UNUSED_PAD src0_sel:BYTE_3 src1_sel:DWORD
                                        ; implicit-def: $vgpr47
	s_and_saveexec_b64 s[18:19], vcc
	s_xor_b64 s[78:79], exec, s[18:19]
	s_cbranch_execz .LBB4_4065
; %bb.4056:                             ;   in Loop: Header=BB4_3710 Depth=2
	v_mov_b32_e32 v47, 0
	v_cmp_ne_u32_e32 vcc, 0, v5
	s_and_saveexec_b64 s[88:89], vcc
	s_cbranch_execz .LBB4_4064
; %bb.4057:                             ;   in Loop: Header=BB4_3710 Depth=2
	v_and_b32_e32 v7, 0x7fffff, v5
	v_bfe_u32 v5, v5, 23, 8
	v_cmp_gt_u32_e64 s[18:19], s51, v5
	v_sub_u32_e32 v6, 0x79, v5
	v_cmp_eq_u32_e32 vcc, 0, v5
	v_cndmask_b32_e64 v6, 0, v6, s[18:19]
	v_or_b32_e32 v9, 0x800000, v7
	v_cndmask_b32_e32 v6, v6, v59, vcc
	v_cndmask_b32_e32 v34, v9, v7, vcc
	v_add_u32_e32 v7, 20, v6
	v_lshlrev_b64 v[9:10], v7, -1
	v_add_u32_e32 v7, 19, v6
	v_lshlrev_b64 v[11:12], v7, 1
	v_bfi_b32 v10, v10, 0, 0
	v_bfi_b32 v9, v9, 0, v34
	v_cmp_eq_u64_e64 s[18:19], v[9:10], v[11:12]
	v_lshrrev_b64 v[10:11], v6, v[34:35]
	v_mov_b32_e32 v12, v11
	v_mov_b32_e32 v11, v10
	s_and_saveexec_b64 s[90:91], s[18:19]
; %bb.4058:                             ;   in Loop: Header=BB4_3710 Depth=2
	v_bfe_u32 v7, v10, 20, 1
	v_add_co_u32_e64 v7, s[18:19], v10, v7
	v_add_co_u32_e64 v11, s[18:19], -1, v7
; %bb.4059:                             ;   in Loop: Header=BB4_3710 Depth=2
	s_or_b64 exec, exec, s[90:91]
	v_add_u32_e32 v5, 0xffffff81, v5
	v_cndmask_b32_e32 v5, v5, v60, vcc
	v_lshrrev_b32_e32 v7, 23, v10
	v_add3_u32 v7, v6, v5, v7
	v_add_u32_e32 v6, 6, v7
	v_and_b32_e32 v5, 0xfffff, v11
	v_add_u32_e32 v34, v5, v10
	v_cmp_ne_u32_e32 vcc, 0, v6
                                        ; implicit-def: $vgpr10_vgpr11
                                        ; implicit-def: $vgpr5
	s_and_saveexec_b64 s[18:19], vcc
	s_xor_b64 s[18:19], exec, s[18:19]
; %bb.4060:                             ;   in Loop: Header=BB4_3710 Depth=2
	v_cmp_lt_u64_e32 vcc, s[58:59], v[34:35]
	v_add_u32_e32 v5, 7, v7
	v_cndmask_b32_e32 v5, v6, v5, vcc
	v_cndmask_b32_e64 v6, 0, 1, vcc
	v_lshrrev_b64 v[10:11], v6, v[34:35]
; %bb.4061:                             ;   in Loop: Header=BB4_3710 Depth=2
	s_andn2_saveexec_b64 s[18:19], s[18:19]
; %bb.4062:                             ;   in Loop: Header=BB4_3710 Depth=2
	v_mov_b32_e32 v10, v34
	v_bfe_u32 v5, v34, 23, 1
	v_mov_b32_e32 v11, v35
; %bb.4063:                             ;   in Loop: Header=BB4_3710 Depth=2
	s_or_b64 exec, exec, s[18:19]
	v_lshrrev_b64 v[6:7], 20, v[10:11]
	v_cmp_gt_i32_e32 vcc, 16, v5
	v_cndmask_b32_e32 v7, 0, v7, vcc
	v_cndmask_b32_e32 v6, 7, v6, vcc
	v_cmp_eq_u32_e32 vcc, 0, v5
	v_min_i32_e32 v5, 15, v5
	v_cmp_eq_u64_e64 s[18:19], 0, v[6:7]
	v_lshlrev_b32_e32 v5, 3, v5
	v_and_b32_e32 v5, 0xf8, v5
	v_and_or_b32 v5, v6, 7, v5
	s_and_b64 s[18:19], vcc, s[18:19]
	v_cndmask_b32_e64 v5, v5, 0, s[18:19]
	v_or_b32_e32 v47, v5, v1
.LBB4_4064:                             ;   in Loop: Header=BB4_3710 Depth=2
	s_or_b64 exec, exec, s[88:89]
                                        ; implicit-def: $vgpr1
.LBB4_4065:                             ;   in Loop: Header=BB4_3710 Depth=2
	s_andn2_saveexec_b64 s[18:19], s[78:79]
; %bb.4066:                             ;   in Loop: Header=BB4_3710 Depth=2
	v_or_b32_e32 v47, 0x7e, v1
; %bb.4067:                             ;   in Loop: Header=BB4_3710 Depth=2
	s_or_b64 exec, exec, s[18:19]
                                        ; implicit-def: $vgpr5
.LBB4_4068:                             ;   in Loop: Header=BB4_3710 Depth=2
	s_andn2_saveexec_b64 s[18:19], s[76:77]
; %bb.4069:                             ;   in Loop: Header=BB4_3710 Depth=2
	v_or_b32_sdwa v47, v5, s39 dst_sel:DWORD dst_unused:UNUSED_PAD src0_sel:BYTE_3 src1_sel:DWORD
; %bb.4070:                             ;   in Loop: Header=BB4_3710 Depth=2
	s_or_b64 exec, exec, s[18:19]
	global_load_dwordx4 v[10:13], v[52:53], off offset:1024 glc slc
	v_mov_b32_e32 v1, 0
	s_waitcnt vmcnt(0)
	v_cmp_ne_u16_sdwa s[76:77], v10, v35 src0_sel:BYTE_0 src1_sel:DWORD
	s_and_saveexec_b64 s[18:19], s[76:77]
	s_cbranch_execz .LBB4_4076
; %bb.4071:                             ;   in Loop: Header=BB4_3710 Depth=2
	v_cmp_ne_u16_sdwa s[78:79], v10, s50 src0_sel:BYTE_0 src1_sel:DWORD
	v_bfrev_b32_e32 v1, 1
	s_and_saveexec_b64 s[76:77], s[78:79]
	s_cbranch_execz .LBB4_4075
; %bb.4072:                             ;   in Loop: Header=BB4_3710 Depth=2
	v_and_b32_e32 v5, 0x7f, v10
	v_cmp_ne_u32_e32 vcc, s39, v5
	v_mov_b32_e32 v1, 0x7f800001
	s_and_saveexec_b64 s[78:79], vcc
	s_cbranch_execz .LBB4_4074
; %bb.4073:                             ;   in Loop: Header=BB4_3710 Depth=2
	v_and_b32_e32 v1, 7, v10
	v_ffbh_u32_e32 v1, v1
	v_min_u32_e32 v1, 32, v1
	v_lshrrev_b32_e32 v6, 3, v5
	v_cmp_gt_u32_e32 vcc, 8, v5
	v_subrev_u32_e32 v5, 28, v1
	v_sub_u32_e32 v1, 29, v1
	v_cndmask_b32_e32 v5, 0, v5, vcc
	v_cndmask_b32_e32 v1, v6, v1, vcc
	v_lshlrev_b64 v[5:6], v5, v[10:11]
	v_lshlrev_b32_e32 v6, 24, v10
	v_lshlrev_b32_e32 v5, 20, v5
	v_and_b32_e32 v5, 0x700000, v5
	v_and_b32_e32 v6, 0x80000000, v6
	v_lshl_add_u32 v1, v1, 23, v58
	v_or3_b32 v1, v6, v1, v5
.LBB4_4074:                             ;   in Loop: Header=BB4_3710 Depth=2
	s_or_b64 exec, exec, s[78:79]
.LBB4_4075:                             ;   in Loop: Header=BB4_3710 Depth=2
	s_or_b64 exec, exec, s[76:77]
.LBB4_4076:                             ;   in Loop: Header=BB4_3710 Depth=2
	s_or_b64 exec, exec, s[18:19]
	v_mul_f32_e32 v5, v3, v1
	v_and_b32_e32 v34, 0x7f800000, v5
	v_cmp_ne_u64_e32 vcc, s[46:47], v[34:35]
                                        ; implicit-def: $vgpr19
	s_and_saveexec_b64 s[18:19], vcc
	s_xor_b64 s[76:77], exec, s[18:19]
	s_cbranch_execz .LBB4_4090
; %bb.4077:                             ;   in Loop: Header=BB4_3710 Depth=2
	v_and_b32_e32 v34, 0x7fffffff, v5
	v_cmp_gt_u64_e32 vcc, s[56:57], v[34:35]
	v_and_b32_sdwa v1, v5, s50 dst_sel:DWORD dst_unused:UNUSED_PAD src0_sel:BYTE_3 src1_sel:DWORD
                                        ; implicit-def: $vgpr19
	s_and_saveexec_b64 s[18:19], vcc
	s_xor_b64 s[78:79], exec, s[18:19]
	s_cbranch_execz .LBB4_4087
; %bb.4078:                             ;   in Loop: Header=BB4_3710 Depth=2
	v_mov_b32_e32 v19, 0
	v_cmp_ne_u32_e32 vcc, 0, v5
	s_and_saveexec_b64 s[88:89], vcc
	s_cbranch_execz .LBB4_4086
; %bb.4079:                             ;   in Loop: Header=BB4_3710 Depth=2
	v_and_b32_e32 v7, 0x7fffff, v5
	v_bfe_u32 v5, v5, 23, 8
	v_cmp_gt_u32_e64 s[18:19], s51, v5
	v_sub_u32_e32 v6, 0x79, v5
	v_cmp_eq_u32_e32 vcc, 0, v5
	v_cndmask_b32_e64 v6, 0, v6, s[18:19]
	v_or_b32_e32 v9, 0x800000, v7
	v_cndmask_b32_e32 v6, v6, v59, vcc
	v_cndmask_b32_e32 v34, v9, v7, vcc
	v_add_u32_e32 v7, 20, v6
	v_lshlrev_b64 v[14:15], v7, -1
	v_add_u32_e32 v7, 19, v6
	v_lshlrev_b64 v[16:17], v7, 1
	v_bfi_b32 v15, v15, 0, 0
	v_bfi_b32 v14, v14, 0, v34
	v_cmp_eq_u64_e64 s[18:19], v[14:15], v[16:17]
	v_lshrrev_b64 v[14:15], v6, v[34:35]
	v_mov_b32_e32 v16, v15
	v_mov_b32_e32 v15, v14
	s_and_saveexec_b64 s[90:91], s[18:19]
; %bb.4080:                             ;   in Loop: Header=BB4_3710 Depth=2
	v_bfe_u32 v7, v14, 20, 1
	v_add_co_u32_e64 v7, s[18:19], v14, v7
	v_add_co_u32_e64 v15, s[18:19], -1, v7
; %bb.4081:                             ;   in Loop: Header=BB4_3710 Depth=2
	s_or_b64 exec, exec, s[90:91]
	v_add_u32_e32 v5, 0xffffff81, v5
	v_cndmask_b32_e32 v5, v5, v60, vcc
	v_lshrrev_b32_e32 v7, 23, v14
	v_add3_u32 v7, v6, v5, v7
	v_add_u32_e32 v6, 6, v7
	v_and_b32_e32 v5, 0xfffff, v15
	v_add_u32_e32 v34, v5, v14
	v_cmp_ne_u32_e32 vcc, 0, v6
                                        ; implicit-def: $vgpr14_vgpr15
                                        ; implicit-def: $vgpr5
	s_and_saveexec_b64 s[18:19], vcc
	s_xor_b64 s[18:19], exec, s[18:19]
; %bb.4082:                             ;   in Loop: Header=BB4_3710 Depth=2
	v_cmp_lt_u64_e32 vcc, s[58:59], v[34:35]
	v_add_u32_e32 v5, 7, v7
	v_cndmask_b32_e32 v5, v6, v5, vcc
	v_cndmask_b32_e64 v6, 0, 1, vcc
	v_lshrrev_b64 v[14:15], v6, v[34:35]
; %bb.4083:                             ;   in Loop: Header=BB4_3710 Depth=2
	s_andn2_saveexec_b64 s[18:19], s[18:19]
; %bb.4084:                             ;   in Loop: Header=BB4_3710 Depth=2
	v_mov_b32_e32 v14, v34
	v_bfe_u32 v5, v34, 23, 1
	v_mov_b32_e32 v15, v35
; %bb.4085:                             ;   in Loop: Header=BB4_3710 Depth=2
	s_or_b64 exec, exec, s[18:19]
	v_lshrrev_b64 v[6:7], 20, v[14:15]
	v_cmp_gt_i32_e32 vcc, 16, v5
	v_cndmask_b32_e32 v7, 0, v7, vcc
	v_cndmask_b32_e32 v6, 7, v6, vcc
	v_cmp_eq_u32_e32 vcc, 0, v5
	v_min_i32_e32 v5, 15, v5
	v_cmp_eq_u64_e64 s[18:19], 0, v[6:7]
	v_lshlrev_b32_e32 v5, 3, v5
	v_and_b32_e32 v5, 0xf8, v5
	v_and_or_b32 v5, v6, 7, v5
	s_and_b64 s[18:19], vcc, s[18:19]
	v_cndmask_b32_e64 v5, v5, 0, s[18:19]
	v_or_b32_e32 v19, v5, v1
.LBB4_4086:                             ;   in Loop: Header=BB4_3710 Depth=2
	s_or_b64 exec, exec, s[88:89]
                                        ; implicit-def: $vgpr1
.LBB4_4087:                             ;   in Loop: Header=BB4_3710 Depth=2
	s_andn2_saveexec_b64 s[18:19], s[78:79]
; %bb.4088:                             ;   in Loop: Header=BB4_3710 Depth=2
	v_or_b32_e32 v19, 0x7e, v1
; %bb.4089:                             ;   in Loop: Header=BB4_3710 Depth=2
	s_or_b64 exec, exec, s[18:19]
                                        ; implicit-def: $vgpr5
.LBB4_4090:                             ;   in Loop: Header=BB4_3710 Depth=2
	s_andn2_saveexec_b64 s[18:19], s[76:77]
; %bb.4091:                             ;   in Loop: Header=BB4_3710 Depth=2
	v_or_b32_sdwa v19, v5, s39 dst_sel:DWORD dst_unused:UNUSED_PAD src0_sel:BYTE_3 src1_sel:DWORD
; %bb.4092:                             ;   in Loop: Header=BB4_3710 Depth=2
	s_or_b64 exec, exec, s[18:19]
	v_lshrrev_b16_e32 v14, 8, v10
	v_cmp_ne_u16_e32 vcc, 0, v14
	v_mov_b32_e32 v1, 0
	s_and_saveexec_b64 s[18:19], vcc
	s_cbranch_execz .LBB4_4098
; %bb.4093:                             ;   in Loop: Header=BB4_3710 Depth=2
	v_cmp_ne_u16_e32 vcc, s50, v14
	v_bfrev_b32_e32 v1, 1
	s_and_saveexec_b64 s[76:77], vcc
	s_cbranch_execz .LBB4_4097
; %bb.4094:                             ;   in Loop: Header=BB4_3710 Depth=2
	v_and_b32_e32 v5, 0x7f, v14
	v_cmp_ne_u32_e32 vcc, s39, v5
	v_mov_b32_e32 v1, 0x7f800001
	s_and_saveexec_b64 s[78:79], vcc
	s_cbranch_execz .LBB4_4096
; %bb.4095:                             ;   in Loop: Header=BB4_3710 Depth=2
	v_and_b32_e32 v1, 7, v14
	v_lshrrev_b32_e32 v7, 3, v5
	v_cmp_gt_u32_e32 vcc, 8, v5
	v_ffbh_u32_e32 v5, v1
	v_min_u32_e32 v9, 32, v5
	v_subrev_u32_e32 v5, 28, v9
	v_lshlrev_b64 v[5:6], v5, v[14:15]
	v_sub_u32_e32 v6, 29, v9
	v_and_b32_e32 v5, 7, v5
	v_cndmask_b32_e32 v6, v7, v6, vcc
	v_cndmask_b32_e32 v1, v1, v5, vcc
	v_lshlrev_b32_e32 v5, 16, v10
	v_lshlrev_b32_e32 v1, 20, v1
	v_and_b32_e32 v5, 0x80000000, v5
	v_lshl_add_u32 v6, v6, 23, v58
	v_or3_b32 v1, v5, v6, v1
.LBB4_4096:                             ;   in Loop: Header=BB4_3710 Depth=2
	s_or_b64 exec, exec, s[78:79]
.LBB4_4097:                             ;   in Loop: Header=BB4_3710 Depth=2
	s_or_b64 exec, exec, s[76:77]
.LBB4_4098:                             ;   in Loop: Header=BB4_3710 Depth=2
	s_or_b64 exec, exec, s[18:19]
	v_mul_f32_e32 v5, v3, v1
	v_and_b32_e32 v34, 0x7f800000, v5
	v_cmp_ne_u64_e32 vcc, s[46:47], v[34:35]
                                        ; implicit-def: $vgpr33
	s_and_saveexec_b64 s[18:19], vcc
	s_xor_b64 s[76:77], exec, s[18:19]
	s_cbranch_execz .LBB4_4112
; %bb.4099:                             ;   in Loop: Header=BB4_3710 Depth=2
	v_and_b32_e32 v34, 0x7fffffff, v5
	v_cmp_gt_u64_e32 vcc, s[56:57], v[34:35]
	v_and_b32_sdwa v1, v5, s50 dst_sel:DWORD dst_unused:UNUSED_PAD src0_sel:BYTE_3 src1_sel:DWORD
                                        ; implicit-def: $vgpr33
	s_and_saveexec_b64 s[18:19], vcc
	s_xor_b64 s[78:79], exec, s[18:19]
	s_cbranch_execz .LBB4_4109
; %bb.4100:                             ;   in Loop: Header=BB4_3710 Depth=2
	v_mov_b32_e32 v33, 0
	v_cmp_ne_u32_e32 vcc, 0, v5
	s_and_saveexec_b64 s[88:89], vcc
	s_cbranch_execz .LBB4_4108
; %bb.4101:                             ;   in Loop: Header=BB4_3710 Depth=2
	v_and_b32_e32 v7, 0x7fffff, v5
	v_bfe_u32 v5, v5, 23, 8
	v_cmp_gt_u32_e64 s[18:19], s51, v5
	v_sub_u32_e32 v6, 0x79, v5
	v_cmp_eq_u32_e32 vcc, 0, v5
	v_cndmask_b32_e64 v6, 0, v6, s[18:19]
	v_or_b32_e32 v9, 0x800000, v7
	v_cndmask_b32_e32 v6, v6, v59, vcc
	v_cndmask_b32_e32 v34, v9, v7, vcc
	v_add_u32_e32 v7, 20, v6
	v_lshlrev_b64 v[14:15], v7, -1
	v_add_u32_e32 v7, 19, v6
	v_lshlrev_b64 v[16:17], v7, 1
	v_bfi_b32 v15, v15, 0, 0
	v_bfi_b32 v14, v14, 0, v34
	v_cmp_eq_u64_e64 s[18:19], v[14:15], v[16:17]
	v_lshrrev_b64 v[14:15], v6, v[34:35]
	v_mov_b32_e32 v16, v15
	v_mov_b32_e32 v15, v14
	s_and_saveexec_b64 s[90:91], s[18:19]
; %bb.4102:                             ;   in Loop: Header=BB4_3710 Depth=2
	v_bfe_u32 v7, v14, 20, 1
	v_add_co_u32_e64 v7, s[18:19], v14, v7
	v_add_co_u32_e64 v15, s[18:19], -1, v7
; %bb.4103:                             ;   in Loop: Header=BB4_3710 Depth=2
	s_or_b64 exec, exec, s[90:91]
	v_add_u32_e32 v5, 0xffffff81, v5
	v_cndmask_b32_e32 v5, v5, v60, vcc
	v_lshrrev_b32_e32 v7, 23, v14
	v_add3_u32 v7, v6, v5, v7
	v_add_u32_e32 v6, 6, v7
	v_and_b32_e32 v5, 0xfffff, v15
	v_add_u32_e32 v34, v5, v14
	v_cmp_ne_u32_e32 vcc, 0, v6
                                        ; implicit-def: $vgpr14_vgpr15
                                        ; implicit-def: $vgpr5
	s_and_saveexec_b64 s[18:19], vcc
	s_xor_b64 s[18:19], exec, s[18:19]
; %bb.4104:                             ;   in Loop: Header=BB4_3710 Depth=2
	v_cmp_lt_u64_e32 vcc, s[58:59], v[34:35]
	v_add_u32_e32 v5, 7, v7
	v_cndmask_b32_e32 v5, v6, v5, vcc
	v_cndmask_b32_e64 v6, 0, 1, vcc
	v_lshrrev_b64 v[14:15], v6, v[34:35]
; %bb.4105:                             ;   in Loop: Header=BB4_3710 Depth=2
	s_andn2_saveexec_b64 s[18:19], s[18:19]
; %bb.4106:                             ;   in Loop: Header=BB4_3710 Depth=2
	v_mov_b32_e32 v14, v34
	v_bfe_u32 v5, v34, 23, 1
	v_mov_b32_e32 v15, v35
; %bb.4107:                             ;   in Loop: Header=BB4_3710 Depth=2
	s_or_b64 exec, exec, s[18:19]
	v_lshrrev_b64 v[6:7], 20, v[14:15]
	v_cmp_gt_i32_e32 vcc, 16, v5
	v_cndmask_b32_e32 v7, 0, v7, vcc
	v_cndmask_b32_e32 v6, 7, v6, vcc
	v_cmp_eq_u32_e32 vcc, 0, v5
	v_min_i32_e32 v5, 15, v5
	v_cmp_eq_u64_e64 s[18:19], 0, v[6:7]
	v_lshlrev_b32_e32 v5, 3, v5
	v_and_b32_e32 v5, 0xf8, v5
	v_and_or_b32 v5, v6, 7, v5
	s_and_b64 s[18:19], vcc, s[18:19]
	v_cndmask_b32_e64 v5, v5, 0, s[18:19]
	v_or_b32_e32 v33, v5, v1
.LBB4_4108:                             ;   in Loop: Header=BB4_3710 Depth=2
	s_or_b64 exec, exec, s[88:89]
                                        ; implicit-def: $vgpr1
.LBB4_4109:                             ;   in Loop: Header=BB4_3710 Depth=2
	s_andn2_saveexec_b64 s[18:19], s[78:79]
; %bb.4110:                             ;   in Loop: Header=BB4_3710 Depth=2
	v_or_b32_e32 v33, 0x7e, v1
; %bb.4111:                             ;   in Loop: Header=BB4_3710 Depth=2
	s_or_b64 exec, exec, s[18:19]
                                        ; implicit-def: $vgpr5
.LBB4_4112:                             ;   in Loop: Header=BB4_3710 Depth=2
	s_andn2_saveexec_b64 s[18:19], s[76:77]
; %bb.4113:                             ;   in Loop: Header=BB4_3710 Depth=2
	v_or_b32_sdwa v33, v5, s39 dst_sel:DWORD dst_unused:UNUSED_PAD src0_sel:BYTE_3 src1_sel:DWORD
; %bb.4114:                             ;   in Loop: Header=BB4_3710 Depth=2
	s_or_b64 exec, exec, s[18:19]
	v_lshrrev_b32_e32 v14, 16, v10
	v_cmp_ne_u16_sdwa s[76:77], v14, v35 src0_sel:BYTE_0 src1_sel:DWORD
	v_mov_b32_e32 v1, 0
	s_and_saveexec_b64 s[18:19], s[76:77]
	s_cbranch_execz .LBB4_4120
; %bb.4115:                             ;   in Loop: Header=BB4_3710 Depth=2
	v_cmp_ne_u16_sdwa s[78:79], v14, s50 src0_sel:BYTE_0 src1_sel:DWORD
	v_bfrev_b32_e32 v1, 1
	s_and_saveexec_b64 s[76:77], s[78:79]
	s_cbranch_execz .LBB4_4119
; %bb.4116:                             ;   in Loop: Header=BB4_3710 Depth=2
	v_bfe_u32 v5, v10, 16, 7
	v_cmp_ne_u32_e32 vcc, s39, v5
	v_mov_b32_e32 v1, 0x7f800001
	s_and_saveexec_b64 s[78:79], vcc
	s_cbranch_execz .LBB4_4118
; %bb.4117:                             ;   in Loop: Header=BB4_3710 Depth=2
	v_and_b32_e32 v1, 7, v14
	v_lshrrev_b32_e32 v7, 3, v5
	v_cmp_gt_u32_e32 vcc, 8, v5
	v_ffbh_u32_e32 v5, v1
	v_min_u32_e32 v9, 32, v5
	v_subrev_u32_e32 v5, 28, v9
	v_lshlrev_b64 v[5:6], v5, v[14:15]
	v_sub_u32_e32 v6, 29, v9
	v_and_b32_e32 v5, 7, v5
	v_cndmask_b32_e32 v6, v7, v6, vcc
	v_cndmask_b32_e32 v1, v1, v5, vcc
	v_lshlrev_b32_e32 v5, 24, v14
	v_lshlrev_b32_e32 v1, 20, v1
	v_and_b32_e32 v5, 0x80000000, v5
	v_lshl_add_u32 v6, v6, 23, v58
	v_or3_b32 v1, v5, v6, v1
.LBB4_4118:                             ;   in Loop: Header=BB4_3710 Depth=2
	s_or_b64 exec, exec, s[78:79]
.LBB4_4119:                             ;   in Loop: Header=BB4_3710 Depth=2
	s_or_b64 exec, exec, s[76:77]
.LBB4_4120:                             ;   in Loop: Header=BB4_3710 Depth=2
	s_or_b64 exec, exec, s[18:19]
	v_mul_f32_e32 v5, v3, v1
	v_and_b32_e32 v34, 0x7f800000, v5
	v_cmp_ne_u64_e32 vcc, s[46:47], v[34:35]
                                        ; implicit-def: $vgpr48
	s_and_saveexec_b64 s[18:19], vcc
	s_xor_b64 s[76:77], exec, s[18:19]
	s_cbranch_execz .LBB4_4134
; %bb.4121:                             ;   in Loop: Header=BB4_3710 Depth=2
	v_and_b32_e32 v34, 0x7fffffff, v5
	v_cmp_gt_u64_e32 vcc, s[56:57], v[34:35]
	v_and_b32_sdwa v1, v5, s50 dst_sel:DWORD dst_unused:UNUSED_PAD src0_sel:BYTE_3 src1_sel:DWORD
                                        ; implicit-def: $vgpr48
	s_and_saveexec_b64 s[18:19], vcc
	s_xor_b64 s[78:79], exec, s[18:19]
	s_cbranch_execz .LBB4_4131
; %bb.4122:                             ;   in Loop: Header=BB4_3710 Depth=2
	v_mov_b32_e32 v48, 0
	v_cmp_ne_u32_e32 vcc, 0, v5
	s_and_saveexec_b64 s[88:89], vcc
	s_cbranch_execz .LBB4_4130
; %bb.4123:                             ;   in Loop: Header=BB4_3710 Depth=2
	v_and_b32_e32 v7, 0x7fffff, v5
	v_bfe_u32 v5, v5, 23, 8
	v_cmp_gt_u32_e64 s[18:19], s51, v5
	v_sub_u32_e32 v6, 0x79, v5
	v_cmp_eq_u32_e32 vcc, 0, v5
	v_cndmask_b32_e64 v6, 0, v6, s[18:19]
	v_or_b32_e32 v9, 0x800000, v7
	v_cndmask_b32_e32 v6, v6, v59, vcc
	v_cndmask_b32_e32 v34, v9, v7, vcc
	v_add_u32_e32 v7, 20, v6
	v_lshlrev_b64 v[14:15], v7, -1
	v_add_u32_e32 v7, 19, v6
	v_lshlrev_b64 v[16:17], v7, 1
	v_bfi_b32 v15, v15, 0, 0
	v_bfi_b32 v14, v14, 0, v34
	v_cmp_eq_u64_e64 s[18:19], v[14:15], v[16:17]
	v_lshrrev_b64 v[14:15], v6, v[34:35]
	v_mov_b32_e32 v16, v15
	v_mov_b32_e32 v15, v14
	s_and_saveexec_b64 s[90:91], s[18:19]
; %bb.4124:                             ;   in Loop: Header=BB4_3710 Depth=2
	v_bfe_u32 v7, v14, 20, 1
	v_add_co_u32_e64 v7, s[18:19], v14, v7
	v_add_co_u32_e64 v15, s[18:19], -1, v7
; %bb.4125:                             ;   in Loop: Header=BB4_3710 Depth=2
	s_or_b64 exec, exec, s[90:91]
	v_add_u32_e32 v5, 0xffffff81, v5
	v_cndmask_b32_e32 v5, v5, v60, vcc
	v_lshrrev_b32_e32 v7, 23, v14
	v_add3_u32 v7, v6, v5, v7
	v_add_u32_e32 v6, 6, v7
	v_and_b32_e32 v5, 0xfffff, v15
	v_add_u32_e32 v34, v5, v14
	v_cmp_ne_u32_e32 vcc, 0, v6
                                        ; implicit-def: $vgpr14_vgpr15
                                        ; implicit-def: $vgpr5
	s_and_saveexec_b64 s[18:19], vcc
	s_xor_b64 s[18:19], exec, s[18:19]
; %bb.4126:                             ;   in Loop: Header=BB4_3710 Depth=2
	v_cmp_lt_u64_e32 vcc, s[58:59], v[34:35]
	v_add_u32_e32 v5, 7, v7
	v_cndmask_b32_e32 v5, v6, v5, vcc
	v_cndmask_b32_e64 v6, 0, 1, vcc
	v_lshrrev_b64 v[14:15], v6, v[34:35]
; %bb.4127:                             ;   in Loop: Header=BB4_3710 Depth=2
	s_andn2_saveexec_b64 s[18:19], s[18:19]
; %bb.4128:                             ;   in Loop: Header=BB4_3710 Depth=2
	v_mov_b32_e32 v14, v34
	v_bfe_u32 v5, v34, 23, 1
	v_mov_b32_e32 v15, v35
; %bb.4129:                             ;   in Loop: Header=BB4_3710 Depth=2
	s_or_b64 exec, exec, s[18:19]
	v_lshrrev_b64 v[6:7], 20, v[14:15]
	v_cmp_gt_i32_e32 vcc, 16, v5
	v_cndmask_b32_e32 v7, 0, v7, vcc
	v_cndmask_b32_e32 v6, 7, v6, vcc
	v_cmp_eq_u32_e32 vcc, 0, v5
	v_min_i32_e32 v5, 15, v5
	v_cmp_eq_u64_e64 s[18:19], 0, v[6:7]
	v_lshlrev_b32_e32 v5, 3, v5
	v_and_b32_e32 v5, 0xf8, v5
	v_and_or_b32 v5, v6, 7, v5
	s_and_b64 s[18:19], vcc, s[18:19]
	v_cndmask_b32_e64 v5, v5, 0, s[18:19]
	v_or_b32_e32 v48, v5, v1
.LBB4_4130:                             ;   in Loop: Header=BB4_3710 Depth=2
	s_or_b64 exec, exec, s[88:89]
                                        ; implicit-def: $vgpr1
.LBB4_4131:                             ;   in Loop: Header=BB4_3710 Depth=2
	s_andn2_saveexec_b64 s[18:19], s[78:79]
; %bb.4132:                             ;   in Loop: Header=BB4_3710 Depth=2
	v_or_b32_e32 v48, 0x7e, v1
; %bb.4133:                             ;   in Loop: Header=BB4_3710 Depth=2
	s_or_b64 exec, exec, s[18:19]
                                        ; implicit-def: $vgpr5
.LBB4_4134:                             ;   in Loop: Header=BB4_3710 Depth=2
	s_andn2_saveexec_b64 s[18:19], s[76:77]
; %bb.4135:                             ;   in Loop: Header=BB4_3710 Depth=2
	v_or_b32_sdwa v48, v5, s39 dst_sel:DWORD dst_unused:UNUSED_PAD src0_sel:BYTE_3 src1_sel:DWORD
; %bb.4136:                             ;   in Loop: Header=BB4_3710 Depth=2
	s_or_b64 exec, exec, s[18:19]
	v_cmp_lt_u32_e32 vcc, s61, v10
	v_mov_b32_e32 v1, 0
	s_and_saveexec_b64 s[18:19], vcc
	s_cbranch_execz .LBB4_4142
; %bb.4137:                             ;   in Loop: Header=BB4_3710 Depth=2
	v_lshrrev_b32_e32 v14, 24, v10
	v_cmp_ne_u32_e32 vcc, s50, v14
	v_bfrev_b32_e32 v1, 1
	s_and_saveexec_b64 s[76:77], vcc
	s_cbranch_execz .LBB4_4141
; %bb.4138:                             ;   in Loop: Header=BB4_3710 Depth=2
	v_bfe_u32 v5, v10, 24, 7
	v_cmp_ne_u32_e32 vcc, s39, v5
	v_mov_b32_e32 v1, 0x7f800001
	s_and_saveexec_b64 s[78:79], vcc
	s_cbranch_execz .LBB4_4140
; %bb.4139:                             ;   in Loop: Header=BB4_3710 Depth=2
	v_and_b32_e32 v1, 7, v14
	v_lshrrev_b32_e32 v7, 3, v5
	v_cmp_gt_u32_e32 vcc, 8, v5
	v_ffbh_u32_e32 v5, v1
	v_min_u32_e32 v9, 32, v5
	v_subrev_u32_e32 v5, 28, v9
	v_lshlrev_b64 v[5:6], v5, v[14:15]
	v_sub_u32_e32 v6, 29, v9
	v_and_b32_e32 v5, 7, v5
	v_cndmask_b32_e32 v6, v7, v6, vcc
	v_cndmask_b32_e32 v1, v1, v5, vcc
	v_lshlrev_b32_e32 v5, 24, v14
	v_lshlrev_b32_e32 v1, 20, v1
	v_and_b32_e32 v5, 0x80000000, v5
	v_lshl_add_u32 v6, v6, 23, v58
	v_or3_b32 v1, v5, v6, v1
.LBB4_4140:                             ;   in Loop: Header=BB4_3710 Depth=2
	s_or_b64 exec, exec, s[78:79]
.LBB4_4141:                             ;   in Loop: Header=BB4_3710 Depth=2
	s_or_b64 exec, exec, s[76:77]
.LBB4_4142:                             ;   in Loop: Header=BB4_3710 Depth=2
	s_or_b64 exec, exec, s[18:19]
	v_mul_f32_e32 v5, v3, v1
	v_and_b32_e32 v34, 0x7f800000, v5
	v_cmp_ne_u64_e32 vcc, s[46:47], v[34:35]
                                        ; implicit-def: $vgpr51
	s_and_saveexec_b64 s[18:19], vcc
	s_xor_b64 s[76:77], exec, s[18:19]
	s_cbranch_execz .LBB4_4156
; %bb.4143:                             ;   in Loop: Header=BB4_3710 Depth=2
	v_and_b32_e32 v34, 0x7fffffff, v5
	v_cmp_gt_u64_e32 vcc, s[56:57], v[34:35]
	v_and_b32_sdwa v1, v5, s50 dst_sel:DWORD dst_unused:UNUSED_PAD src0_sel:BYTE_3 src1_sel:DWORD
                                        ; implicit-def: $vgpr51
	s_and_saveexec_b64 s[18:19], vcc
	s_xor_b64 s[78:79], exec, s[18:19]
	s_cbranch_execz .LBB4_4153
; %bb.4144:                             ;   in Loop: Header=BB4_3710 Depth=2
	v_mov_b32_e32 v51, 0
	v_cmp_ne_u32_e32 vcc, 0, v5
	s_and_saveexec_b64 s[88:89], vcc
	s_cbranch_execz .LBB4_4152
; %bb.4145:                             ;   in Loop: Header=BB4_3710 Depth=2
	v_and_b32_e32 v7, 0x7fffff, v5
	v_bfe_u32 v5, v5, 23, 8
	v_cmp_gt_u32_e64 s[18:19], s51, v5
	v_sub_u32_e32 v6, 0x79, v5
	v_cmp_eq_u32_e32 vcc, 0, v5
	v_cndmask_b32_e64 v6, 0, v6, s[18:19]
	v_or_b32_e32 v9, 0x800000, v7
	v_cndmask_b32_e32 v6, v6, v59, vcc
	v_cndmask_b32_e32 v34, v9, v7, vcc
	v_add_u32_e32 v7, 20, v6
	v_lshlrev_b64 v[14:15], v7, -1
	v_add_u32_e32 v7, 19, v6
	v_lshlrev_b64 v[16:17], v7, 1
	v_bfi_b32 v15, v15, 0, 0
	v_bfi_b32 v14, v14, 0, v34
	v_cmp_eq_u64_e64 s[18:19], v[14:15], v[16:17]
	v_lshrrev_b64 v[14:15], v6, v[34:35]
	v_mov_b32_e32 v16, v15
	v_mov_b32_e32 v15, v14
	s_and_saveexec_b64 s[90:91], s[18:19]
; %bb.4146:                             ;   in Loop: Header=BB4_3710 Depth=2
	v_bfe_u32 v7, v14, 20, 1
	v_add_co_u32_e64 v7, s[18:19], v14, v7
	v_add_co_u32_e64 v15, s[18:19], -1, v7
; %bb.4147:                             ;   in Loop: Header=BB4_3710 Depth=2
	s_or_b64 exec, exec, s[90:91]
	v_add_u32_e32 v5, 0xffffff81, v5
	v_cndmask_b32_e32 v5, v5, v60, vcc
	v_lshrrev_b32_e32 v7, 23, v14
	v_add3_u32 v7, v6, v5, v7
	v_add_u32_e32 v6, 6, v7
	v_and_b32_e32 v5, 0xfffff, v15
	v_add_u32_e32 v34, v5, v14
	v_cmp_ne_u32_e32 vcc, 0, v6
                                        ; implicit-def: $vgpr14_vgpr15
                                        ; implicit-def: $vgpr5
	s_and_saveexec_b64 s[18:19], vcc
	s_xor_b64 s[18:19], exec, s[18:19]
; %bb.4148:                             ;   in Loop: Header=BB4_3710 Depth=2
	v_cmp_lt_u64_e32 vcc, s[58:59], v[34:35]
	v_add_u32_e32 v5, 7, v7
	v_cndmask_b32_e32 v5, v6, v5, vcc
	v_cndmask_b32_e64 v6, 0, 1, vcc
	v_lshrrev_b64 v[14:15], v6, v[34:35]
; %bb.4149:                             ;   in Loop: Header=BB4_3710 Depth=2
	s_andn2_saveexec_b64 s[18:19], s[18:19]
; %bb.4150:                             ;   in Loop: Header=BB4_3710 Depth=2
	v_mov_b32_e32 v14, v34
	v_bfe_u32 v5, v34, 23, 1
	v_mov_b32_e32 v15, v35
; %bb.4151:                             ;   in Loop: Header=BB4_3710 Depth=2
	s_or_b64 exec, exec, s[18:19]
	v_lshrrev_b64 v[6:7], 20, v[14:15]
	v_cmp_gt_i32_e32 vcc, 16, v5
	v_cndmask_b32_e32 v7, 0, v7, vcc
	v_cndmask_b32_e32 v6, 7, v6, vcc
	v_cmp_eq_u32_e32 vcc, 0, v5
	v_min_i32_e32 v5, 15, v5
	v_cmp_eq_u64_e64 s[18:19], 0, v[6:7]
	v_lshlrev_b32_e32 v5, 3, v5
	v_and_b32_e32 v5, 0xf8, v5
	v_and_or_b32 v5, v6, 7, v5
	s_and_b64 s[18:19], vcc, s[18:19]
	v_cndmask_b32_e64 v5, v5, 0, s[18:19]
	v_or_b32_e32 v51, v5, v1
.LBB4_4152:                             ;   in Loop: Header=BB4_3710 Depth=2
	s_or_b64 exec, exec, s[88:89]
                                        ; implicit-def: $vgpr1
.LBB4_4153:                             ;   in Loop: Header=BB4_3710 Depth=2
	s_andn2_saveexec_b64 s[18:19], s[78:79]
; %bb.4154:                             ;   in Loop: Header=BB4_3710 Depth=2
	v_or_b32_e32 v51, 0x7e, v1
; %bb.4155:                             ;   in Loop: Header=BB4_3710 Depth=2
	s_or_b64 exec, exec, s[18:19]
                                        ; implicit-def: $vgpr5
.LBB4_4156:                             ;   in Loop: Header=BB4_3710 Depth=2
	s_andn2_saveexec_b64 s[18:19], s[76:77]
; %bb.4157:                             ;   in Loop: Header=BB4_3710 Depth=2
	v_or_b32_sdwa v51, v5, s39 dst_sel:DWORD dst_unused:UNUSED_PAD src0_sel:BYTE_3 src1_sel:DWORD
; %bb.4158:                             ;   in Loop: Header=BB4_3710 Depth=2
	s_or_b64 exec, exec, s[18:19]
	v_mov_b32_e32 v34, v11
	v_cmp_ne_u16_sdwa s[76:77], v11, v35 src0_sel:BYTE_0 src1_sel:DWORD
	v_mov_b32_e32 v1, 0
	s_and_saveexec_b64 s[18:19], s[76:77]
	s_cbranch_execz .LBB4_4164
; %bb.4159:                             ;   in Loop: Header=BB4_3710 Depth=2
	v_cmp_ne_u16_sdwa s[78:79], v11, s50 src0_sel:BYTE_0 src1_sel:DWORD
	v_bfrev_b32_e32 v1, 1
	s_and_saveexec_b64 s[76:77], s[78:79]
	s_cbranch_execz .LBB4_4163
; %bb.4160:                             ;   in Loop: Header=BB4_3710 Depth=2
	v_and_b32_e32 v5, 0x7f, v11
	v_cmp_ne_u32_e32 vcc, s39, v5
	v_mov_b32_e32 v1, 0x7f800001
	s_and_saveexec_b64 s[78:79], vcc
	s_cbranch_execz .LBB4_4162
; %bb.4161:                             ;   in Loop: Header=BB4_3710 Depth=2
	v_and_b32_e32 v1, 7, v11
	v_ffbh_u32_e32 v1, v1
	v_min_u32_e32 v1, 32, v1
	v_lshrrev_b32_e32 v6, 3, v5
	v_cmp_gt_u32_e32 vcc, 8, v5
	v_subrev_u32_e32 v5, 28, v1
	v_sub_u32_e32 v1, 29, v1
	v_cndmask_b32_e32 v5, 0, v5, vcc
	v_cndmask_b32_e32 v1, v6, v1, vcc
	v_lshlrev_b64 v[5:6], v5, v[34:35]
	v_lshlrev_b32_e32 v6, 24, v34
	v_lshlrev_b32_e32 v5, 20, v5
	v_and_b32_e32 v5, 0x700000, v5
	v_and_b32_e32 v6, 0x80000000, v6
	v_lshl_add_u32 v1, v1, 23, v58
	v_or3_b32 v1, v6, v1, v5
.LBB4_4162:                             ;   in Loop: Header=BB4_3710 Depth=2
	s_or_b64 exec, exec, s[78:79]
.LBB4_4163:                             ;   in Loop: Header=BB4_3710 Depth=2
	s_or_b64 exec, exec, s[76:77]
.LBB4_4164:                             ;   in Loop: Header=BB4_3710 Depth=2
	s_or_b64 exec, exec, s[18:19]
	v_mul_f32_e32 v5, v3, v1
	v_and_b32_e32 v6, 0x7f800000, v5
	v_mov_b32_e32 v7, v35
	v_cmp_ne_u64_e32 vcc, s[46:47], v[6:7]
                                        ; implicit-def: $vgpr7
	s_and_saveexec_b64 s[18:19], vcc
	s_xor_b64 s[76:77], exec, s[18:19]
	s_cbranch_execz .LBB4_4178
; %bb.4165:                             ;   in Loop: Header=BB4_3710 Depth=2
	v_and_b32_e32 v6, 0x7fffffff, v5
	v_mov_b32_e32 v7, v35
	v_cmp_gt_u64_e32 vcc, s[56:57], v[6:7]
	v_and_b32_sdwa v1, v5, s50 dst_sel:DWORD dst_unused:UNUSED_PAD src0_sel:BYTE_3 src1_sel:DWORD
                                        ; implicit-def: $vgpr7
	s_and_saveexec_b64 s[18:19], vcc
	s_xor_b64 s[78:79], exec, s[18:19]
	s_cbranch_execz .LBB4_4175
; %bb.4166:                             ;   in Loop: Header=BB4_3710 Depth=2
	v_mov_b32_e32 v7, 0
	v_cmp_ne_u32_e32 vcc, 0, v5
	s_and_saveexec_b64 s[88:89], vcc
	s_cbranch_execz .LBB4_4174
; %bb.4167:                             ;   in Loop: Header=BB4_3710 Depth=2
	v_and_b32_e32 v7, 0x7fffff, v5
	v_bfe_u32 v5, v5, 23, 8
	v_cmp_gt_u32_e64 s[18:19], s51, v5
	v_sub_u32_e32 v6, 0x79, v5
	v_cmp_eq_u32_e32 vcc, 0, v5
	v_cndmask_b32_e64 v6, 0, v6, s[18:19]
	v_or_b32_e32 v9, 0x800000, v7
	v_cndmask_b32_e32 v6, v6, v59, vcc
	v_cndmask_b32_e32 v14, v9, v7, vcc
	v_add_u32_e32 v7, 20, v6
	v_lshlrev_b64 v[16:17], v7, -1
	v_mov_b32_e32 v15, v35
	v_add_u32_e32 v7, 19, v6
	v_bfi_b32 v16, v16, 0, v14
	v_lshlrev_b64 v[24:25], v7, 1
	v_lshrrev_b64 v[14:15], v6, v[14:15]
	v_bfi_b32 v17, v17, 0, 0
	v_cmp_eq_u64_e64 s[18:19], v[16:17], v[24:25]
	v_mov_b32_e32 v16, v15
	v_mov_b32_e32 v15, v14
	s_and_saveexec_b64 s[90:91], s[18:19]
; %bb.4168:                             ;   in Loop: Header=BB4_3710 Depth=2
	v_bfe_u32 v7, v14, 20, 1
	v_add_co_u32_e64 v7, s[18:19], v14, v7
	v_add_co_u32_e64 v15, s[18:19], -1, v7
; %bb.4169:                             ;   in Loop: Header=BB4_3710 Depth=2
	s_or_b64 exec, exec, s[90:91]
	v_add_u32_e32 v5, 0xffffff81, v5
	v_cndmask_b32_e32 v5, v5, v60, vcc
	v_lshrrev_b32_e32 v7, 23, v14
	v_add3_u32 v7, v6, v5, v7
	v_add_u32_e32 v6, 6, v7
	v_and_b32_e32 v5, 0xfffff, v15
	v_add_u32_e32 v14, v5, v14
	v_mov_b32_e32 v15, v35
	v_cmp_ne_u32_e32 vcc, 0, v6
                                        ; implicit-def: $vgpr5
	s_and_saveexec_b64 s[18:19], vcc
	s_xor_b64 s[18:19], exec, s[18:19]
; %bb.4170:                             ;   in Loop: Header=BB4_3710 Depth=2
	v_cmp_lt_u64_e32 vcc, s[58:59], v[14:15]
	v_add_u32_e32 v5, 7, v7
	v_cndmask_b32_e32 v5, v6, v5, vcc
	v_cndmask_b32_e64 v6, 0, 1, vcc
	v_lshrrev_b64 v[14:15], v6, v[14:15]
; %bb.4171:                             ;   in Loop: Header=BB4_3710 Depth=2
	s_andn2_saveexec_b64 s[18:19], s[18:19]
; %bb.4172:                             ;   in Loop: Header=BB4_3710 Depth=2
	v_bfe_u32 v5, v14, 23, 1
; %bb.4173:                             ;   in Loop: Header=BB4_3710 Depth=2
	s_or_b64 exec, exec, s[18:19]
	v_lshrrev_b64 v[6:7], 20, v[14:15]
	v_cmp_gt_i32_e32 vcc, 16, v5
	v_cndmask_b32_e32 v7, 0, v7, vcc
	v_cndmask_b32_e32 v6, 7, v6, vcc
	v_cmp_eq_u32_e32 vcc, 0, v5
	v_min_i32_e32 v5, 15, v5
	v_cmp_eq_u64_e64 s[18:19], 0, v[6:7]
	v_lshlrev_b32_e32 v5, 3, v5
	v_and_b32_e32 v5, 0xf8, v5
	v_and_or_b32 v5, v6, 7, v5
	s_and_b64 s[18:19], vcc, s[18:19]
	v_cndmask_b32_e64 v5, v5, 0, s[18:19]
	v_or_b32_e32 v7, v5, v1
.LBB4_4174:                             ;   in Loop: Header=BB4_3710 Depth=2
	s_or_b64 exec, exec, s[88:89]
                                        ; implicit-def: $vgpr1
.LBB4_4175:                             ;   in Loop: Header=BB4_3710 Depth=2
	s_andn2_saveexec_b64 s[18:19], s[78:79]
; %bb.4176:                             ;   in Loop: Header=BB4_3710 Depth=2
	v_or_b32_e32 v7, 0x7e, v1
; %bb.4177:                             ;   in Loop: Header=BB4_3710 Depth=2
	s_or_b64 exec, exec, s[18:19]
                                        ; implicit-def: $vgpr5
.LBB4_4178:                             ;   in Loop: Header=BB4_3710 Depth=2
	s_andn2_saveexec_b64 s[18:19], s[76:77]
; %bb.4179:                             ;   in Loop: Header=BB4_3710 Depth=2
	v_or_b32_sdwa v7, v5, s39 dst_sel:DWORD dst_unused:UNUSED_PAD src0_sel:BYTE_3 src1_sel:DWORD
; %bb.4180:                             ;   in Loop: Header=BB4_3710 Depth=2
	s_or_b64 exec, exec, s[18:19]
	v_lshrrev_b16_e32 v14, 8, v34
	v_cmp_ne_u16_e32 vcc, 0, v14
	v_mov_b32_e32 v1, 0
	s_and_saveexec_b64 s[18:19], vcc
	s_cbranch_execz .LBB4_4186
; %bb.4181:                             ;   in Loop: Header=BB4_3710 Depth=2
	v_cmp_ne_u16_e32 vcc, s50, v14
	v_bfrev_b32_e32 v1, 1
	s_and_saveexec_b64 s[76:77], vcc
	s_cbranch_execz .LBB4_4185
; %bb.4182:                             ;   in Loop: Header=BB4_3710 Depth=2
	v_and_b32_e32 v5, 0x7f, v14
	v_cmp_ne_u32_e32 vcc, s39, v5
	v_mov_b32_e32 v1, 0x7f800001
	s_and_saveexec_b64 s[78:79], vcc
	s_cbranch_execz .LBB4_4184
; %bb.4183:                             ;   in Loop: Header=BB4_3710 Depth=2
	v_and_b32_e32 v1, 7, v14
	v_lshrrev_b32_e32 v9, 3, v5
	v_cmp_gt_u32_e32 vcc, 8, v5
	v_ffbh_u32_e32 v5, v1
	v_min_u32_e32 v15, 32, v5
	v_subrev_u32_e32 v5, 28, v15
	v_lshlrev_b64 v[5:6], v5, v[14:15]
	v_sub_u32_e32 v6, 29, v15
	v_and_b32_e32 v5, 7, v5
	v_cndmask_b32_e32 v6, v9, v6, vcc
	v_cndmask_b32_e32 v1, v1, v5, vcc
	v_lshlrev_b32_e32 v5, 16, v34
	v_lshlrev_b32_e32 v1, 20, v1
	v_and_b32_e32 v5, 0x80000000, v5
	v_lshl_add_u32 v6, v6, 23, v58
	v_or3_b32 v1, v5, v6, v1
.LBB4_4184:                             ;   in Loop: Header=BB4_3710 Depth=2
	s_or_b64 exec, exec, s[78:79]
.LBB4_4185:                             ;   in Loop: Header=BB4_3710 Depth=2
	s_or_b64 exec, exec, s[76:77]
.LBB4_4186:                             ;   in Loop: Header=BB4_3710 Depth=2
	s_or_b64 exec, exec, s[18:19]
	v_mul_f32_e32 v5, v3, v1
	v_and_b32_e32 v34, 0x7f800000, v5
	v_cmp_ne_u64_e32 vcc, s[46:47], v[34:35]
                                        ; implicit-def: $vgpr24
	s_and_saveexec_b64 s[18:19], vcc
	s_xor_b64 s[76:77], exec, s[18:19]
	s_cbranch_execz .LBB4_4200
; %bb.4187:                             ;   in Loop: Header=BB4_3710 Depth=2
	v_and_b32_e32 v34, 0x7fffffff, v5
	v_cmp_gt_u64_e32 vcc, s[56:57], v[34:35]
	v_and_b32_sdwa v1, v5, s50 dst_sel:DWORD dst_unused:UNUSED_PAD src0_sel:BYTE_3 src1_sel:DWORD
                                        ; implicit-def: $vgpr24
	s_and_saveexec_b64 s[18:19], vcc
	s_xor_b64 s[78:79], exec, s[18:19]
	s_cbranch_execz .LBB4_4197
; %bb.4188:                             ;   in Loop: Header=BB4_3710 Depth=2
	v_mov_b32_e32 v24, 0
	v_cmp_ne_u32_e32 vcc, 0, v5
	s_and_saveexec_b64 s[88:89], vcc
	s_cbranch_execz .LBB4_4196
; %bb.4189:                             ;   in Loop: Header=BB4_3710 Depth=2
	v_and_b32_e32 v9, 0x7fffff, v5
	v_bfe_u32 v5, v5, 23, 8
	v_cmp_gt_u32_e64 s[18:19], s51, v5
	v_sub_u32_e32 v6, 0x79, v5
	v_cmp_eq_u32_e32 vcc, 0, v5
	v_cndmask_b32_e64 v6, 0, v6, s[18:19]
	v_or_b32_e32 v14, 0x800000, v9
	v_cndmask_b32_e32 v6, v6, v59, vcc
	v_cndmask_b32_e32 v34, v14, v9, vcc
	v_add_u32_e32 v9, 20, v6
	v_lshlrev_b64 v[14:15], v9, -1
	v_add_u32_e32 v9, 19, v6
	v_lshlrev_b64 v[16:17], v9, 1
	v_bfi_b32 v15, v15, 0, 0
	v_bfi_b32 v14, v14, 0, v34
	v_cmp_eq_u64_e64 s[18:19], v[14:15], v[16:17]
	v_lshrrev_b64 v[14:15], v6, v[34:35]
	v_mov_b32_e32 v16, v15
	v_mov_b32_e32 v15, v14
	s_and_saveexec_b64 s[90:91], s[18:19]
; %bb.4190:                             ;   in Loop: Header=BB4_3710 Depth=2
	v_bfe_u32 v9, v14, 20, 1
	v_add_co_u32_e64 v9, s[18:19], v14, v9
	v_add_co_u32_e64 v15, s[18:19], -1, v9
; %bb.4191:                             ;   in Loop: Header=BB4_3710 Depth=2
	s_or_b64 exec, exec, s[90:91]
	v_add_u32_e32 v5, 0xffffff81, v5
	v_cndmask_b32_e32 v5, v5, v60, vcc
	v_lshrrev_b32_e32 v9, 23, v14
	v_add3_u32 v9, v6, v5, v9
	v_add_u32_e32 v6, 6, v9
	v_and_b32_e32 v5, 0xfffff, v15
	v_add_u32_e32 v34, v5, v14
	v_cmp_ne_u32_e32 vcc, 0, v6
                                        ; implicit-def: $vgpr14_vgpr15
                                        ; implicit-def: $vgpr5
	s_and_saveexec_b64 s[18:19], vcc
	s_xor_b64 s[18:19], exec, s[18:19]
; %bb.4192:                             ;   in Loop: Header=BB4_3710 Depth=2
	v_cmp_lt_u64_e32 vcc, s[58:59], v[34:35]
	v_add_u32_e32 v5, 7, v9
	v_cndmask_b32_e32 v5, v6, v5, vcc
	v_cndmask_b32_e64 v6, 0, 1, vcc
	v_lshrrev_b64 v[14:15], v6, v[34:35]
; %bb.4193:                             ;   in Loop: Header=BB4_3710 Depth=2
	s_andn2_saveexec_b64 s[18:19], s[18:19]
; %bb.4194:                             ;   in Loop: Header=BB4_3710 Depth=2
	v_mov_b32_e32 v14, v34
	v_bfe_u32 v5, v34, 23, 1
	v_mov_b32_e32 v15, v35
; %bb.4195:                             ;   in Loop: Header=BB4_3710 Depth=2
	s_or_b64 exec, exec, s[18:19]
	v_lshrrev_b64 v[14:15], 20, v[14:15]
	v_cmp_gt_i32_e32 vcc, 16, v5
	v_cndmask_b32_e32 v15, 0, v15, vcc
	v_cndmask_b32_e32 v14, 7, v14, vcc
	v_cmp_eq_u32_e32 vcc, 0, v5
	v_min_i32_e32 v5, 15, v5
	v_cmp_eq_u64_e64 s[18:19], 0, v[14:15]
	v_lshlrev_b32_e32 v5, 3, v5
	v_and_b32_e32 v5, 0xf8, v5
	v_and_or_b32 v5, v14, 7, v5
	s_and_b64 s[18:19], vcc, s[18:19]
	v_cndmask_b32_e64 v5, v5, 0, s[18:19]
	v_or_b32_e32 v24, v5, v1
.LBB4_4196:                             ;   in Loop: Header=BB4_3710 Depth=2
	s_or_b64 exec, exec, s[88:89]
                                        ; implicit-def: $vgpr1
.LBB4_4197:                             ;   in Loop: Header=BB4_3710 Depth=2
	s_andn2_saveexec_b64 s[18:19], s[78:79]
; %bb.4198:                             ;   in Loop: Header=BB4_3710 Depth=2
	v_or_b32_e32 v24, 0x7e, v1
; %bb.4199:                             ;   in Loop: Header=BB4_3710 Depth=2
	s_or_b64 exec, exec, s[18:19]
                                        ; implicit-def: $vgpr5
.LBB4_4200:                             ;   in Loop: Header=BB4_3710 Depth=2
	s_andn2_saveexec_b64 s[18:19], s[76:77]
; %bb.4201:                             ;   in Loop: Header=BB4_3710 Depth=2
	v_or_b32_sdwa v24, v5, s39 dst_sel:DWORD dst_unused:UNUSED_PAD src0_sel:BYTE_3 src1_sel:DWORD
; %bb.4202:                             ;   in Loop: Header=BB4_3710 Depth=2
	s_or_b64 exec, exec, s[18:19]
	v_lshrrev_b32_e32 v14, 16, v11
	v_cmp_ne_u16_sdwa s[76:77], v14, v35 src0_sel:BYTE_0 src1_sel:DWORD
	v_mov_b32_e32 v1, 0
	s_and_saveexec_b64 s[18:19], s[76:77]
	s_cbranch_execz .LBB4_4208
; %bb.4203:                             ;   in Loop: Header=BB4_3710 Depth=2
	v_cmp_ne_u16_sdwa s[78:79], v14, s50 src0_sel:BYTE_0 src1_sel:DWORD
	v_bfrev_b32_e32 v1, 1
	s_and_saveexec_b64 s[76:77], s[78:79]
	s_cbranch_execz .LBB4_4207
; %bb.4204:                             ;   in Loop: Header=BB4_3710 Depth=2
	v_bfe_u32 v5, v11, 16, 7
	v_cmp_ne_u32_e32 vcc, s39, v5
	v_mov_b32_e32 v1, 0x7f800001
	s_and_saveexec_b64 s[78:79], vcc
	s_cbranch_execz .LBB4_4206
; %bb.4205:                             ;   in Loop: Header=BB4_3710 Depth=2
	v_and_b32_e32 v1, 7, v14
	v_lshrrev_b32_e32 v9, 3, v5
	v_cmp_gt_u32_e32 vcc, 8, v5
	v_ffbh_u32_e32 v5, v1
	v_min_u32_e32 v15, 32, v5
	v_subrev_u32_e32 v5, 28, v15
	v_lshlrev_b64 v[5:6], v5, v[14:15]
	v_sub_u32_e32 v6, 29, v15
	v_and_b32_e32 v5, 7, v5
	v_cndmask_b32_e32 v6, v9, v6, vcc
	v_cndmask_b32_e32 v1, v1, v5, vcc
	v_lshlrev_b32_e32 v5, 24, v14
	v_lshlrev_b32_e32 v1, 20, v1
	v_and_b32_e32 v5, 0x80000000, v5
	v_lshl_add_u32 v6, v6, 23, v58
	v_or3_b32 v1, v5, v6, v1
.LBB4_4206:                             ;   in Loop: Header=BB4_3710 Depth=2
	s_or_b64 exec, exec, s[78:79]
.LBB4_4207:                             ;   in Loop: Header=BB4_3710 Depth=2
	s_or_b64 exec, exec, s[76:77]
.LBB4_4208:                             ;   in Loop: Header=BB4_3710 Depth=2
	s_or_b64 exec, exec, s[18:19]
	v_mul_f32_e32 v5, v3, v1
	v_and_b32_e32 v34, 0x7f800000, v5
	v_cmp_ne_u64_e32 vcc, s[46:47], v[34:35]
                                        ; implicit-def: $vgpr56
	s_and_saveexec_b64 s[18:19], vcc
	s_xor_b64 s[76:77], exec, s[18:19]
	s_cbranch_execz .LBB4_4222
; %bb.4209:                             ;   in Loop: Header=BB4_3710 Depth=2
	v_and_b32_e32 v34, 0x7fffffff, v5
	v_cmp_gt_u64_e32 vcc, s[56:57], v[34:35]
	v_and_b32_sdwa v1, v5, s50 dst_sel:DWORD dst_unused:UNUSED_PAD src0_sel:BYTE_3 src1_sel:DWORD
                                        ; implicit-def: $vgpr56
	s_and_saveexec_b64 s[18:19], vcc
	s_xor_b64 s[78:79], exec, s[18:19]
	s_cbranch_execz .LBB4_4219
; %bb.4210:                             ;   in Loop: Header=BB4_3710 Depth=2
	v_mov_b32_e32 v56, 0
	v_cmp_ne_u32_e32 vcc, 0, v5
	s_and_saveexec_b64 s[88:89], vcc
	s_cbranch_execz .LBB4_4218
; %bb.4211:                             ;   in Loop: Header=BB4_3710 Depth=2
	v_and_b32_e32 v9, 0x7fffff, v5
	v_bfe_u32 v5, v5, 23, 8
	v_cmp_gt_u32_e64 s[18:19], s51, v5
	v_sub_u32_e32 v6, 0x79, v5
	v_cmp_eq_u32_e32 vcc, 0, v5
	v_cndmask_b32_e64 v6, 0, v6, s[18:19]
	v_or_b32_e32 v14, 0x800000, v9
	v_cndmask_b32_e32 v6, v6, v59, vcc
	v_cndmask_b32_e32 v34, v14, v9, vcc
	v_add_u32_e32 v9, 20, v6
	v_lshlrev_b64 v[14:15], v9, -1
	v_add_u32_e32 v9, 19, v6
	v_lshlrev_b64 v[16:17], v9, 1
	v_bfi_b32 v15, v15, 0, 0
	v_bfi_b32 v14, v14, 0, v34
	v_cmp_eq_u64_e64 s[18:19], v[14:15], v[16:17]
	v_lshrrev_b64 v[14:15], v6, v[34:35]
	v_mov_b32_e32 v16, v15
	v_mov_b32_e32 v15, v14
	s_and_saveexec_b64 s[90:91], s[18:19]
; %bb.4212:                             ;   in Loop: Header=BB4_3710 Depth=2
	v_bfe_u32 v9, v14, 20, 1
	v_add_co_u32_e64 v9, s[18:19], v14, v9
	v_add_co_u32_e64 v15, s[18:19], -1, v9
; %bb.4213:                             ;   in Loop: Header=BB4_3710 Depth=2
	s_or_b64 exec, exec, s[90:91]
	v_add_u32_e32 v5, 0xffffff81, v5
	v_cndmask_b32_e32 v5, v5, v60, vcc
	v_lshrrev_b32_e32 v9, 23, v14
	v_add3_u32 v9, v6, v5, v9
	v_add_u32_e32 v6, 6, v9
	v_and_b32_e32 v5, 0xfffff, v15
	v_add_u32_e32 v34, v5, v14
	v_cmp_ne_u32_e32 vcc, 0, v6
                                        ; implicit-def: $vgpr14_vgpr15
                                        ; implicit-def: $vgpr5
	s_and_saveexec_b64 s[18:19], vcc
	s_xor_b64 s[18:19], exec, s[18:19]
; %bb.4214:                             ;   in Loop: Header=BB4_3710 Depth=2
	v_cmp_lt_u64_e32 vcc, s[58:59], v[34:35]
	v_add_u32_e32 v5, 7, v9
	v_cndmask_b32_e32 v5, v6, v5, vcc
	v_cndmask_b32_e64 v6, 0, 1, vcc
	v_lshrrev_b64 v[14:15], v6, v[34:35]
; %bb.4215:                             ;   in Loop: Header=BB4_3710 Depth=2
	s_andn2_saveexec_b64 s[18:19], s[18:19]
; %bb.4216:                             ;   in Loop: Header=BB4_3710 Depth=2
	v_mov_b32_e32 v14, v34
	v_bfe_u32 v5, v34, 23, 1
	v_mov_b32_e32 v15, v35
; %bb.4217:                             ;   in Loop: Header=BB4_3710 Depth=2
	s_or_b64 exec, exec, s[18:19]
	v_lshrrev_b64 v[14:15], 20, v[14:15]
	v_cmp_gt_i32_e32 vcc, 16, v5
	v_cndmask_b32_e32 v15, 0, v15, vcc
	v_cndmask_b32_e32 v14, 7, v14, vcc
	v_cmp_eq_u32_e32 vcc, 0, v5
	v_min_i32_e32 v5, 15, v5
	v_cmp_eq_u64_e64 s[18:19], 0, v[14:15]
	v_lshlrev_b32_e32 v5, 3, v5
	v_and_b32_e32 v5, 0xf8, v5
	v_and_or_b32 v5, v14, 7, v5
	s_and_b64 s[18:19], vcc, s[18:19]
	v_cndmask_b32_e64 v5, v5, 0, s[18:19]
	v_or_b32_e32 v56, v5, v1
.LBB4_4218:                             ;   in Loop: Header=BB4_3710 Depth=2
	s_or_b64 exec, exec, s[88:89]
                                        ; implicit-def: $vgpr1
.LBB4_4219:                             ;   in Loop: Header=BB4_3710 Depth=2
	s_andn2_saveexec_b64 s[18:19], s[78:79]
; %bb.4220:                             ;   in Loop: Header=BB4_3710 Depth=2
	v_or_b32_e32 v56, 0x7e, v1
; %bb.4221:                             ;   in Loop: Header=BB4_3710 Depth=2
	s_or_b64 exec, exec, s[18:19]
                                        ; implicit-def: $vgpr5
.LBB4_4222:                             ;   in Loop: Header=BB4_3710 Depth=2
	s_andn2_saveexec_b64 s[18:19], s[76:77]
; %bb.4223:                             ;   in Loop: Header=BB4_3710 Depth=2
	v_or_b32_sdwa v56, v5, s39 dst_sel:DWORD dst_unused:UNUSED_PAD src0_sel:BYTE_3 src1_sel:DWORD
; %bb.4224:                             ;   in Loop: Header=BB4_3710 Depth=2
	s_or_b64 exec, exec, s[18:19]
	v_cmp_lt_u64_e32 vcc, s[60:61], v[10:11]
	v_mov_b32_e32 v1, 0
	s_and_saveexec_b64 s[18:19], vcc
	s_cbranch_execz .LBB4_4230
; %bb.4225:                             ;   in Loop: Header=BB4_3710 Depth=2
	v_lshrrev_b32_e32 v10, 24, v11
	v_cmp_ne_u32_e32 vcc, s50, v10
	v_bfrev_b32_e32 v1, 1
	s_and_saveexec_b64 s[76:77], vcc
	s_cbranch_execz .LBB4_4229
; %bb.4226:                             ;   in Loop: Header=BB4_3710 Depth=2
	v_bfe_u32 v5, v11, 24, 7
	v_cmp_ne_u32_e32 vcc, s39, v5
	v_mov_b32_e32 v1, 0x7f800001
	s_and_saveexec_b64 s[78:79], vcc
	s_cbranch_execz .LBB4_4228
; %bb.4227:                             ;   in Loop: Header=BB4_3710 Depth=2
	v_and_b32_e32 v1, 7, v10
	v_lshrrev_b32_e32 v9, 3, v5
	v_cmp_gt_u32_e32 vcc, 8, v5
	v_ffbh_u32_e32 v5, v1
	v_min_u32_e32 v11, 32, v5
	v_subrev_u32_e32 v5, 28, v11
	v_lshlrev_b64 v[5:6], v5, v[10:11]
	v_sub_u32_e32 v6, 29, v11
	v_and_b32_e32 v5, 7, v5
	v_cndmask_b32_e32 v6, v9, v6, vcc
	v_cndmask_b32_e32 v1, v1, v5, vcc
	v_lshlrev_b32_e32 v5, 24, v10
	v_lshlrev_b32_e32 v1, 20, v1
	v_and_b32_e32 v5, 0x80000000, v5
	v_lshl_add_u32 v6, v6, 23, v58
	v_or3_b32 v1, v5, v6, v1
.LBB4_4228:                             ;   in Loop: Header=BB4_3710 Depth=2
	s_or_b64 exec, exec, s[78:79]
.LBB4_4229:                             ;   in Loop: Header=BB4_3710 Depth=2
	s_or_b64 exec, exec, s[76:77]
.LBB4_4230:                             ;   in Loop: Header=BB4_3710 Depth=2
	s_or_b64 exec, exec, s[18:19]
	v_mul_f32_e32 v5, v3, v1
	v_and_b32_e32 v34, 0x7f800000, v5
	v_cmp_ne_u64_e32 vcc, s[46:47], v[34:35]
                                        ; implicit-def: $vgpr49
	s_and_saveexec_b64 s[18:19], vcc
	s_xor_b64 s[76:77], exec, s[18:19]
	s_cbranch_execz .LBB4_4244
; %bb.4231:                             ;   in Loop: Header=BB4_3710 Depth=2
	v_and_b32_e32 v34, 0x7fffffff, v5
	v_cmp_gt_u64_e32 vcc, s[56:57], v[34:35]
	v_and_b32_sdwa v1, v5, s50 dst_sel:DWORD dst_unused:UNUSED_PAD src0_sel:BYTE_3 src1_sel:DWORD
                                        ; implicit-def: $vgpr49
	s_and_saveexec_b64 s[18:19], vcc
	s_xor_b64 s[78:79], exec, s[18:19]
	s_cbranch_execz .LBB4_4241
; %bb.4232:                             ;   in Loop: Header=BB4_3710 Depth=2
	v_mov_b32_e32 v49, 0
	v_cmp_ne_u32_e32 vcc, 0, v5
	s_and_saveexec_b64 s[88:89], vcc
	s_cbranch_execz .LBB4_4240
; %bb.4233:                             ;   in Loop: Header=BB4_3710 Depth=2
	v_and_b32_e32 v9, 0x7fffff, v5
	v_bfe_u32 v5, v5, 23, 8
	v_cmp_gt_u32_e64 s[18:19], s51, v5
	v_sub_u32_e32 v6, 0x79, v5
	v_cmp_eq_u32_e32 vcc, 0, v5
	v_cndmask_b32_e64 v6, 0, v6, s[18:19]
	v_or_b32_e32 v10, 0x800000, v9
	v_cndmask_b32_e32 v6, v6, v59, vcc
	v_cndmask_b32_e32 v34, v10, v9, vcc
	v_add_u32_e32 v9, 20, v6
	v_lshlrev_b64 v[9:10], v9, -1
	v_add_u32_e32 v11, 19, v6
	v_lshlrev_b64 v[14:15], v11, 1
	v_bfi_b32 v10, v10, 0, 0
	v_bfi_b32 v9, v9, 0, v34
	v_cmp_eq_u64_e64 s[18:19], v[9:10], v[14:15]
	v_lshrrev_b64 v[10:11], v6, v[34:35]
	v_mov_b32_e32 v15, v11
	v_mov_b32_e32 v14, v10
	s_and_saveexec_b64 s[90:91], s[18:19]
; %bb.4234:                             ;   in Loop: Header=BB4_3710 Depth=2
	v_bfe_u32 v9, v10, 20, 1
	v_add_co_u32_e64 v9, s[18:19], v10, v9
	v_add_co_u32_e64 v14, s[18:19], -1, v9
; %bb.4235:                             ;   in Loop: Header=BB4_3710 Depth=2
	s_or_b64 exec, exec, s[90:91]
	v_add_u32_e32 v5, 0xffffff81, v5
	v_cndmask_b32_e32 v5, v5, v60, vcc
	v_lshrrev_b32_e32 v9, 23, v10
	v_add3_u32 v9, v6, v5, v9
	v_add_u32_e32 v6, 6, v9
	v_and_b32_e32 v5, 0xfffff, v14
	v_add_u32_e32 v34, v5, v10
	v_cmp_ne_u32_e32 vcc, 0, v6
                                        ; implicit-def: $vgpr10_vgpr11
                                        ; implicit-def: $vgpr5
	s_and_saveexec_b64 s[18:19], vcc
	s_xor_b64 s[18:19], exec, s[18:19]
; %bb.4236:                             ;   in Loop: Header=BB4_3710 Depth=2
	v_cmp_lt_u64_e32 vcc, s[58:59], v[34:35]
	v_add_u32_e32 v5, 7, v9
	v_cndmask_b32_e32 v5, v6, v5, vcc
	v_cndmask_b32_e64 v6, 0, 1, vcc
	v_lshrrev_b64 v[10:11], v6, v[34:35]
; %bb.4237:                             ;   in Loop: Header=BB4_3710 Depth=2
	s_andn2_saveexec_b64 s[18:19], s[18:19]
; %bb.4238:                             ;   in Loop: Header=BB4_3710 Depth=2
	v_mov_b32_e32 v10, v34
	v_bfe_u32 v5, v34, 23, 1
	v_mov_b32_e32 v11, v35
; %bb.4239:                             ;   in Loop: Header=BB4_3710 Depth=2
	s_or_b64 exec, exec, s[18:19]
	v_lshrrev_b64 v[9:10], 20, v[10:11]
	v_cmp_gt_i32_e32 vcc, 16, v5
	v_cndmask_b32_e32 v10, 0, v10, vcc
	v_cndmask_b32_e32 v9, 7, v9, vcc
	v_cmp_eq_u32_e32 vcc, 0, v5
	v_min_i32_e32 v5, 15, v5
	v_cmp_eq_u64_e64 s[18:19], 0, v[9:10]
	v_lshlrev_b32_e32 v5, 3, v5
	v_and_b32_e32 v5, 0xf8, v5
	v_and_or_b32 v5, v9, 7, v5
	s_and_b64 s[18:19], vcc, s[18:19]
	v_cndmask_b32_e64 v5, v5, 0, s[18:19]
	v_or_b32_e32 v49, v5, v1
.LBB4_4240:                             ;   in Loop: Header=BB4_3710 Depth=2
	s_or_b64 exec, exec, s[88:89]
                                        ; implicit-def: $vgpr1
.LBB4_4241:                             ;   in Loop: Header=BB4_3710 Depth=2
	s_andn2_saveexec_b64 s[18:19], s[78:79]
; %bb.4242:                             ;   in Loop: Header=BB4_3710 Depth=2
	v_or_b32_e32 v49, 0x7e, v1
; %bb.4243:                             ;   in Loop: Header=BB4_3710 Depth=2
	s_or_b64 exec, exec, s[18:19]
                                        ; implicit-def: $vgpr5
.LBB4_4244:                             ;   in Loop: Header=BB4_3710 Depth=2
	s_andn2_saveexec_b64 s[18:19], s[76:77]
; %bb.4245:                             ;   in Loop: Header=BB4_3710 Depth=2
	v_or_b32_sdwa v49, v5, s39 dst_sel:DWORD dst_unused:UNUSED_PAD src0_sel:BYTE_3 src1_sel:DWORD
; %bb.4246:                             ;   in Loop: Header=BB4_3710 Depth=2
	s_or_b64 exec, exec, s[18:19]
	v_cmp_ne_u16_sdwa s[76:77], v12, v35 src0_sel:BYTE_0 src1_sel:DWORD
	v_mov_b32_e32 v1, 0
	s_and_saveexec_b64 s[18:19], s[76:77]
	s_cbranch_execz .LBB4_4252
; %bb.4247:                             ;   in Loop: Header=BB4_3710 Depth=2
	v_cmp_ne_u16_sdwa s[78:79], v12, s50 src0_sel:BYTE_0 src1_sel:DWORD
	v_bfrev_b32_e32 v1, 1
	s_and_saveexec_b64 s[76:77], s[78:79]
	s_cbranch_execz .LBB4_4251
; %bb.4248:                             ;   in Loop: Header=BB4_3710 Depth=2
	v_and_b32_e32 v5, 0x7f, v12
	v_cmp_ne_u32_e32 vcc, s39, v5
	v_mov_b32_e32 v1, 0x7f800001
	s_and_saveexec_b64 s[78:79], vcc
	s_cbranch_execz .LBB4_4250
; %bb.4249:                             ;   in Loop: Header=BB4_3710 Depth=2
	v_and_b32_e32 v1, 7, v12
	v_ffbh_u32_e32 v1, v1
	v_min_u32_e32 v1, 32, v1
	v_lshrrev_b32_e32 v6, 3, v5
	v_cmp_gt_u32_e32 vcc, 8, v5
	v_subrev_u32_e32 v5, 28, v1
	v_sub_u32_e32 v1, 29, v1
	v_cndmask_b32_e32 v5, 0, v5, vcc
	v_cndmask_b32_e32 v1, v6, v1, vcc
	v_lshlrev_b64 v[5:6], v5, v[12:13]
	v_lshlrev_b32_e32 v6, 24, v12
	v_lshlrev_b32_e32 v5, 20, v5
	v_and_b32_e32 v5, 0x700000, v5
	v_and_b32_e32 v6, 0x80000000, v6
	v_lshl_add_u32 v1, v1, 23, v58
	v_or3_b32 v1, v6, v1, v5
.LBB4_4250:                             ;   in Loop: Header=BB4_3710 Depth=2
	s_or_b64 exec, exec, s[78:79]
.LBB4_4251:                             ;   in Loop: Header=BB4_3710 Depth=2
	s_or_b64 exec, exec, s[76:77]
.LBB4_4252:                             ;   in Loop: Header=BB4_3710 Depth=2
	s_or_b64 exec, exec, s[18:19]
	v_mul_f32_e32 v6, v3, v1
	v_and_b32_e32 v34, 0x7f800000, v6
	v_cmp_ne_u64_e32 vcc, s[46:47], v[34:35]
                                        ; implicit-def: $vgpr5
	s_and_saveexec_b64 s[18:19], vcc
	s_xor_b64 s[76:77], exec, s[18:19]
	s_cbranch_execz .LBB4_4266
; %bb.4253:                             ;   in Loop: Header=BB4_3710 Depth=2
	v_and_b32_e32 v34, 0x7fffffff, v6
	v_cmp_gt_u64_e32 vcc, s[56:57], v[34:35]
	v_and_b32_sdwa v1, v6, s50 dst_sel:DWORD dst_unused:UNUSED_PAD src0_sel:BYTE_3 src1_sel:DWORD
                                        ; implicit-def: $vgpr5
	s_and_saveexec_b64 s[18:19], vcc
	s_xor_b64 s[78:79], exec, s[18:19]
	s_cbranch_execz .LBB4_4263
; %bb.4254:                             ;   in Loop: Header=BB4_3710 Depth=2
	v_mov_b32_e32 v5, 0
	v_cmp_ne_u32_e32 vcc, 0, v6
	s_and_saveexec_b64 s[88:89], vcc
	s_cbranch_execz .LBB4_4262
; %bb.4255:                             ;   in Loop: Header=BB4_3710 Depth=2
	v_bfe_u32 v5, v6, 23, 8
	v_and_b32_e32 v9, 0x7fffff, v6
	v_cmp_gt_u32_e64 s[18:19], s51, v5
	v_sub_u32_e32 v6, 0x79, v5
	v_cmp_eq_u32_e32 vcc, 0, v5
	v_cndmask_b32_e64 v6, 0, v6, s[18:19]
	v_or_b32_e32 v10, 0x800000, v9
	v_cndmask_b32_e32 v6, v6, v59, vcc
	v_cndmask_b32_e32 v34, v10, v9, vcc
	v_add_u32_e32 v9, 20, v6
	v_lshlrev_b64 v[9:10], v9, -1
	v_add_u32_e32 v11, 19, v6
	v_lshlrev_b64 v[14:15], v11, 1
	v_bfi_b32 v10, v10, 0, 0
	v_bfi_b32 v9, v9, 0, v34
	v_cmp_eq_u64_e64 s[18:19], v[9:10], v[14:15]
	v_lshrrev_b64 v[10:11], v6, v[34:35]
	v_mov_b32_e32 v15, v11
	v_mov_b32_e32 v14, v10
	s_and_saveexec_b64 s[90:91], s[18:19]
; %bb.4256:                             ;   in Loop: Header=BB4_3710 Depth=2
	v_bfe_u32 v9, v10, 20, 1
	v_add_co_u32_e64 v9, s[18:19], v10, v9
	v_add_co_u32_e64 v14, s[18:19], -1, v9
; %bb.4257:                             ;   in Loop: Header=BB4_3710 Depth=2
	s_or_b64 exec, exec, s[90:91]
	v_add_u32_e32 v5, 0xffffff81, v5
	v_cndmask_b32_e32 v5, v5, v60, vcc
	v_lshrrev_b32_e32 v9, 23, v10
	v_add3_u32 v9, v6, v5, v9
	v_add_u32_e32 v6, 6, v9
	v_and_b32_e32 v5, 0xfffff, v14
	v_add_u32_e32 v34, v5, v10
	v_cmp_ne_u32_e32 vcc, 0, v6
                                        ; implicit-def: $vgpr10_vgpr11
                                        ; implicit-def: $vgpr5
	s_and_saveexec_b64 s[18:19], vcc
	s_xor_b64 s[18:19], exec, s[18:19]
; %bb.4258:                             ;   in Loop: Header=BB4_3710 Depth=2
	v_cmp_lt_u64_e32 vcc, s[58:59], v[34:35]
	v_add_u32_e32 v5, 7, v9
	v_cndmask_b32_e32 v5, v6, v5, vcc
	v_cndmask_b32_e64 v6, 0, 1, vcc
	v_lshrrev_b64 v[10:11], v6, v[34:35]
; %bb.4259:                             ;   in Loop: Header=BB4_3710 Depth=2
	s_andn2_saveexec_b64 s[18:19], s[18:19]
; %bb.4260:                             ;   in Loop: Header=BB4_3710 Depth=2
	v_mov_b32_e32 v10, v34
	v_bfe_u32 v5, v34, 23, 1
	v_mov_b32_e32 v11, v35
; %bb.4261:                             ;   in Loop: Header=BB4_3710 Depth=2
	s_or_b64 exec, exec, s[18:19]
	v_lshrrev_b64 v[9:10], 20, v[10:11]
	v_cmp_gt_i32_e32 vcc, 16, v5
	v_cndmask_b32_e32 v10, 0, v10, vcc
	v_cndmask_b32_e32 v9, 7, v9, vcc
	v_cmp_eq_u32_e32 vcc, 0, v5
	v_min_i32_e32 v5, 15, v5
	v_cmp_eq_u64_e64 s[18:19], 0, v[9:10]
	v_lshlrev_b32_e32 v5, 3, v5
	v_and_b32_e32 v5, 0xf8, v5
	v_and_or_b32 v5, v9, 7, v5
	s_and_b64 s[18:19], vcc, s[18:19]
	v_cndmask_b32_e64 v5, v5, 0, s[18:19]
	v_or_b32_e32 v5, v5, v1
.LBB4_4262:                             ;   in Loop: Header=BB4_3710 Depth=2
	s_or_b64 exec, exec, s[88:89]
                                        ; implicit-def: $vgpr1
.LBB4_4263:                             ;   in Loop: Header=BB4_3710 Depth=2
	s_andn2_saveexec_b64 s[18:19], s[78:79]
; %bb.4264:                             ;   in Loop: Header=BB4_3710 Depth=2
	v_or_b32_e32 v5, 0x7e, v1
; %bb.4265:                             ;   in Loop: Header=BB4_3710 Depth=2
	s_or_b64 exec, exec, s[18:19]
                                        ; implicit-def: $vgpr6
.LBB4_4266:                             ;   in Loop: Header=BB4_3710 Depth=2
	s_andn2_saveexec_b64 s[18:19], s[76:77]
; %bb.4267:                             ;   in Loop: Header=BB4_3710 Depth=2
	v_or_b32_sdwa v5, v6, s39 dst_sel:DWORD dst_unused:UNUSED_PAD src0_sel:BYTE_3 src1_sel:DWORD
; %bb.4268:                             ;   in Loop: Header=BB4_3710 Depth=2
	s_or_b64 exec, exec, s[18:19]
	v_lshrrev_b16_e32 v10, 8, v12
	v_cmp_ne_u16_e32 vcc, 0, v10
	v_mov_b32_e32 v1, 0
	s_and_saveexec_b64 s[18:19], vcc
	s_cbranch_execz .LBB4_4274
; %bb.4269:                             ;   in Loop: Header=BB4_3710 Depth=2
	v_cmp_ne_u16_e32 vcc, s50, v10
	v_bfrev_b32_e32 v1, 1
	s_and_saveexec_b64 s[76:77], vcc
	s_cbranch_execz .LBB4_4273
; %bb.4270:                             ;   in Loop: Header=BB4_3710 Depth=2
	v_and_b32_e32 v6, 0x7f, v10
	v_cmp_ne_u32_e32 vcc, s39, v6
	v_mov_b32_e32 v1, 0x7f800001
	s_and_saveexec_b64 s[78:79], vcc
	s_cbranch_execz .LBB4_4272
; %bb.4271:                             ;   in Loop: Header=BB4_3710 Depth=2
	v_and_b32_e32 v1, 7, v10
	v_lshrrev_b32_e32 v11, 3, v6
	v_cmp_gt_u32_e32 vcc, 8, v6
	v_ffbh_u32_e32 v6, v1
	v_min_u32_e32 v6, 32, v6
	v_subrev_u32_e32 v9, 28, v6
	v_lshlrev_b64 v[9:10], v9, v[10:11]
	v_sub_u32_e32 v6, 29, v6
	v_and_b32_e32 v9, 7, v9
	v_cndmask_b32_e32 v6, v11, v6, vcc
	v_cndmask_b32_e32 v1, v1, v9, vcc
	v_lshlrev_b32_e32 v9, 16, v12
	v_lshlrev_b32_e32 v1, 20, v1
	v_and_b32_e32 v9, 0x80000000, v9
	v_lshl_add_u32 v6, v6, 23, v58
	v_or3_b32 v1, v9, v6, v1
.LBB4_4272:                             ;   in Loop: Header=BB4_3710 Depth=2
	s_or_b64 exec, exec, s[78:79]
.LBB4_4273:                             ;   in Loop: Header=BB4_3710 Depth=2
	s_or_b64 exec, exec, s[76:77]
.LBB4_4274:                             ;   in Loop: Header=BB4_3710 Depth=2
	s_or_b64 exec, exec, s[18:19]
	v_mul_f32_e32 v6, v3, v1
	v_and_b32_e32 v34, 0x7f800000, v6
	v_cmp_ne_u64_e32 vcc, s[46:47], v[34:35]
                                        ; implicit-def: $vgpr9
	s_and_saveexec_b64 s[18:19], vcc
	s_xor_b64 s[76:77], exec, s[18:19]
	s_cbranch_execz .LBB4_4288
; %bb.4275:                             ;   in Loop: Header=BB4_3710 Depth=2
	v_and_b32_e32 v34, 0x7fffffff, v6
	v_cmp_gt_u64_e32 vcc, s[56:57], v[34:35]
	v_and_b32_sdwa v1, v6, s50 dst_sel:DWORD dst_unused:UNUSED_PAD src0_sel:BYTE_3 src1_sel:DWORD
                                        ; implicit-def: $vgpr9
	s_and_saveexec_b64 s[18:19], vcc
	s_xor_b64 s[78:79], exec, s[18:19]
	s_cbranch_execz .LBB4_4285
; %bb.4276:                             ;   in Loop: Header=BB4_3710 Depth=2
	v_mov_b32_e32 v9, 0
	v_cmp_ne_u32_e32 vcc, 0, v6
	s_and_saveexec_b64 s[88:89], vcc
	s_cbranch_execz .LBB4_4284
; %bb.4277:                             ;   in Loop: Header=BB4_3710 Depth=2
	v_and_b32_e32 v10, 0x7fffff, v6
	v_bfe_u32 v6, v6, 23, 8
	v_cmp_gt_u32_e64 s[18:19], s51, v6
	v_sub_u32_e32 v9, 0x79, v6
	v_cmp_eq_u32_e32 vcc, 0, v6
	v_cndmask_b32_e64 v9, 0, v9, s[18:19]
	v_or_b32_e32 v11, 0x800000, v10
	v_cndmask_b32_e32 v9, v9, v59, vcc
	v_cndmask_b32_e32 v34, v11, v10, vcc
	v_add_u32_e32 v10, 20, v9
	v_lshlrev_b64 v[10:11], v10, -1
	v_add_u32_e32 v14, 19, v9
	v_lshlrev_b64 v[14:15], v14, 1
	v_bfi_b32 v11, v11, 0, 0
	v_bfi_b32 v10, v10, 0, v34
	v_cmp_eq_u64_e64 s[18:19], v[10:11], v[14:15]
	v_lshrrev_b64 v[10:11], v9, v[34:35]
	v_mov_b32_e32 v15, v11
	v_mov_b32_e32 v14, v10
	s_and_saveexec_b64 s[90:91], s[18:19]
; %bb.4278:                             ;   in Loop: Header=BB4_3710 Depth=2
	v_bfe_u32 v11, v10, 20, 1
	v_add_co_u32_e64 v11, s[18:19], v10, v11
	v_add_co_u32_e64 v14, s[18:19], -1, v11
; %bb.4279:                             ;   in Loop: Header=BB4_3710 Depth=2
	s_or_b64 exec, exec, s[90:91]
	v_add_u32_e32 v6, 0xffffff81, v6
	v_cndmask_b32_e32 v6, v6, v60, vcc
	v_lshrrev_b32_e32 v11, 23, v10
	v_add3_u32 v15, v9, v6, v11
	v_add_u32_e32 v9, 6, v15
	v_and_b32_e32 v6, 0xfffff, v14
	v_add_u32_e32 v34, v6, v10
	v_cmp_ne_u32_e32 vcc, 0, v9
                                        ; implicit-def: $vgpr10_vgpr11
                                        ; implicit-def: $vgpr6
	s_and_saveexec_b64 s[18:19], vcc
	s_xor_b64 s[18:19], exec, s[18:19]
; %bb.4280:                             ;   in Loop: Header=BB4_3710 Depth=2
	v_cmp_lt_u64_e32 vcc, s[58:59], v[34:35]
	v_add_u32_e32 v6, 7, v15
	v_cndmask_b32_e32 v6, v9, v6, vcc
	v_cndmask_b32_e64 v9, 0, 1, vcc
	v_lshrrev_b64 v[10:11], v9, v[34:35]
; %bb.4281:                             ;   in Loop: Header=BB4_3710 Depth=2
	s_andn2_saveexec_b64 s[18:19], s[18:19]
; %bb.4282:                             ;   in Loop: Header=BB4_3710 Depth=2
	v_mov_b32_e32 v10, v34
	v_bfe_u32 v6, v34, 23, 1
	v_mov_b32_e32 v11, v35
; %bb.4283:                             ;   in Loop: Header=BB4_3710 Depth=2
	s_or_b64 exec, exec, s[18:19]
	v_lshrrev_b64 v[9:10], 20, v[10:11]
	v_cmp_gt_i32_e32 vcc, 16, v6
	v_cndmask_b32_e32 v10, 0, v10, vcc
	v_cndmask_b32_e32 v9, 7, v9, vcc
	v_cmp_eq_u32_e32 vcc, 0, v6
	v_min_i32_e32 v6, 15, v6
	v_cmp_eq_u64_e64 s[18:19], 0, v[9:10]
	v_lshlrev_b32_e32 v6, 3, v6
	v_and_b32_e32 v6, 0xf8, v6
	v_and_or_b32 v6, v9, 7, v6
	s_and_b64 s[18:19], vcc, s[18:19]
	v_cndmask_b32_e64 v6, v6, 0, s[18:19]
	v_or_b32_e32 v9, v6, v1
.LBB4_4284:                             ;   in Loop: Header=BB4_3710 Depth=2
	s_or_b64 exec, exec, s[88:89]
                                        ; implicit-def: $vgpr1
.LBB4_4285:                             ;   in Loop: Header=BB4_3710 Depth=2
	s_andn2_saveexec_b64 s[18:19], s[78:79]
; %bb.4286:                             ;   in Loop: Header=BB4_3710 Depth=2
	v_or_b32_e32 v9, 0x7e, v1
; %bb.4287:                             ;   in Loop: Header=BB4_3710 Depth=2
	s_or_b64 exec, exec, s[18:19]
                                        ; implicit-def: $vgpr6
.LBB4_4288:                             ;   in Loop: Header=BB4_3710 Depth=2
	s_andn2_saveexec_b64 s[18:19], s[76:77]
; %bb.4289:                             ;   in Loop: Header=BB4_3710 Depth=2
	v_or_b32_sdwa v9, v6, s39 dst_sel:DWORD dst_unused:UNUSED_PAD src0_sel:BYTE_3 src1_sel:DWORD
; %bb.4290:                             ;   in Loop: Header=BB4_3710 Depth=2
	s_or_b64 exec, exec, s[18:19]
	v_lshrrev_b32_e32 v10, 16, v12
	v_cmp_ne_u16_sdwa s[76:77], v10, v35 src0_sel:BYTE_0 src1_sel:DWORD
	v_mov_b32_e32 v1, 0
	s_and_saveexec_b64 s[18:19], s[76:77]
	s_cbranch_execz .LBB4_4296
; %bb.4291:                             ;   in Loop: Header=BB4_3710 Depth=2
	v_cmp_ne_u16_sdwa s[78:79], v10, s50 src0_sel:BYTE_0 src1_sel:DWORD
	v_bfrev_b32_e32 v1, 1
	s_and_saveexec_b64 s[76:77], s[78:79]
	s_cbranch_execz .LBB4_4295
; %bb.4292:                             ;   in Loop: Header=BB4_3710 Depth=2
	v_bfe_u32 v6, v12, 16, 7
	v_cmp_ne_u32_e32 vcc, s39, v6
	v_mov_b32_e32 v1, 0x7f800001
	s_and_saveexec_b64 s[78:79], vcc
	s_cbranch_execz .LBB4_4294
; %bb.4293:                             ;   in Loop: Header=BB4_3710 Depth=2
	v_and_b32_e32 v1, 7, v10
	v_lshrrev_b32_e32 v11, 3, v6
	v_cmp_gt_u32_e32 vcc, 8, v6
	v_ffbh_u32_e32 v6, v1
	v_min_u32_e32 v6, 32, v6
	v_subrev_u32_e32 v14, 28, v6
	v_lshlrev_b64 v[14:15], v14, v[10:11]
	v_sub_u32_e32 v6, 29, v6
	v_and_b32_e32 v14, 7, v14
	v_cndmask_b32_e32 v6, v11, v6, vcc
	v_cndmask_b32_e32 v1, v1, v14, vcc
	v_lshlrev_b32_e32 v10, 24, v10
	v_lshlrev_b32_e32 v1, 20, v1
	v_and_b32_e32 v10, 0x80000000, v10
	v_lshl_add_u32 v6, v6, 23, v58
	v_or3_b32 v1, v10, v6, v1
.LBB4_4294:                             ;   in Loop: Header=BB4_3710 Depth=2
	s_or_b64 exec, exec, s[78:79]
.LBB4_4295:                             ;   in Loop: Header=BB4_3710 Depth=2
	s_or_b64 exec, exec, s[76:77]
.LBB4_4296:                             ;   in Loop: Header=BB4_3710 Depth=2
	s_or_b64 exec, exec, s[18:19]
	v_mul_f32_e32 v6, v3, v1
	v_and_b32_e32 v34, 0x7f800000, v6
	v_cmp_ne_u64_e32 vcc, s[46:47], v[34:35]
                                        ; implicit-def: $vgpr25
	s_and_saveexec_b64 s[18:19], vcc
	s_xor_b64 s[76:77], exec, s[18:19]
	s_cbranch_execz .LBB4_4310
; %bb.4297:                             ;   in Loop: Header=BB4_3710 Depth=2
	v_and_b32_e32 v34, 0x7fffffff, v6
	v_cmp_gt_u64_e32 vcc, s[56:57], v[34:35]
	v_and_b32_sdwa v1, v6, s50 dst_sel:DWORD dst_unused:UNUSED_PAD src0_sel:BYTE_3 src1_sel:DWORD
                                        ; implicit-def: $vgpr25
	s_and_saveexec_b64 s[18:19], vcc
	s_xor_b64 s[78:79], exec, s[18:19]
	s_cbranch_execz .LBB4_4307
; %bb.4298:                             ;   in Loop: Header=BB4_3710 Depth=2
	v_mov_b32_e32 v25, 0
	v_cmp_ne_u32_e32 vcc, 0, v6
	s_and_saveexec_b64 s[88:89], vcc
	s_cbranch_execz .LBB4_4306
; %bb.4299:                             ;   in Loop: Header=BB4_3710 Depth=2
	v_and_b32_e32 v10, 0x7fffff, v6
	v_bfe_u32 v6, v6, 23, 8
	v_cmp_gt_u32_e64 s[18:19], s51, v6
	v_sub_u32_e32 v11, 0x79, v6
	v_cmp_eq_u32_e32 vcc, 0, v6
	v_cndmask_b32_e64 v11, 0, v11, s[18:19]
	v_or_b32_e32 v14, 0x800000, v10
	v_cndmask_b32_e32 v16, v11, v59, vcc
	v_cndmask_b32_e32 v34, v14, v10, vcc
	v_add_u32_e32 v10, 20, v16
	v_lshlrev_b64 v[10:11], v10, -1
	v_add_u32_e32 v14, 19, v16
	v_lshlrev_b64 v[14:15], v14, 1
	v_bfi_b32 v11, v11, 0, 0
	v_bfi_b32 v10, v10, 0, v34
	v_cmp_eq_u64_e64 s[18:19], v[10:11], v[14:15]
	v_lshrrev_b64 v[10:11], v16, v[34:35]
	v_mov_b32_e32 v15, v11
	v_mov_b32_e32 v14, v10
	s_and_saveexec_b64 s[90:91], s[18:19]
; %bb.4300:                             ;   in Loop: Header=BB4_3710 Depth=2
	v_bfe_u32 v11, v10, 20, 1
	v_add_co_u32_e64 v11, s[18:19], v10, v11
	v_add_co_u32_e64 v14, s[18:19], -1, v11
; %bb.4301:                             ;   in Loop: Header=BB4_3710 Depth=2
	s_or_b64 exec, exec, s[90:91]
	v_add_u32_e32 v6, 0xffffff81, v6
	v_cndmask_b32_e32 v6, v6, v60, vcc
	v_lshrrev_b32_e32 v11, 23, v10
	v_add3_u32 v16, v16, v6, v11
	v_add_u32_e32 v15, 6, v16
	v_and_b32_e32 v6, 0xfffff, v14
	v_add_u32_e32 v34, v6, v10
	v_cmp_ne_u32_e32 vcc, 0, v15
                                        ; implicit-def: $vgpr10_vgpr11
                                        ; implicit-def: $vgpr6
	s_and_saveexec_b64 s[18:19], vcc
	s_xor_b64 s[18:19], exec, s[18:19]
; %bb.4302:                             ;   in Loop: Header=BB4_3710 Depth=2
	v_cmp_lt_u64_e32 vcc, s[58:59], v[34:35]
	v_add_u32_e32 v6, 7, v16
	v_cndmask_b32_e64 v10, 0, 1, vcc
	v_lshrrev_b64 v[10:11], v10, v[34:35]
	v_cndmask_b32_e32 v6, v15, v6, vcc
; %bb.4303:                             ;   in Loop: Header=BB4_3710 Depth=2
	s_andn2_saveexec_b64 s[18:19], s[18:19]
; %bb.4304:                             ;   in Loop: Header=BB4_3710 Depth=2
	v_mov_b32_e32 v10, v34
	v_bfe_u32 v6, v34, 23, 1
	v_mov_b32_e32 v11, v35
; %bb.4305:                             ;   in Loop: Header=BB4_3710 Depth=2
	s_or_b64 exec, exec, s[18:19]
	v_lshrrev_b64 v[10:11], 20, v[10:11]
	v_cmp_gt_i32_e32 vcc, 16, v6
	v_cndmask_b32_e32 v11, 0, v11, vcc
	v_cndmask_b32_e32 v10, 7, v10, vcc
	v_cmp_eq_u32_e32 vcc, 0, v6
	v_min_i32_e32 v6, 15, v6
	v_cmp_eq_u64_e64 s[18:19], 0, v[10:11]
	v_lshlrev_b32_e32 v6, 3, v6
	v_and_b32_e32 v6, 0xf8, v6
	v_and_or_b32 v6, v10, 7, v6
	s_and_b64 s[18:19], vcc, s[18:19]
	v_cndmask_b32_e64 v6, v6, 0, s[18:19]
	v_or_b32_e32 v25, v6, v1
.LBB4_4306:                             ;   in Loop: Header=BB4_3710 Depth=2
	s_or_b64 exec, exec, s[88:89]
                                        ; implicit-def: $vgpr1
.LBB4_4307:                             ;   in Loop: Header=BB4_3710 Depth=2
	s_andn2_saveexec_b64 s[18:19], s[78:79]
; %bb.4308:                             ;   in Loop: Header=BB4_3710 Depth=2
	v_or_b32_e32 v25, 0x7e, v1
; %bb.4309:                             ;   in Loop: Header=BB4_3710 Depth=2
	s_or_b64 exec, exec, s[18:19]
                                        ; implicit-def: $vgpr6
.LBB4_4310:                             ;   in Loop: Header=BB4_3710 Depth=2
	s_andn2_saveexec_b64 s[18:19], s[76:77]
; %bb.4311:                             ;   in Loop: Header=BB4_3710 Depth=2
	v_or_b32_sdwa v25, v6, s39 dst_sel:DWORD dst_unused:UNUSED_PAD src0_sel:BYTE_3 src1_sel:DWORD
; %bb.4312:                             ;   in Loop: Header=BB4_3710 Depth=2
	s_or_b64 exec, exec, s[18:19]
	v_cmp_lt_u32_e32 vcc, s61, v12
	v_mov_b32_e32 v1, 0
	s_and_saveexec_b64 s[18:19], vcc
	s_cbranch_execz .LBB4_4318
; %bb.4313:                             ;   in Loop: Header=BB4_3710 Depth=2
	v_lshrrev_b32_e32 v10, 24, v12
	v_cmp_ne_u32_e32 vcc, s50, v10
	v_bfrev_b32_e32 v1, 1
	s_and_saveexec_b64 s[76:77], vcc
	s_cbranch_execz .LBB4_4317
; %bb.4314:                             ;   in Loop: Header=BB4_3710 Depth=2
	v_bfe_u32 v6, v12, 24, 7
	v_cmp_ne_u32_e32 vcc, s39, v6
	v_mov_b32_e32 v1, 0x7f800001
	s_and_saveexec_b64 s[78:79], vcc
	s_cbranch_execz .LBB4_4316
; %bb.4315:                             ;   in Loop: Header=BB4_3710 Depth=2
	v_and_b32_e32 v1, 7, v10
	v_lshrrev_b32_e32 v11, 3, v6
	v_cmp_gt_u32_e32 vcc, 8, v6
	v_ffbh_u32_e32 v6, v1
	v_min_u32_e32 v6, 32, v6
	v_subrev_u32_e32 v14, 28, v6
	v_lshlrev_b64 v[14:15], v14, v[10:11]
	v_sub_u32_e32 v6, 29, v6
	v_and_b32_e32 v14, 7, v14
	v_cndmask_b32_e32 v6, v11, v6, vcc
	v_cndmask_b32_e32 v1, v1, v14, vcc
	v_lshlrev_b32_e32 v10, 24, v10
	v_lshlrev_b32_e32 v1, 20, v1
	v_and_b32_e32 v10, 0x80000000, v10
	v_lshl_add_u32 v6, v6, 23, v58
	v_or3_b32 v1, v10, v6, v1
.LBB4_4316:                             ;   in Loop: Header=BB4_3710 Depth=2
	s_or_b64 exec, exec, s[78:79]
.LBB4_4317:                             ;   in Loop: Header=BB4_3710 Depth=2
	s_or_b64 exec, exec, s[76:77]
.LBB4_4318:                             ;   in Loop: Header=BB4_3710 Depth=2
	s_or_b64 exec, exec, s[18:19]
	v_mul_f32_e32 v6, v3, v1
	v_and_b32_e32 v34, 0x7f800000, v6
	v_cmp_ne_u64_e32 vcc, s[46:47], v[34:35]
                                        ; implicit-def: $vgpr21
	s_and_saveexec_b64 s[18:19], vcc
	s_xor_b64 s[76:77], exec, s[18:19]
	s_cbranch_execz .LBB4_4332
; %bb.4319:                             ;   in Loop: Header=BB4_3710 Depth=2
	v_and_b32_e32 v34, 0x7fffffff, v6
	v_cmp_gt_u64_e32 vcc, s[56:57], v[34:35]
	v_and_b32_sdwa v1, v6, s50 dst_sel:DWORD dst_unused:UNUSED_PAD src0_sel:BYTE_3 src1_sel:DWORD
                                        ; implicit-def: $vgpr21
	s_and_saveexec_b64 s[18:19], vcc
	s_xor_b64 s[78:79], exec, s[18:19]
	s_cbranch_execz .LBB4_4329
; %bb.4320:                             ;   in Loop: Header=BB4_3710 Depth=2
	v_mov_b32_e32 v21, 0
	v_cmp_ne_u32_e32 vcc, 0, v6
	s_and_saveexec_b64 s[88:89], vcc
	s_cbranch_execz .LBB4_4328
; %bb.4321:                             ;   in Loop: Header=BB4_3710 Depth=2
	v_and_b32_e32 v10, 0x7fffff, v6
	v_bfe_u32 v6, v6, 23, 8
	v_cmp_gt_u32_e64 s[18:19], s51, v6
	v_sub_u32_e32 v11, 0x79, v6
	v_cmp_eq_u32_e32 vcc, 0, v6
	v_cndmask_b32_e64 v11, 0, v11, s[18:19]
	v_or_b32_e32 v14, 0x800000, v10
	v_cndmask_b32_e32 v16, v11, v59, vcc
	v_cndmask_b32_e32 v34, v14, v10, vcc
	v_add_u32_e32 v10, 20, v16
	v_lshlrev_b64 v[10:11], v10, -1
	v_add_u32_e32 v14, 19, v16
	v_lshlrev_b64 v[14:15], v14, 1
	v_bfi_b32 v11, v11, 0, 0
	v_bfi_b32 v10, v10, 0, v34
	v_cmp_eq_u64_e64 s[18:19], v[10:11], v[14:15]
	v_lshrrev_b64 v[10:11], v16, v[34:35]
	v_mov_b32_e32 v15, v11
	v_mov_b32_e32 v14, v10
	s_and_saveexec_b64 s[90:91], s[18:19]
; %bb.4322:                             ;   in Loop: Header=BB4_3710 Depth=2
	v_bfe_u32 v11, v10, 20, 1
	v_add_co_u32_e64 v11, s[18:19], v10, v11
	v_add_co_u32_e64 v14, s[18:19], -1, v11
; %bb.4323:                             ;   in Loop: Header=BB4_3710 Depth=2
	s_or_b64 exec, exec, s[90:91]
	v_add_u32_e32 v6, 0xffffff81, v6
	v_cndmask_b32_e32 v6, v6, v60, vcc
	v_lshrrev_b32_e32 v11, 23, v10
	v_add3_u32 v16, v16, v6, v11
	v_add_u32_e32 v15, 6, v16
	v_and_b32_e32 v6, 0xfffff, v14
	v_add_u32_e32 v34, v6, v10
	v_cmp_ne_u32_e32 vcc, 0, v15
                                        ; implicit-def: $vgpr10_vgpr11
                                        ; implicit-def: $vgpr6
	s_and_saveexec_b64 s[18:19], vcc
	s_xor_b64 s[18:19], exec, s[18:19]
; %bb.4324:                             ;   in Loop: Header=BB4_3710 Depth=2
	v_cmp_lt_u64_e32 vcc, s[58:59], v[34:35]
	v_add_u32_e32 v6, 7, v16
	v_cndmask_b32_e64 v10, 0, 1, vcc
	v_lshrrev_b64 v[10:11], v10, v[34:35]
	v_cndmask_b32_e32 v6, v15, v6, vcc
; %bb.4325:                             ;   in Loop: Header=BB4_3710 Depth=2
	s_andn2_saveexec_b64 s[18:19], s[18:19]
; %bb.4326:                             ;   in Loop: Header=BB4_3710 Depth=2
	v_mov_b32_e32 v10, v34
	v_bfe_u32 v6, v34, 23, 1
	v_mov_b32_e32 v11, v35
; %bb.4327:                             ;   in Loop: Header=BB4_3710 Depth=2
	s_or_b64 exec, exec, s[18:19]
	v_lshrrev_b64 v[10:11], 20, v[10:11]
	v_cmp_gt_i32_e32 vcc, 16, v6
	v_cndmask_b32_e32 v11, 0, v11, vcc
	v_cndmask_b32_e32 v10, 7, v10, vcc
	v_cmp_eq_u32_e32 vcc, 0, v6
	v_min_i32_e32 v6, 15, v6
	v_cmp_eq_u64_e64 s[18:19], 0, v[10:11]
	v_lshlrev_b32_e32 v6, 3, v6
	v_and_b32_e32 v6, 0xf8, v6
	v_and_or_b32 v6, v10, 7, v6
	s_and_b64 s[18:19], vcc, s[18:19]
	v_cndmask_b32_e64 v6, v6, 0, s[18:19]
	v_or_b32_e32 v21, v6, v1
.LBB4_4328:                             ;   in Loop: Header=BB4_3710 Depth=2
	s_or_b64 exec, exec, s[88:89]
                                        ; implicit-def: $vgpr1
.LBB4_4329:                             ;   in Loop: Header=BB4_3710 Depth=2
	s_andn2_saveexec_b64 s[18:19], s[78:79]
; %bb.4330:                             ;   in Loop: Header=BB4_3710 Depth=2
	v_or_b32_e32 v21, 0x7e, v1
; %bb.4331:                             ;   in Loop: Header=BB4_3710 Depth=2
	s_or_b64 exec, exec, s[18:19]
                                        ; implicit-def: $vgpr6
.LBB4_4332:                             ;   in Loop: Header=BB4_3710 Depth=2
	s_andn2_saveexec_b64 s[18:19], s[76:77]
; %bb.4333:                             ;   in Loop: Header=BB4_3710 Depth=2
	v_or_b32_sdwa v21, v6, s39 dst_sel:DWORD dst_unused:UNUSED_PAD src0_sel:BYTE_3 src1_sel:DWORD
; %bb.4334:                             ;   in Loop: Header=BB4_3710 Depth=2
	s_or_b64 exec, exec, s[18:19]
	v_mov_b32_e32 v34, v13
	v_cmp_ne_u16_sdwa s[76:77], v13, v35 src0_sel:BYTE_0 src1_sel:DWORD
	v_mov_b32_e32 v1, 0
	s_and_saveexec_b64 s[18:19], s[76:77]
	s_cbranch_execz .LBB4_4340
; %bb.4335:                             ;   in Loop: Header=BB4_3710 Depth=2
	v_cmp_ne_u16_sdwa s[78:79], v13, s50 src0_sel:BYTE_0 src1_sel:DWORD
	v_bfrev_b32_e32 v1, 1
	s_and_saveexec_b64 s[76:77], s[78:79]
	s_cbranch_execz .LBB4_4339
; %bb.4336:                             ;   in Loop: Header=BB4_3710 Depth=2
	v_and_b32_e32 v6, 0x7f, v13
	v_cmp_ne_u32_e32 vcc, s39, v6
	v_mov_b32_e32 v1, 0x7f800001
	s_and_saveexec_b64 s[78:79], vcc
	s_cbranch_execz .LBB4_4338
; %bb.4337:                             ;   in Loop: Header=BB4_3710 Depth=2
	v_and_b32_e32 v1, 7, v13
	v_ffbh_u32_e32 v1, v1
	v_min_u32_e32 v1, 32, v1
	v_lshrrev_b32_e32 v10, 3, v6
	v_cmp_gt_u32_e32 vcc, 8, v6
	v_subrev_u32_e32 v6, 28, v1
	v_sub_u32_e32 v1, 29, v1
	v_cndmask_b32_e32 v6, 0, v6, vcc
	v_cndmask_b32_e32 v1, v10, v1, vcc
	v_lshlrev_b64 v[10:11], v6, v[34:35]
	v_lshl_add_u32 v1, v1, 23, v58
	v_lshlrev_b32_e32 v6, 20, v10
	v_lshlrev_b32_e32 v10, 24, v34
	v_and_b32_e32 v6, 0x700000, v6
	v_and_b32_e32 v10, 0x80000000, v10
	v_or3_b32 v1, v10, v1, v6
.LBB4_4338:                             ;   in Loop: Header=BB4_3710 Depth=2
	s_or_b64 exec, exec, s[78:79]
.LBB4_4339:                             ;   in Loop: Header=BB4_3710 Depth=2
	s_or_b64 exec, exec, s[76:77]
.LBB4_4340:                             ;   in Loop: Header=BB4_3710 Depth=2
	s_or_b64 exec, exec, s[18:19]
	v_mul_f32_e32 v10, v3, v1
	v_and_b32_e32 v14, 0x7f800000, v10
	v_mov_b32_e32 v15, v35
	v_cmp_ne_u64_e32 vcc, s[46:47], v[14:15]
                                        ; implicit-def: $vgpr1
	s_and_saveexec_b64 s[18:19], vcc
	s_xor_b64 s[76:77], exec, s[18:19]
	s_cbranch_execz .LBB4_4354
; %bb.4341:                             ;   in Loop: Header=BB4_3710 Depth=2
	v_and_b32_e32 v14, 0x7fffffff, v10
	v_mov_b32_e32 v15, v35
	v_cmp_gt_u64_e32 vcc, s[56:57], v[14:15]
	v_and_b32_sdwa v6, v10, s50 dst_sel:DWORD dst_unused:UNUSED_PAD src0_sel:BYTE_3 src1_sel:DWORD
                                        ; implicit-def: $vgpr1
	s_and_saveexec_b64 s[18:19], vcc
	s_xor_b64 s[78:79], exec, s[18:19]
	s_cbranch_execz .LBB4_4351
; %bb.4342:                             ;   in Loop: Header=BB4_3710 Depth=2
	v_mov_b32_e32 v1, 0
	v_cmp_ne_u32_e32 vcc, 0, v10
	s_and_saveexec_b64 s[88:89], vcc
	s_cbranch_execz .LBB4_4350
; %bb.4343:                             ;   in Loop: Header=BB4_3710 Depth=2
	v_bfe_u32 v1, v10, 23, 8
	v_and_b32_e32 v11, 0x7fffff, v10
	v_cmp_gt_u32_e64 s[18:19], s51, v1
	v_sub_u32_e32 v10, 0x79, v1
	v_cmp_eq_u32_e32 vcc, 0, v1
	v_cndmask_b32_e64 v10, 0, v10, s[18:19]
	v_or_b32_e32 v14, 0x800000, v11
	v_cndmask_b32_e32 v16, v10, v59, vcc
	v_cndmask_b32_e32 v10, v14, v11, vcc
	v_add_u32_e32 v14, 20, v16
	v_lshlrev_b64 v[14:15], v14, -1
	v_mov_b32_e32 v11, v35
	v_add_u32_e32 v17, 19, v16
	v_bfi_b32 v14, v14, 0, v10
	v_lshlrev_b64 v[17:18], v17, 1
	v_lshrrev_b64 v[10:11], v16, v[10:11]
	v_bfi_b32 v15, v15, 0, 0
	v_cmp_eq_u64_e64 s[18:19], v[14:15], v[17:18]
	v_mov_b32_e32 v15, v11
	v_mov_b32_e32 v14, v10
	s_and_saveexec_b64 s[90:91], s[18:19]
; %bb.4344:                             ;   in Loop: Header=BB4_3710 Depth=2
	v_bfe_u32 v11, v10, 20, 1
	v_add_co_u32_e64 v11, s[18:19], v10, v11
	v_add_co_u32_e64 v14, s[18:19], -1, v11
; %bb.4345:                             ;   in Loop: Header=BB4_3710 Depth=2
	s_or_b64 exec, exec, s[90:91]
	v_add_u32_e32 v1, 0xffffff81, v1
	v_cndmask_b32_e32 v1, v1, v60, vcc
	v_lshrrev_b32_e32 v11, 23, v10
	v_add3_u32 v16, v16, v1, v11
	v_add_u32_e32 v15, 6, v16
	v_and_b32_e32 v1, 0xfffff, v14
	v_add_u32_e32 v10, v1, v10
	v_mov_b32_e32 v11, v35
	v_cmp_ne_u32_e32 vcc, 0, v15
                                        ; implicit-def: $vgpr1
	s_and_saveexec_b64 s[18:19], vcc
	s_xor_b64 s[18:19], exec, s[18:19]
; %bb.4346:                             ;   in Loop: Header=BB4_3710 Depth=2
	v_cmp_lt_u64_e32 vcc, s[58:59], v[10:11]
	v_add_u32_e32 v1, 7, v16
	v_cndmask_b32_e64 v14, 0, 1, vcc
	v_lshrrev_b64 v[10:11], v14, v[10:11]
	v_cndmask_b32_e32 v1, v15, v1, vcc
; %bb.4347:                             ;   in Loop: Header=BB4_3710 Depth=2
	s_andn2_saveexec_b64 s[18:19], s[18:19]
; %bb.4348:                             ;   in Loop: Header=BB4_3710 Depth=2
	v_bfe_u32 v1, v10, 23, 1
; %bb.4349:                             ;   in Loop: Header=BB4_3710 Depth=2
	s_or_b64 exec, exec, s[18:19]
	v_lshrrev_b64 v[10:11], 20, v[10:11]
	v_cmp_gt_i32_e32 vcc, 16, v1
	v_cndmask_b32_e32 v11, 0, v11, vcc
	v_cndmask_b32_e32 v10, 7, v10, vcc
	v_cmp_eq_u32_e32 vcc, 0, v1
	v_min_i32_e32 v1, 15, v1
	v_cmp_eq_u64_e64 s[18:19], 0, v[10:11]
	v_lshlrev_b32_e32 v1, 3, v1
	v_and_b32_e32 v1, 0xf8, v1
	v_and_or_b32 v1, v10, 7, v1
	s_and_b64 s[18:19], vcc, s[18:19]
	v_cndmask_b32_e64 v1, v1, 0, s[18:19]
	v_or_b32_e32 v1, v1, v6
.LBB4_4350:                             ;   in Loop: Header=BB4_3710 Depth=2
	s_or_b64 exec, exec, s[88:89]
                                        ; implicit-def: $vgpr6
.LBB4_4351:                             ;   in Loop: Header=BB4_3710 Depth=2
	s_andn2_saveexec_b64 s[18:19], s[78:79]
; %bb.4352:                             ;   in Loop: Header=BB4_3710 Depth=2
	v_or_b32_e32 v1, 0x7e, v6
; %bb.4353:                             ;   in Loop: Header=BB4_3710 Depth=2
	s_or_b64 exec, exec, s[18:19]
                                        ; implicit-def: $vgpr10
.LBB4_4354:                             ;   in Loop: Header=BB4_3710 Depth=2
	s_andn2_saveexec_b64 s[18:19], s[76:77]
; %bb.4355:                             ;   in Loop: Header=BB4_3710 Depth=2
	v_or_b32_sdwa v1, v10, s39 dst_sel:DWORD dst_unused:UNUSED_PAD src0_sel:BYTE_3 src1_sel:DWORD
; %bb.4356:                             ;   in Loop: Header=BB4_3710 Depth=2
	s_or_b64 exec, exec, s[18:19]
	v_lshrrev_b16_e32 v10, 8, v34
	v_cmp_ne_u16_e32 vcc, 0, v10
	v_mov_b32_e32 v6, 0
	s_and_saveexec_b64 s[18:19], vcc
	s_cbranch_execz .LBB4_4362
; %bb.4357:                             ;   in Loop: Header=BB4_3710 Depth=2
	v_cmp_ne_u16_e32 vcc, s50, v10
	v_bfrev_b32_e32 v6, 1
	s_and_saveexec_b64 s[76:77], vcc
	s_cbranch_execz .LBB4_4361
; %bb.4358:                             ;   in Loop: Header=BB4_3710 Depth=2
	v_and_b32_e32 v11, 0x7f, v10
	v_cmp_ne_u32_e32 vcc, s39, v11
	v_mov_b32_e32 v6, 0x7f800001
	s_and_saveexec_b64 s[78:79], vcc
	s_cbranch_execz .LBB4_4360
; %bb.4359:                             ;   in Loop: Header=BB4_3710 Depth=2
	v_and_b32_e32 v6, 7, v10
	v_lshrrev_b32_e32 v14, 3, v11
	v_cmp_gt_u32_e32 vcc, 8, v11
	v_ffbh_u32_e32 v11, v6
	v_min_u32_e32 v15, 32, v11
	v_subrev_u32_e32 v11, 28, v15
	v_lshlrev_b64 v[10:11], v11, v[10:11]
	v_sub_u32_e32 v11, 29, v15
	v_and_b32_e32 v10, 7, v10
	v_cndmask_b32_e32 v11, v14, v11, vcc
	v_cndmask_b32_e32 v6, v6, v10, vcc
	v_lshlrev_b32_e32 v10, 16, v34
	v_lshlrev_b32_e32 v6, 20, v6
	v_and_b32_e32 v10, 0x80000000, v10
	v_lshl_add_u32 v11, v11, 23, v58
	v_or3_b32 v6, v10, v11, v6
.LBB4_4360:                             ;   in Loop: Header=BB4_3710 Depth=2
	s_or_b64 exec, exec, s[78:79]
.LBB4_4361:                             ;   in Loop: Header=BB4_3710 Depth=2
	s_or_b64 exec, exec, s[76:77]
.LBB4_4362:                             ;   in Loop: Header=BB4_3710 Depth=2
	s_or_b64 exec, exec, s[18:19]
	v_mul_f32_e32 v10, v3, v6
	v_and_b32_e32 v34, 0x7f800000, v10
	v_cmp_ne_u64_e32 vcc, s[46:47], v[34:35]
                                        ; implicit-def: $vgpr6
	s_and_saveexec_b64 s[18:19], vcc
	s_xor_b64 s[76:77], exec, s[18:19]
	s_cbranch_execz .LBB4_4376
; %bb.4363:                             ;   in Loop: Header=BB4_3710 Depth=2
	v_and_b32_e32 v34, 0x7fffffff, v10
	v_cmp_gt_u64_e32 vcc, s[56:57], v[34:35]
	v_and_b32_sdwa v16, v10, s50 dst_sel:DWORD dst_unused:UNUSED_PAD src0_sel:BYTE_3 src1_sel:DWORD
                                        ; implicit-def: $vgpr6
	s_and_saveexec_b64 s[18:19], vcc
	s_xor_b64 s[78:79], exec, s[18:19]
	s_cbranch_execz .LBB4_4373
; %bb.4364:                             ;   in Loop: Header=BB4_3710 Depth=2
	v_mov_b32_e32 v6, 0
	v_cmp_ne_u32_e32 vcc, 0, v10
	s_and_saveexec_b64 s[88:89], vcc
	s_cbranch_execz .LBB4_4372
; %bb.4365:                             ;   in Loop: Header=BB4_3710 Depth=2
	v_bfe_u32 v6, v10, 23, 8
	v_and_b32_e32 v11, 0x7fffff, v10
	v_cmp_gt_u32_e64 s[18:19], s51, v6
	v_sub_u32_e32 v10, 0x79, v6
	v_cmp_eq_u32_e32 vcc, 0, v6
	v_cndmask_b32_e64 v10, 0, v10, s[18:19]
	v_cndmask_b32_e32 v17, v10, v59, vcc
	v_or_b32_e32 v14, 0x800000, v11
	v_add_u32_e32 v10, 20, v17
	v_cndmask_b32_e32 v34, v14, v11, vcc
	v_lshlrev_b64 v[10:11], v10, -1
	v_add_u32_e32 v14, 19, v17
	v_lshlrev_b64 v[14:15], v14, 1
	v_bfi_b32 v11, v11, 0, 0
	v_bfi_b32 v10, v10, 0, v34
	v_cmp_eq_u64_e64 s[18:19], v[10:11], v[14:15]
	v_lshrrev_b64 v[10:11], v17, v[34:35]
	v_mov_b32_e32 v15, v11
	v_mov_b32_e32 v14, v10
	s_and_saveexec_b64 s[90:91], s[18:19]
; %bb.4366:                             ;   in Loop: Header=BB4_3710 Depth=2
	v_bfe_u32 v11, v10, 20, 1
	v_add_co_u32_e64 v11, s[18:19], v10, v11
	v_add_co_u32_e64 v14, s[18:19], -1, v11
; %bb.4367:                             ;   in Loop: Header=BB4_3710 Depth=2
	s_or_b64 exec, exec, s[90:91]
	v_add_u32_e32 v6, 0xffffff81, v6
	v_cndmask_b32_e32 v6, v6, v60, vcc
	v_lshrrev_b32_e32 v11, 23, v10
	v_add3_u32 v17, v17, v6, v11
	v_add_u32_e32 v15, 6, v17
	v_and_b32_e32 v6, 0xfffff, v14
	v_add_u32_e32 v34, v6, v10
	v_cmp_ne_u32_e32 vcc, 0, v15
                                        ; implicit-def: $vgpr10_vgpr11
                                        ; implicit-def: $vgpr6
	s_and_saveexec_b64 s[18:19], vcc
	s_xor_b64 s[18:19], exec, s[18:19]
; %bb.4368:                             ;   in Loop: Header=BB4_3710 Depth=2
	v_cmp_lt_u64_e32 vcc, s[58:59], v[34:35]
	v_add_u32_e32 v6, 7, v17
	v_cndmask_b32_e64 v10, 0, 1, vcc
	v_lshrrev_b64 v[10:11], v10, v[34:35]
	v_cndmask_b32_e32 v6, v15, v6, vcc
; %bb.4369:                             ;   in Loop: Header=BB4_3710 Depth=2
	s_andn2_saveexec_b64 s[18:19], s[18:19]
; %bb.4370:                             ;   in Loop: Header=BB4_3710 Depth=2
	v_mov_b32_e32 v10, v34
	v_bfe_u32 v6, v34, 23, 1
	v_mov_b32_e32 v11, v35
; %bb.4371:                             ;   in Loop: Header=BB4_3710 Depth=2
	s_or_b64 exec, exec, s[18:19]
	v_lshrrev_b64 v[10:11], 20, v[10:11]
	v_cmp_gt_i32_e32 vcc, 16, v6
	v_cndmask_b32_e32 v11, 0, v11, vcc
	v_cndmask_b32_e32 v10, 7, v10, vcc
	v_cmp_eq_u32_e32 vcc, 0, v6
	v_min_i32_e32 v6, 15, v6
	v_cmp_eq_u64_e64 s[18:19], 0, v[10:11]
	v_lshlrev_b32_e32 v6, 3, v6
	v_and_b32_e32 v6, 0xf8, v6
	v_and_or_b32 v6, v10, 7, v6
	s_and_b64 s[18:19], vcc, s[18:19]
	v_cndmask_b32_e64 v6, v6, 0, s[18:19]
	v_or_b32_e32 v6, v6, v16
.LBB4_4372:                             ;   in Loop: Header=BB4_3710 Depth=2
	s_or_b64 exec, exec, s[88:89]
                                        ; implicit-def: $vgpr16
.LBB4_4373:                             ;   in Loop: Header=BB4_3710 Depth=2
	s_andn2_saveexec_b64 s[18:19], s[78:79]
; %bb.4374:                             ;   in Loop: Header=BB4_3710 Depth=2
	v_or_b32_e32 v6, 0x7e, v16
; %bb.4375:                             ;   in Loop: Header=BB4_3710 Depth=2
	s_or_b64 exec, exec, s[18:19]
                                        ; implicit-def: $vgpr10
.LBB4_4376:                             ;   in Loop: Header=BB4_3710 Depth=2
	s_andn2_saveexec_b64 s[18:19], s[76:77]
; %bb.4377:                             ;   in Loop: Header=BB4_3710 Depth=2
	v_or_b32_sdwa v6, v10, s39 dst_sel:DWORD dst_unused:UNUSED_PAD src0_sel:BYTE_3 src1_sel:DWORD
; %bb.4378:                             ;   in Loop: Header=BB4_3710 Depth=2
	s_or_b64 exec, exec, s[18:19]
	v_lshrrev_b32_e32 v10, 16, v13
	v_cmp_ne_u16_sdwa s[76:77], v10, v35 src0_sel:BYTE_0 src1_sel:DWORD
	v_mov_b32_e32 v11, 0
	s_and_saveexec_b64 s[18:19], s[76:77]
	s_cbranch_execz .LBB4_4384
; %bb.4379:                             ;   in Loop: Header=BB4_3710 Depth=2
	v_cmp_ne_u16_sdwa s[78:79], v10, s50 src0_sel:BYTE_0 src1_sel:DWORD
	v_bfrev_b32_e32 v11, 1
	s_and_saveexec_b64 s[76:77], s[78:79]
	s_cbranch_execz .LBB4_4383
; %bb.4380:                             ;   in Loop: Header=BB4_3710 Depth=2
	v_bfe_u32 v14, v13, 16, 7
	v_cmp_ne_u32_e32 vcc, s39, v14
	v_mov_b32_e32 v11, 0x7f800001
	s_and_saveexec_b64 s[78:79], vcc
	s_cbranch_execz .LBB4_4382
; %bb.4381:                             ;   in Loop: Header=BB4_3710 Depth=2
	v_and_b32_e32 v11, 7, v10
	v_lshrrev_b32_e32 v16, 3, v14
	v_cmp_gt_u32_e32 vcc, 8, v14
	v_ffbh_u32_e32 v14, v11
	v_min_u32_e32 v17, 32, v14
	v_subrev_u32_e32 v14, 28, v17
	v_lshlrev_b64 v[14:15], v14, v[10:11]
	v_sub_u32_e32 v15, 29, v17
	v_and_b32_e32 v14, 7, v14
	v_cndmask_b32_e32 v15, v16, v15, vcc
	v_cndmask_b32_e32 v11, v11, v14, vcc
	v_lshlrev_b32_e32 v10, 24, v10
	v_lshlrev_b32_e32 v11, 20, v11
	v_and_b32_e32 v10, 0x80000000, v10
	v_lshl_add_u32 v14, v15, 23, v58
	v_or3_b32 v11, v10, v14, v11
.LBB4_4382:                             ;   in Loop: Header=BB4_3710 Depth=2
	s_or_b64 exec, exec, s[78:79]
.LBB4_4383:                             ;   in Loop: Header=BB4_3710 Depth=2
	s_or_b64 exec, exec, s[76:77]
.LBB4_4384:                             ;   in Loop: Header=BB4_3710 Depth=2
	s_or_b64 exec, exec, s[18:19]
	v_mul_f32_e32 v10, v3, v11
	v_and_b32_e32 v34, 0x7f800000, v10
	v_cmp_ne_u64_e32 vcc, s[46:47], v[34:35]
                                        ; implicit-def: $vgpr18
	s_and_saveexec_b64 s[18:19], vcc
	s_xor_b64 s[76:77], exec, s[18:19]
	s_cbranch_execz .LBB4_4398
; %bb.4385:                             ;   in Loop: Header=BB4_3710 Depth=2
	v_and_b32_e32 v34, 0x7fffffff, v10
	v_cmp_gt_u64_e32 vcc, s[56:57], v[34:35]
	v_and_b32_sdwa v16, v10, s50 dst_sel:DWORD dst_unused:UNUSED_PAD src0_sel:BYTE_3 src1_sel:DWORD
                                        ; implicit-def: $vgpr18
	s_and_saveexec_b64 s[18:19], vcc
	s_xor_b64 s[78:79], exec, s[18:19]
	s_cbranch_execz .LBB4_4395
; %bb.4386:                             ;   in Loop: Header=BB4_3710 Depth=2
	v_mov_b32_e32 v18, 0
	v_cmp_ne_u32_e32 vcc, 0, v10
	s_and_saveexec_b64 s[88:89], vcc
	s_cbranch_execz .LBB4_4394
; %bb.4387:                             ;   in Loop: Header=BB4_3710 Depth=2
	v_bfe_u32 v17, v10, 23, 8
	v_and_b32_e32 v11, 0x7fffff, v10
	v_cmp_gt_u32_e64 s[18:19], s51, v17
	v_sub_u32_e32 v10, 0x79, v17
	v_cmp_eq_u32_e32 vcc, 0, v17
	v_cndmask_b32_e64 v10, 0, v10, s[18:19]
	v_cndmask_b32_e32 v18, v10, v59, vcc
	v_or_b32_e32 v14, 0x800000, v11
	v_add_u32_e32 v10, 20, v18
	v_cndmask_b32_e32 v34, v14, v11, vcc
	v_lshlrev_b64 v[10:11], v10, -1
	v_add_u32_e32 v14, 19, v18
	v_lshlrev_b64 v[14:15], v14, 1
	v_bfi_b32 v11, v11, 0, 0
	v_bfi_b32 v10, v10, 0, v34
	v_cmp_eq_u64_e64 s[18:19], v[10:11], v[14:15]
	v_lshrrev_b64 v[10:11], v18, v[34:35]
	v_mov_b32_e32 v15, v11
	v_mov_b32_e32 v14, v10
	s_and_saveexec_b64 s[90:91], s[18:19]
; %bb.4388:                             ;   in Loop: Header=BB4_3710 Depth=2
	v_bfe_u32 v11, v10, 20, 1
	v_add_co_u32_e64 v11, s[18:19], v10, v11
	v_add_co_u32_e64 v14, s[18:19], -1, v11
; %bb.4389:                             ;   in Loop: Header=BB4_3710 Depth=2
	s_or_b64 exec, exec, s[90:91]
	v_add_u32_e32 v11, 0xffffff81, v17
	v_cndmask_b32_e32 v11, v11, v60, vcc
	v_lshrrev_b32_e32 v15, 23, v10
	v_add3_u32 v17, v18, v11, v15
	v_add_u32_e32 v15, 6, v17
	v_and_b32_e32 v11, 0xfffff, v14
	v_add_u32_e32 v34, v11, v10
	v_cmp_ne_u32_e32 vcc, 0, v15
                                        ; implicit-def: $vgpr10_vgpr11
                                        ; implicit-def: $vgpr14
	s_and_saveexec_b64 s[18:19], vcc
	s_xor_b64 s[18:19], exec, s[18:19]
; %bb.4390:                             ;   in Loop: Header=BB4_3710 Depth=2
	v_cmp_lt_u64_e32 vcc, s[58:59], v[34:35]
	v_add_u32_e32 v10, 7, v17
	v_cndmask_b32_e32 v14, v15, v10, vcc
	v_cndmask_b32_e64 v10, 0, 1, vcc
	v_lshrrev_b64 v[10:11], v10, v[34:35]
; %bb.4391:                             ;   in Loop: Header=BB4_3710 Depth=2
	s_andn2_saveexec_b64 s[18:19], s[18:19]
; %bb.4392:                             ;   in Loop: Header=BB4_3710 Depth=2
	v_mov_b32_e32 v10, v34
	v_bfe_u32 v14, v34, 23, 1
	v_mov_b32_e32 v11, v35
; %bb.4393:                             ;   in Loop: Header=BB4_3710 Depth=2
	s_or_b64 exec, exec, s[18:19]
	v_lshrrev_b64 v[10:11], 20, v[10:11]
	v_cmp_gt_i32_e32 vcc, 16, v14
	v_cndmask_b32_e32 v11, 0, v11, vcc
	v_cndmask_b32_e32 v10, 7, v10, vcc
	v_cmp_eq_u64_e64 s[18:19], 0, v[10:11]
	v_min_i32_e32 v11, 15, v14
	v_lshlrev_b32_e32 v11, 3, v11
	v_cmp_eq_u32_e32 vcc, 0, v14
	v_and_b32_e32 v11, 0xf8, v11
	v_and_or_b32 v10, v10, 7, v11
	s_and_b64 s[18:19], vcc, s[18:19]
	v_cndmask_b32_e64 v10, v10, 0, s[18:19]
	v_or_b32_e32 v18, v10, v16
.LBB4_4394:                             ;   in Loop: Header=BB4_3710 Depth=2
	s_or_b64 exec, exec, s[88:89]
                                        ; implicit-def: $vgpr16
.LBB4_4395:                             ;   in Loop: Header=BB4_3710 Depth=2
	s_andn2_saveexec_b64 s[18:19], s[78:79]
; %bb.4396:                             ;   in Loop: Header=BB4_3710 Depth=2
	v_or_b32_e32 v18, 0x7e, v16
; %bb.4397:                             ;   in Loop: Header=BB4_3710 Depth=2
	s_or_b64 exec, exec, s[18:19]
                                        ; implicit-def: $vgpr10
.LBB4_4398:                             ;   in Loop: Header=BB4_3710 Depth=2
	s_andn2_saveexec_b64 s[18:19], s[76:77]
; %bb.4399:                             ;   in Loop: Header=BB4_3710 Depth=2
	v_or_b32_sdwa v18, v10, s39 dst_sel:DWORD dst_unused:UNUSED_PAD src0_sel:BYTE_3 src1_sel:DWORD
; %bb.4400:                             ;   in Loop: Header=BB4_3710 Depth=2
	s_or_b64 exec, exec, s[18:19]
	v_cmp_lt_u64_e32 vcc, s[60:61], v[12:13]
	v_mov_b32_e32 v11, 0
	s_and_saveexec_b64 s[18:19], vcc
	s_cbranch_execz .LBB4_4406
; %bb.4401:                             ;   in Loop: Header=BB4_3710 Depth=2
	v_lshrrev_b32_e32 v10, 24, v13
	v_cmp_ne_u32_e32 vcc, s50, v10
	v_bfrev_b32_e32 v11, 1
	s_and_saveexec_b64 s[76:77], vcc
	s_cbranch_execz .LBB4_4405
; %bb.4402:                             ;   in Loop: Header=BB4_3710 Depth=2
	v_bfe_u32 v12, v13, 24, 7
	v_cmp_ne_u32_e32 vcc, s39, v12
	v_mov_b32_e32 v11, 0x7f800001
	s_and_saveexec_b64 s[78:79], vcc
	s_cbranch_execz .LBB4_4404
; %bb.4403:                             ;   in Loop: Header=BB4_3710 Depth=2
	v_and_b32_e32 v13, 7, v10
	v_ffbh_u32_e32 v11, v13
	v_min_u32_e32 v15, 32, v11
	v_subrev_u32_e32 v11, 28, v15
	v_lshrrev_b32_e32 v14, 3, v12
	v_cmp_gt_u32_e32 vcc, 8, v12
	v_lshlrev_b64 v[11:12], v11, v[10:11]
	v_sub_u32_e32 v12, 29, v15
	v_and_b32_e32 v11, 7, v11
	v_cndmask_b32_e32 v12, v14, v12, vcc
	v_cndmask_b32_e32 v11, v13, v11, vcc
	v_lshlrev_b32_e32 v10, 24, v10
	v_lshlrev_b32_e32 v11, 20, v11
	v_and_b32_e32 v10, 0x80000000, v10
	v_lshl_add_u32 v12, v12, 23, v58
	v_or3_b32 v11, v10, v12, v11
.LBB4_4404:                             ;   in Loop: Header=BB4_3710 Depth=2
	s_or_b64 exec, exec, s[78:79]
.LBB4_4405:                             ;   in Loop: Header=BB4_3710 Depth=2
	s_or_b64 exec, exec, s[76:77]
.LBB4_4406:                             ;   in Loop: Header=BB4_3710 Depth=2
	s_or_b64 exec, exec, s[18:19]
	v_mul_f32_e32 v10, v3, v11
	v_and_b32_e32 v34, 0x7f800000, v10
	v_cmp_ne_u64_e32 vcc, s[46:47], v[34:35]
                                        ; implicit-def: $vgpr26
	s_and_saveexec_b64 s[18:19], vcc
	s_xor_b64 s[76:77], exec, s[18:19]
	s_cbranch_execz .LBB4_4420
; %bb.4407:                             ;   in Loop: Header=BB4_3710 Depth=2
	v_and_b32_e32 v34, 0x7fffffff, v10
	v_cmp_gt_u64_e32 vcc, s[56:57], v[34:35]
	v_and_b32_sdwa v3, v10, s50 dst_sel:DWORD dst_unused:UNUSED_PAD src0_sel:BYTE_3 src1_sel:DWORD
                                        ; implicit-def: $vgpr26
	s_and_saveexec_b64 s[18:19], vcc
	s_xor_b64 s[78:79], exec, s[18:19]
	s_cbranch_execz .LBB4_4417
; %bb.4408:                             ;   in Loop: Header=BB4_3710 Depth=2
	v_mov_b32_e32 v26, 0
	v_cmp_ne_u32_e32 vcc, 0, v10
	s_and_saveexec_b64 s[88:89], vcc
	s_cbranch_execz .LBB4_4416
; %bb.4409:                             ;   in Loop: Header=BB4_3710 Depth=2
	v_bfe_u32 v13, v10, 23, 8
	v_and_b32_e32 v11, 0x7fffff, v10
	v_cmp_gt_u32_e64 s[18:19], s51, v13
	v_sub_u32_e32 v10, 0x79, v13
	v_cmp_eq_u32_e32 vcc, 0, v13
	v_cndmask_b32_e64 v10, 0, v10, s[18:19]
	v_cndmask_b32_e32 v14, v10, v59, vcc
	v_or_b32_e32 v12, 0x800000, v11
	v_add_u32_e32 v10, 20, v14
	v_cndmask_b32_e32 v34, v12, v11, vcc
	v_lshlrev_b64 v[10:11], v10, -1
	v_add_u32_e32 v12, 19, v14
	v_lshlrev_b64 v[15:16], v12, 1
	v_bfi_b32 v11, v11, 0, 0
	v_bfi_b32 v10, v10, 0, v34
	v_cmp_eq_u64_e64 s[18:19], v[10:11], v[15:16]
	v_lshrrev_b64 v[10:11], v14, v[34:35]
	v_mov_b32_e32 v12, v11
	v_mov_b32_e32 v11, v10
	s_and_saveexec_b64 s[90:91], s[18:19]
; %bb.4410:                             ;   in Loop: Header=BB4_3710 Depth=2
	v_bfe_u32 v11, v10, 20, 1
	v_add_co_u32_e64 v11, s[18:19], v10, v11
	v_add_co_u32_e64 v11, s[18:19], -1, v11
; %bb.4411:                             ;   in Loop: Header=BB4_3710 Depth=2
	s_or_b64 exec, exec, s[90:91]
	v_add_u32_e32 v12, 0xffffff81, v13
	v_cndmask_b32_e32 v12, v12, v60, vcc
	v_lshrrev_b32_e32 v13, 23, v10
	v_add3_u32 v14, v14, v12, v13
	v_add_u32_e32 v13, 6, v14
	v_and_b32_e32 v11, 0xfffff, v11
	v_add_u32_e32 v34, v11, v10
	v_cmp_ne_u32_e32 vcc, 0, v13
                                        ; implicit-def: $vgpr10_vgpr11
                                        ; implicit-def: $vgpr12
	s_and_saveexec_b64 s[18:19], vcc
	s_xor_b64 s[18:19], exec, s[18:19]
; %bb.4412:                             ;   in Loop: Header=BB4_3710 Depth=2
	v_cmp_lt_u64_e32 vcc, s[58:59], v[34:35]
	v_add_u32_e32 v10, 7, v14
	v_cndmask_b32_e32 v12, v13, v10, vcc
	v_cndmask_b32_e64 v10, 0, 1, vcc
	v_lshrrev_b64 v[10:11], v10, v[34:35]
; %bb.4413:                             ;   in Loop: Header=BB4_3710 Depth=2
	s_andn2_saveexec_b64 s[18:19], s[18:19]
; %bb.4414:                             ;   in Loop: Header=BB4_3710 Depth=2
	v_mov_b32_e32 v10, v34
	v_bfe_u32 v12, v34, 23, 1
	v_mov_b32_e32 v11, v35
; %bb.4415:                             ;   in Loop: Header=BB4_3710 Depth=2
	s_or_b64 exec, exec, s[18:19]
	v_lshrrev_b64 v[10:11], 20, v[10:11]
	v_cmp_gt_i32_e32 vcc, 16, v12
	v_cndmask_b32_e32 v11, 0, v11, vcc
	v_cndmask_b32_e32 v10, 7, v10, vcc
	v_cmp_eq_u64_e64 s[18:19], 0, v[10:11]
	v_min_i32_e32 v11, 15, v12
	v_lshlrev_b32_e32 v11, 3, v11
	v_cmp_eq_u32_e32 vcc, 0, v12
	v_and_b32_e32 v11, 0xf8, v11
	v_and_or_b32 v10, v10, 7, v11
	s_and_b64 s[18:19], vcc, s[18:19]
	v_cndmask_b32_e64 v10, v10, 0, s[18:19]
	v_or_b32_e32 v26, v10, v3
.LBB4_4416:                             ;   in Loop: Header=BB4_3710 Depth=2
	s_or_b64 exec, exec, s[88:89]
                                        ; implicit-def: $vgpr3
.LBB4_4417:                             ;   in Loop: Header=BB4_3710 Depth=2
	s_andn2_saveexec_b64 s[18:19], s[78:79]
; %bb.4418:                             ;   in Loop: Header=BB4_3710 Depth=2
	v_or_b32_e32 v26, 0x7e, v3
; %bb.4419:                             ;   in Loop: Header=BB4_3710 Depth=2
	s_or_b64 exec, exec, s[18:19]
                                        ; implicit-def: $vgpr10
.LBB4_4420:                             ;   in Loop: Header=BB4_3710 Depth=2
	s_andn2_saveexec_b64 s[18:19], s[76:77]
; %bb.4421:                             ;   in Loop: Header=BB4_3710 Depth=2
	v_or_b32_sdwa v26, v10, s39 dst_sel:DWORD dst_unused:UNUSED_PAD src0_sel:BYTE_3 src1_sel:DWORD
; %bb.4422:                             ;   in Loop: Header=BB4_3710 Depth=2
	s_or_b64 exec, exec, s[18:19]
	global_load_dwordx4 v[14:17], v[54:55], off glc slc
	global_load_dwordx4 v[10:13], v[54:55], off offset:1024 glc slc
	v_lshl_or_b32 v3, v4, 8, v0
	v_lshlrev_b32_e32 v4, 16, v8
	v_lshlrev_b32_e32 v8, 24, v27
	v_or3_b32 v34, v4, v8, v3
	v_cmp_ne_u32_e32 vcc, 0, v0
	v_mov_b32_e32 v4, 0
	v_mov_b32_e32 v8, 0
	s_and_saveexec_b64 s[18:19], vcc
	s_cbranch_execz .LBB4_4428
; %bb.4423:                             ;   in Loop: Header=BB4_3710 Depth=2
	v_cmp_ne_u32_e32 vcc, s50, v0
	v_bfrev_b32_e32 v8, 1
	s_and_saveexec_b64 s[76:77], vcc
	s_cbranch_execz .LBB4_4427
; %bb.4424:                             ;   in Loop: Header=BB4_3710 Depth=2
	v_and_b32_e32 v27, 0x7f, v0
	v_cmp_ne_u32_e32 vcc, s39, v27
	v_mov_b32_e32 v8, 0x7f800001
	s_and_saveexec_b64 s[78:79], vcc
	s_cbranch_execz .LBB4_4426
; %bb.4425:                             ;   in Loop: Header=BB4_3710 Depth=2
	v_and_b32_e32 v0, 7, v0
	v_ffbh_u32_e32 v0, v0
	v_min_u32_e32 v0, 32, v0
	v_lshrrev_b32_e32 v8, 3, v27
	v_cmp_gt_u32_e32 vcc, 8, v27
	v_subrev_u32_e32 v27, 28, v0
	v_sub_u32_e32 v0, 29, v0
	v_cndmask_b32_e32 v0, v8, v0, vcc
	v_cndmask_b32_e32 v8, 0, v27, vcc
	v_lshlrev_b64 v[27:28], v8, v[34:35]
	v_lshl_add_u32 v0, v0, 23, v58
	v_lshlrev_b32_e32 v8, 20, v27
	v_lshlrev_b32_e32 v27, 24, v34
	v_and_b32_e32 v8, 0x700000, v8
	v_and_b32_e32 v27, 0x80000000, v27
	v_or3_b32 v8, v27, v0, v8
.LBB4_4426:                             ;   in Loop: Header=BB4_3710 Depth=2
	s_or_b64 exec, exec, s[78:79]
.LBB4_4427:                             ;   in Loop: Header=BB4_3710 Depth=2
	s_or_b64 exec, exec, s[76:77]
.LBB4_4428:                             ;   in Loop: Header=BB4_3710 Depth=2
	s_or_b64 exec, exec, s[18:19]
	s_waitcnt vmcnt(1)
	v_cmp_ne_u16_sdwa s[76:77], v14, v35 src0_sel:BYTE_0 src1_sel:DWORD
	s_and_saveexec_b64 s[18:19], s[76:77]
	s_cbranch_execz .LBB4_4434
; %bb.4429:                             ;   in Loop: Header=BB4_3710 Depth=2
	v_cmp_ne_u16_sdwa s[78:79], v14, s50 src0_sel:BYTE_0 src1_sel:DWORD
	v_bfrev_b32_e32 v4, 1
	s_and_saveexec_b64 s[76:77], s[78:79]
	s_cbranch_execz .LBB4_4433
; %bb.4430:                             ;   in Loop: Header=BB4_3710 Depth=2
	v_and_b32_e32 v0, 0x7f, v14
	v_cmp_ne_u32_e32 vcc, s39, v0
	v_mov_b32_e32 v4, 0x7f800001
	s_and_saveexec_b64 s[78:79], vcc
	s_cbranch_execz .LBB4_4432
; %bb.4431:                             ;   in Loop: Header=BB4_3710 Depth=2
	v_and_b32_e32 v4, 7, v14
	v_lshrrev_b32_e32 v27, 3, v0
	v_cmp_gt_u32_e32 vcc, 8, v0
	v_ffbh_u32_e32 v0, v4
	v_min_u32_e32 v0, 32, v0
	v_subrev_u32_e32 v4, 28, v0
	v_sub_u32_e32 v0, 29, v0
	v_cndmask_b32_e32 v4, 0, v4, vcc
	v_cndmask_b32_e32 v0, v27, v0, vcc
	v_lshlrev_b64 v[27:28], v4, v[14:15]
	v_lshl_add_u32 v0, v0, 23, v58
	v_lshlrev_b32_e32 v4, 20, v27
	v_lshlrev_b32_e32 v27, 24, v14
	v_and_b32_e32 v4, 0x700000, v4
	v_and_b32_e32 v27, 0x80000000, v27
	v_or3_b32 v4, v27, v0, v4
.LBB4_4432:                             ;   in Loop: Header=BB4_3710 Depth=2
	s_or_b64 exec, exec, s[78:79]
.LBB4_4433:                             ;   in Loop: Header=BB4_3710 Depth=2
	s_or_b64 exec, exec, s[76:77]
.LBB4_4434:                             ;   in Loop: Header=BB4_3710 Depth=2
	s_or_b64 exec, exec, s[18:19]
	v_add_f32_e32 v8, v8, v4
	v_and_b32_e32 v27, 0x7f800000, v8
	v_mov_b32_e32 v28, v35
	v_cmp_ne_u64_e32 vcc, s[46:47], v[27:28]
                                        ; implicit-def: $vgpr0
	s_and_saveexec_b64 s[18:19], vcc
	s_xor_b64 s[76:77], exec, s[18:19]
	s_cbranch_execz .LBB4_4448
; %bb.4435:                             ;   in Loop: Header=BB4_3710 Depth=2
	v_and_b32_e32 v27, 0x7fffffff, v8
	v_mov_b32_e32 v28, v35
	v_cmp_gt_u64_e32 vcc, s[56:57], v[27:28]
	v_and_b32_sdwa v4, v8, s50 dst_sel:DWORD dst_unused:UNUSED_PAD src0_sel:BYTE_3 src1_sel:DWORD
                                        ; implicit-def: $vgpr0
	s_and_saveexec_b64 s[18:19], vcc
	s_xor_b64 s[78:79], exec, s[18:19]
	s_cbranch_execz .LBB4_4445
; %bb.4436:                             ;   in Loop: Header=BB4_3710 Depth=2
	v_mov_b32_e32 v0, 0
	v_cmp_ne_u32_e32 vcc, 0, v8
	s_and_saveexec_b64 s[88:89], vcc
	s_cbranch_execz .LBB4_4444
; %bb.4437:                             ;   in Loop: Header=BB4_3710 Depth=2
	v_bfe_u32 v0, v8, 23, 8
	v_and_b32_e32 v27, 0x7fffff, v8
	v_cmp_gt_u32_e64 s[18:19], s51, v0
	v_sub_u32_e32 v8, 0x79, v0
	v_cmp_eq_u32_e32 vcc, 0, v0
	v_cndmask_b32_e64 v8, 0, v8, s[18:19]
	v_cndmask_b32_e32 v8, v8, v59, vcc
	v_add_u32_e32 v29, 20, v8
	v_or_b32_e32 v28, 0x800000, v27
	v_lshlrev_b64 v[29:30], v29, -1
	v_add_u32_e32 v41, 19, v8
	v_cndmask_b32_e32 v27, v28, v27, vcc
	v_lshlrev_b64 v[41:42], v41, 1
	v_mov_b32_e32 v28, v35
	v_bfi_b32 v30, v30, 0, 0
	v_bfi_b32 v29, v29, 0, v27
	v_cmp_eq_u64_e64 s[18:19], v[29:30], v[41:42]
	v_lshrrev_b64 v[41:42], v8, v[27:28]
	v_mov_b32_e32 v43, v42
	v_mov_b32_e32 v42, v41
	s_and_saveexec_b64 s[90:91], s[18:19]
; %bb.4438:                             ;   in Loop: Header=BB4_3710 Depth=2
	v_bfe_u32 v27, v41, 20, 1
	v_add_co_u32_e64 v27, s[18:19], v41, v27
	v_add_co_u32_e64 v42, s[18:19], -1, v27
; %bb.4439:                             ;   in Loop: Header=BB4_3710 Depth=2
	s_or_b64 exec, exec, s[90:91]
	v_add_u32_e32 v0, 0xffffff81, v0
	v_cndmask_b32_e32 v0, v0, v60, vcc
	v_lshrrev_b32_e32 v27, 23, v41
	v_add3_u32 v27, v8, v0, v27
	v_add_u32_e32 v8, 6, v27
	v_and_b32_e32 v0, 0xfffff, v42
	v_add_u32_e32 v41, v0, v41
	v_mov_b32_e32 v42, v35
	v_cmp_ne_u32_e32 vcc, 0, v8
                                        ; implicit-def: $vgpr0
	s_and_saveexec_b64 s[18:19], vcc
	s_xor_b64 s[18:19], exec, s[18:19]
; %bb.4440:                             ;   in Loop: Header=BB4_3710 Depth=2
	v_cmp_lt_u64_e32 vcc, s[58:59], v[41:42]
	v_add_u32_e32 v0, 7, v27
	v_cndmask_b32_e32 v0, v8, v0, vcc
	v_cndmask_b32_e64 v8, 0, 1, vcc
	v_lshrrev_b64 v[41:42], v8, v[41:42]
; %bb.4441:                             ;   in Loop: Header=BB4_3710 Depth=2
	s_andn2_saveexec_b64 s[18:19], s[18:19]
; %bb.4442:                             ;   in Loop: Header=BB4_3710 Depth=2
	v_bfe_u32 v0, v41, 23, 1
; %bb.4443:                             ;   in Loop: Header=BB4_3710 Depth=2
	s_or_b64 exec, exec, s[18:19]
	v_lshrrev_b64 v[27:28], 20, v[41:42]
	v_cmp_gt_i32_e32 vcc, 16, v0
	v_cndmask_b32_e32 v28, 0, v28, vcc
	v_cndmask_b32_e32 v27, 7, v27, vcc
	v_cmp_eq_u32_e32 vcc, 0, v0
	v_min_i32_e32 v0, 15, v0
	v_cmp_eq_u64_e64 s[18:19], 0, v[27:28]
	v_lshlrev_b32_e32 v0, 3, v0
	v_and_b32_e32 v0, 0xf8, v0
	v_and_or_b32 v0, v27, 7, v0
	s_and_b64 s[18:19], vcc, s[18:19]
	v_cndmask_b32_e64 v0, v0, 0, s[18:19]
	v_or_b32_e32 v0, v0, v4
.LBB4_4444:                             ;   in Loop: Header=BB4_3710 Depth=2
	s_or_b64 exec, exec, s[88:89]
                                        ; implicit-def: $vgpr4
.LBB4_4445:                             ;   in Loop: Header=BB4_3710 Depth=2
	s_andn2_saveexec_b64 s[18:19], s[78:79]
; %bb.4446:                             ;   in Loop: Header=BB4_3710 Depth=2
	v_or_b32_e32 v0, 0x7e, v4
; %bb.4447:                             ;   in Loop: Header=BB4_3710 Depth=2
	s_or_b64 exec, exec, s[18:19]
                                        ; implicit-def: $vgpr8
.LBB4_4448:                             ;   in Loop: Header=BB4_3710 Depth=2
	s_andn2_saveexec_b64 s[18:19], s[76:77]
; %bb.4449:                             ;   in Loop: Header=BB4_3710 Depth=2
	v_or_b32_sdwa v0, v8, s39 dst_sel:DWORD dst_unused:UNUSED_PAD src0_sel:BYTE_3 src1_sel:DWORD
; %bb.4450:                             ;   in Loop: Header=BB4_3710 Depth=2
	s_or_b64 exec, exec, s[18:19]
	v_lshrrev_b16_e32 v30, 8, v3
	v_cmp_ne_u16_e32 vcc, 0, v30
	v_mov_b32_e32 v4, 0
	v_mov_b32_e32 v8, 0
	s_and_saveexec_b64 s[18:19], vcc
	s_cbranch_execz .LBB4_4456
; %bb.4451:                             ;   in Loop: Header=BB4_3710 Depth=2
	v_cmp_ne_u16_e32 vcc, s50, v30
	v_bfrev_b32_e32 v8, 1
	s_and_saveexec_b64 s[76:77], vcc
	s_cbranch_execz .LBB4_4455
; %bb.4452:                             ;   in Loop: Header=BB4_3710 Depth=2
	v_and_b32_e32 v27, 0x7f, v30
	v_cmp_ne_u32_e32 vcc, s39, v27
	v_mov_b32_e32 v8, 0x7f800001
	s_and_saveexec_b64 s[78:79], vcc
	s_cbranch_execz .LBB4_4454
; %bb.4453:                             ;   in Loop: Header=BB4_3710 Depth=2
	v_and_b32_e32 v8, 7, v30
	v_lshrrev_b32_e32 v29, 3, v27
	v_cmp_gt_u32_e32 vcc, 8, v27
	v_ffbh_u32_e32 v27, v8
	v_min_u32_e32 v41, 32, v27
	v_subrev_u32_e32 v27, 28, v41
	v_lshlrev_b64 v[27:28], v27, v[30:31]
	v_sub_u32_e32 v28, 29, v41
	v_and_b32_e32 v27, 7, v27
	v_cndmask_b32_e32 v28, v29, v28, vcc
	v_cndmask_b32_e32 v8, v8, v27, vcc
	v_lshlrev_b32_e32 v3, 16, v3
	v_lshlrev_b32_e32 v8, 20, v8
	v_and_b32_e32 v3, 0x80000000, v3
	v_lshl_add_u32 v27, v28, 23, v58
	v_or3_b32 v8, v3, v27, v8
.LBB4_4454:                             ;   in Loop: Header=BB4_3710 Depth=2
	s_or_b64 exec, exec, s[78:79]
.LBB4_4455:                             ;   in Loop: Header=BB4_3710 Depth=2
	s_or_b64 exec, exec, s[76:77]
.LBB4_4456:                             ;   in Loop: Header=BB4_3710 Depth=2
	s_or_b64 exec, exec, s[18:19]
	v_lshrrev_b16_e32 v30, 8, v14
	v_cmp_ne_u16_e32 vcc, 0, v30
	s_and_saveexec_b64 s[18:19], vcc
	s_cbranch_execz .LBB4_4462
; %bb.4457:                             ;   in Loop: Header=BB4_3710 Depth=2
	v_cmp_ne_u16_e32 vcc, s50, v30
	v_bfrev_b32_e32 v4, 1
	s_and_saveexec_b64 s[76:77], vcc
	s_cbranch_execz .LBB4_4461
; %bb.4458:                             ;   in Loop: Header=BB4_3710 Depth=2
	v_and_b32_e32 v3, 0x7f, v30
	v_cmp_ne_u32_e32 vcc, s39, v3
	v_mov_b32_e32 v4, 0x7f800001
	s_and_saveexec_b64 s[78:79], vcc
	s_cbranch_execz .LBB4_4460
; %bb.4459:                             ;   in Loop: Header=BB4_3710 Depth=2
	v_and_b32_e32 v27, 7, v30
	v_lshrrev_b32_e32 v28, 3, v3
	v_cmp_gt_u32_e32 vcc, 8, v3
	v_ffbh_u32_e32 v3, v27
	v_min_u32_e32 v29, 32, v3
	v_subrev_u32_e32 v3, 28, v29
	v_lshlrev_b64 v[3:4], v3, v[30:31]
	v_sub_u32_e32 v4, 29, v29
	v_and_b32_e32 v3, 7, v3
	v_cndmask_b32_e32 v4, v28, v4, vcc
	v_cndmask_b32_e32 v3, v27, v3, vcc
	v_lshlrev_b32_e32 v27, 16, v14
	v_lshlrev_b32_e32 v3, 20, v3
	v_and_b32_e32 v27, 0x80000000, v27
	v_lshl_add_u32 v4, v4, 23, v58
	v_or3_b32 v4, v27, v4, v3
.LBB4_4460:                             ;   in Loop: Header=BB4_3710 Depth=2
	s_or_b64 exec, exec, s[78:79]
.LBB4_4461:                             ;   in Loop: Header=BB4_3710 Depth=2
	s_or_b64 exec, exec, s[76:77]
.LBB4_4462:                             ;   in Loop: Header=BB4_3710 Depth=2
	s_or_b64 exec, exec, s[18:19]
	v_add_f32_e32 v8, v8, v4
	v_and_b32_e32 v3, 0x7f800000, v8
	v_mov_b32_e32 v4, v35
	v_cmp_ne_u64_e32 vcc, s[46:47], v[3:4]
                                        ; implicit-def: $vgpr4
	s_and_saveexec_b64 s[18:19], vcc
	s_xor_b64 s[76:77], exec, s[18:19]
	s_cbranch_execz .LBB4_4476
; %bb.4463:                             ;   in Loop: Header=BB4_3710 Depth=2
	v_and_b32_e32 v3, 0x7fffffff, v8
	v_mov_b32_e32 v4, v35
	v_cmp_gt_u64_e32 vcc, s[56:57], v[3:4]
	v_and_b32_sdwa v3, v8, s50 dst_sel:DWORD dst_unused:UNUSED_PAD src0_sel:BYTE_3 src1_sel:DWORD
                                        ; implicit-def: $vgpr4
	s_and_saveexec_b64 s[18:19], vcc
	s_xor_b64 s[78:79], exec, s[18:19]
	s_cbranch_execz .LBB4_4473
; %bb.4464:                             ;   in Loop: Header=BB4_3710 Depth=2
	v_mov_b32_e32 v4, 0
	v_cmp_ne_u32_e32 vcc, 0, v8
	s_and_saveexec_b64 s[88:89], vcc
	s_cbranch_execz .LBB4_4472
; %bb.4465:                             ;   in Loop: Header=BB4_3710 Depth=2
	v_bfe_u32 v4, v8, 23, 8
	v_and_b32_e32 v27, 0x7fffff, v8
	v_cmp_gt_u32_e64 s[18:19], s51, v4
	v_sub_u32_e32 v8, 0x79, v4
	v_cmp_eq_u32_e32 vcc, 0, v4
	v_cndmask_b32_e64 v8, 0, v8, s[18:19]
	v_cndmask_b32_e32 v8, v8, v59, vcc
	v_add_u32_e32 v29, 20, v8
	v_or_b32_e32 v28, 0x800000, v27
	v_lshlrev_b64 v[29:30], v29, -1
	v_add_u32_e32 v41, 19, v8
	v_cndmask_b32_e32 v27, v28, v27, vcc
	v_lshlrev_b64 v[41:42], v41, 1
	v_mov_b32_e32 v28, v35
	v_bfi_b32 v30, v30, 0, 0
	v_bfi_b32 v29, v29, 0, v27
	v_cmp_eq_u64_e64 s[18:19], v[29:30], v[41:42]
	v_lshrrev_b64 v[41:42], v8, v[27:28]
	v_mov_b32_e32 v43, v42
	v_mov_b32_e32 v42, v41
	s_and_saveexec_b64 s[90:91], s[18:19]
; %bb.4466:                             ;   in Loop: Header=BB4_3710 Depth=2
	v_bfe_u32 v27, v41, 20, 1
	v_add_co_u32_e64 v27, s[18:19], v41, v27
	v_add_co_u32_e64 v42, s[18:19], -1, v27
; %bb.4467:                             ;   in Loop: Header=BB4_3710 Depth=2
	s_or_b64 exec, exec, s[90:91]
	v_add_u32_e32 v4, 0xffffff81, v4
	v_cndmask_b32_e32 v4, v4, v60, vcc
	v_lshrrev_b32_e32 v27, 23, v41
	v_add3_u32 v27, v8, v4, v27
	v_add_u32_e32 v8, 6, v27
	v_and_b32_e32 v4, 0xfffff, v42
	v_add_u32_e32 v41, v4, v41
	v_mov_b32_e32 v42, v35
	v_cmp_ne_u32_e32 vcc, 0, v8
                                        ; implicit-def: $vgpr4
	s_and_saveexec_b64 s[18:19], vcc
	s_xor_b64 s[18:19], exec, s[18:19]
; %bb.4468:                             ;   in Loop: Header=BB4_3710 Depth=2
	v_cmp_lt_u64_e32 vcc, s[58:59], v[41:42]
	v_add_u32_e32 v4, 7, v27
	v_cndmask_b32_e32 v4, v8, v4, vcc
	v_cndmask_b32_e64 v8, 0, 1, vcc
	v_lshrrev_b64 v[41:42], v8, v[41:42]
; %bb.4469:                             ;   in Loop: Header=BB4_3710 Depth=2
	s_andn2_saveexec_b64 s[18:19], s[18:19]
; %bb.4470:                             ;   in Loop: Header=BB4_3710 Depth=2
	v_bfe_u32 v4, v41, 23, 1
; %bb.4471:                             ;   in Loop: Header=BB4_3710 Depth=2
	s_or_b64 exec, exec, s[18:19]
	v_lshrrev_b64 v[27:28], 20, v[41:42]
	v_cmp_gt_i32_e32 vcc, 16, v4
	v_cndmask_b32_e32 v28, 0, v28, vcc
	v_cndmask_b32_e32 v27, 7, v27, vcc
	v_cmp_eq_u32_e32 vcc, 0, v4
	v_min_i32_e32 v4, 15, v4
	v_cmp_eq_u64_e64 s[18:19], 0, v[27:28]
	v_lshlrev_b32_e32 v4, 3, v4
	v_and_b32_e32 v4, 0xf8, v4
	v_and_or_b32 v4, v27, 7, v4
	s_and_b64 s[18:19], vcc, s[18:19]
	v_cndmask_b32_e64 v4, v4, 0, s[18:19]
	v_or_b32_e32 v4, v4, v3
.LBB4_4472:                             ;   in Loop: Header=BB4_3710 Depth=2
	s_or_b64 exec, exec, s[88:89]
                                        ; implicit-def: $vgpr3
.LBB4_4473:                             ;   in Loop: Header=BB4_3710 Depth=2
	s_andn2_saveexec_b64 s[18:19], s[78:79]
; %bb.4474:                             ;   in Loop: Header=BB4_3710 Depth=2
	v_or_b32_e32 v4, 0x7e, v3
; %bb.4475:                             ;   in Loop: Header=BB4_3710 Depth=2
	s_or_b64 exec, exec, s[18:19]
                                        ; implicit-def: $vgpr8
.LBB4_4476:                             ;   in Loop: Header=BB4_3710 Depth=2
	s_andn2_saveexec_b64 s[18:19], s[76:77]
; %bb.4477:                             ;   in Loop: Header=BB4_3710 Depth=2
	v_or_b32_sdwa v4, v8, s39 dst_sel:DWORD dst_unused:UNUSED_PAD src0_sel:BYTE_3 src1_sel:DWORD
; %bb.4478:                             ;   in Loop: Header=BB4_3710 Depth=2
	s_or_b64 exec, exec, s[18:19]
	v_lshrrev_b32_e32 v30, 16, v34
	v_cmp_ne_u16_sdwa s[76:77], v30, v35 src0_sel:BYTE_0 src1_sel:DWORD
	v_mov_b32_e32 v3, 0
	v_mov_b32_e32 v8, 0
	s_and_saveexec_b64 s[18:19], s[76:77]
	s_cbranch_execz .LBB4_4484
; %bb.4479:                             ;   in Loop: Header=BB4_3710 Depth=2
	v_cmp_ne_u16_sdwa s[78:79], v30, s50 src0_sel:BYTE_0 src1_sel:DWORD
	v_bfrev_b32_e32 v8, 1
	s_and_saveexec_b64 s[76:77], s[78:79]
	s_cbranch_execz .LBB4_4483
; %bb.4480:                             ;   in Loop: Header=BB4_3710 Depth=2
	v_bfe_u32 v27, v34, 16, 7
	v_cmp_ne_u32_e32 vcc, s39, v27
	v_mov_b32_e32 v8, 0x7f800001
	s_and_saveexec_b64 s[78:79], vcc
	s_cbranch_execz .LBB4_4482
; %bb.4481:                             ;   in Loop: Header=BB4_3710 Depth=2
	v_and_b32_e32 v8, 7, v30
	v_lshrrev_b32_e32 v29, 3, v27
	v_cmp_gt_u32_e32 vcc, 8, v27
	v_ffbh_u32_e32 v27, v8
	v_min_u32_e32 v41, 32, v27
	v_subrev_u32_e32 v27, 28, v41
	v_lshlrev_b64 v[27:28], v27, v[30:31]
	v_sub_u32_e32 v28, 29, v41
	v_and_b32_e32 v27, 7, v27
	v_cndmask_b32_e32 v28, v29, v28, vcc
	v_cndmask_b32_e32 v8, v8, v27, vcc
	v_lshlrev_b32_e32 v27, 24, v30
	v_lshlrev_b32_e32 v8, 20, v8
	v_and_b32_e32 v27, 0x80000000, v27
	v_lshl_add_u32 v28, v28, 23, v58
	v_or3_b32 v8, v27, v28, v8
.LBB4_4482:                             ;   in Loop: Header=BB4_3710 Depth=2
	s_or_b64 exec, exec, s[78:79]
.LBB4_4483:                             ;   in Loop: Header=BB4_3710 Depth=2
	s_or_b64 exec, exec, s[76:77]
.LBB4_4484:                             ;   in Loop: Header=BB4_3710 Depth=2
	s_or_b64 exec, exec, s[18:19]
	v_lshrrev_b32_e32 v30, 16, v14
	v_cmp_ne_u16_sdwa s[76:77], v30, v35 src0_sel:BYTE_0 src1_sel:DWORD
	s_and_saveexec_b64 s[18:19], s[76:77]
	s_cbranch_execz .LBB4_4490
; %bb.4485:                             ;   in Loop: Header=BB4_3710 Depth=2
	v_cmp_ne_u16_sdwa s[78:79], v30, s50 src0_sel:BYTE_0 src1_sel:DWORD
	v_bfrev_b32_e32 v3, 1
	s_and_saveexec_b64 s[76:77], s[78:79]
	s_cbranch_execz .LBB4_4489
; %bb.4486:                             ;   in Loop: Header=BB4_3710 Depth=2
	v_bfe_u32 v27, v14, 16, 7
	v_cmp_ne_u32_e32 vcc, s39, v27
	v_mov_b32_e32 v3, 0x7f800001
	s_and_saveexec_b64 s[78:79], vcc
	s_cbranch_execz .LBB4_4488
; %bb.4487:                             ;   in Loop: Header=BB4_3710 Depth=2
	v_and_b32_e32 v3, 7, v30
	v_lshrrev_b32_e32 v29, 3, v27
	v_cmp_gt_u32_e32 vcc, 8, v27
	v_ffbh_u32_e32 v27, v3
	v_min_u32_e32 v41, 32, v27
	v_subrev_u32_e32 v27, 28, v41
	v_lshlrev_b64 v[27:28], v27, v[30:31]
	v_sub_u32_e32 v28, 29, v41
	v_and_b32_e32 v27, 7, v27
	v_cndmask_b32_e32 v28, v29, v28, vcc
	v_cndmask_b32_e32 v3, v3, v27, vcc
	v_lshlrev_b32_e32 v27, 8, v14
	v_lshlrev_b32_e32 v3, 20, v3
	v_and_b32_e32 v27, 0x80000000, v27
	v_lshl_add_u32 v28, v28, 23, v58
	v_or3_b32 v3, v27, v28, v3
.LBB4_4488:                             ;   in Loop: Header=BB4_3710 Depth=2
	s_or_b64 exec, exec, s[78:79]
.LBB4_4489:                             ;   in Loop: Header=BB4_3710 Depth=2
	s_or_b64 exec, exec, s[76:77]
.LBB4_4490:                             ;   in Loop: Header=BB4_3710 Depth=2
	s_or_b64 exec, exec, s[18:19]
	v_add_f32_e32 v27, v8, v3
	v_and_b32_e32 v28, 0x7f800000, v27
	v_mov_b32_e32 v29, v35
	v_cmp_ne_u64_e32 vcc, s[46:47], v[28:29]
                                        ; implicit-def: $vgpr8
	s_and_saveexec_b64 s[18:19], vcc
	s_xor_b64 s[76:77], exec, s[18:19]
	s_cbranch_execz .LBB4_4504
; %bb.4491:                             ;   in Loop: Header=BB4_3710 Depth=2
	v_and_b32_e32 v28, 0x7fffffff, v27
	v_mov_b32_e32 v29, v35
	v_cmp_gt_u64_e32 vcc, s[56:57], v[28:29]
	v_and_b32_sdwa v3, v27, s50 dst_sel:DWORD dst_unused:UNUSED_PAD src0_sel:BYTE_3 src1_sel:DWORD
                                        ; implicit-def: $vgpr8
	s_and_saveexec_b64 s[18:19], vcc
	s_xor_b64 s[78:79], exec, s[18:19]
	s_cbranch_execz .LBB4_4501
; %bb.4492:                             ;   in Loop: Header=BB4_3710 Depth=2
	v_mov_b32_e32 v8, 0
	v_cmp_ne_u32_e32 vcc, 0, v27
	s_and_saveexec_b64 s[88:89], vcc
	s_cbranch_execz .LBB4_4500
; %bb.4493:                             ;   in Loop: Header=BB4_3710 Depth=2
	v_bfe_u32 v8, v27, 23, 8
	v_and_b32_e32 v28, 0x7fffff, v27
	v_cmp_gt_u32_e64 s[18:19], s51, v8
	v_sub_u32_e32 v27, 0x79, v8
	v_cmp_eq_u32_e32 vcc, 0, v8
	v_cndmask_b32_e64 v27, 0, v27, s[18:19]
	v_cndmask_b32_e32 v27, v27, v59, vcc
	v_add_u32_e32 v30, 20, v27
	v_or_b32_e32 v29, 0x800000, v28
	v_lshlrev_b64 v[41:42], v30, -1
	v_add_u32_e32 v30, 19, v27
	v_cndmask_b32_e32 v28, v29, v28, vcc
	v_lshlrev_b64 v[43:44], v30, 1
	v_mov_b32_e32 v29, v35
	v_bfi_b32 v42, v42, 0, 0
	v_bfi_b32 v41, v41, 0, v28
	v_cmp_eq_u64_e64 s[18:19], v[41:42], v[43:44]
	v_lshrrev_b64 v[41:42], v27, v[28:29]
	v_mov_b32_e32 v43, v42
	v_mov_b32_e32 v42, v41
	s_and_saveexec_b64 s[90:91], s[18:19]
; %bb.4494:                             ;   in Loop: Header=BB4_3710 Depth=2
	v_bfe_u32 v28, v41, 20, 1
	v_add_co_u32_e64 v28, s[18:19], v41, v28
	v_add_co_u32_e64 v42, s[18:19], -1, v28
; %bb.4495:                             ;   in Loop: Header=BB4_3710 Depth=2
	s_or_b64 exec, exec, s[90:91]
	v_add_u32_e32 v8, 0xffffff81, v8
	v_cndmask_b32_e32 v8, v8, v60, vcc
	v_lshrrev_b32_e32 v28, 23, v41
	v_add3_u32 v28, v27, v8, v28
	v_add_u32_e32 v27, 6, v28
	v_and_b32_e32 v8, 0xfffff, v42
	v_add_u32_e32 v41, v8, v41
	v_mov_b32_e32 v42, v35
	v_cmp_ne_u32_e32 vcc, 0, v27
                                        ; implicit-def: $vgpr8
	s_and_saveexec_b64 s[18:19], vcc
	s_xor_b64 s[18:19], exec, s[18:19]
; %bb.4496:                             ;   in Loop: Header=BB4_3710 Depth=2
	v_cmp_lt_u64_e32 vcc, s[58:59], v[41:42]
	v_add_u32_e32 v8, 7, v28
	v_cndmask_b32_e32 v8, v27, v8, vcc
	v_cndmask_b32_e64 v27, 0, 1, vcc
	v_lshrrev_b64 v[41:42], v27, v[41:42]
; %bb.4497:                             ;   in Loop: Header=BB4_3710 Depth=2
	s_andn2_saveexec_b64 s[18:19], s[18:19]
; %bb.4498:                             ;   in Loop: Header=BB4_3710 Depth=2
	v_bfe_u32 v8, v41, 23, 1
; %bb.4499:                             ;   in Loop: Header=BB4_3710 Depth=2
	s_or_b64 exec, exec, s[18:19]
	v_lshrrev_b64 v[27:28], 20, v[41:42]
	v_cmp_gt_i32_e32 vcc, 16, v8
	v_cndmask_b32_e32 v28, 0, v28, vcc
	v_cndmask_b32_e32 v27, 7, v27, vcc
	v_cmp_eq_u32_e32 vcc, 0, v8
	v_min_i32_e32 v8, 15, v8
	v_cmp_eq_u64_e64 s[18:19], 0, v[27:28]
	v_lshlrev_b32_e32 v8, 3, v8
	v_and_b32_e32 v8, 0xf8, v8
	v_and_or_b32 v8, v27, 7, v8
	s_and_b64 s[18:19], vcc, s[18:19]
	v_cndmask_b32_e64 v8, v8, 0, s[18:19]
	v_or_b32_e32 v8, v8, v3
.LBB4_4500:                             ;   in Loop: Header=BB4_3710 Depth=2
	s_or_b64 exec, exec, s[88:89]
                                        ; implicit-def: $vgpr3
.LBB4_4501:                             ;   in Loop: Header=BB4_3710 Depth=2
	s_andn2_saveexec_b64 s[18:19], s[78:79]
; %bb.4502:                             ;   in Loop: Header=BB4_3710 Depth=2
	v_or_b32_e32 v8, 0x7e, v3
; %bb.4503:                             ;   in Loop: Header=BB4_3710 Depth=2
	s_or_b64 exec, exec, s[18:19]
                                        ; implicit-def: $vgpr27
.LBB4_4504:                             ;   in Loop: Header=BB4_3710 Depth=2
	s_andn2_saveexec_b64 s[18:19], s[76:77]
; %bb.4505:                             ;   in Loop: Header=BB4_3710 Depth=2
	v_or_b32_sdwa v8, v27, s39 dst_sel:DWORD dst_unused:UNUSED_PAD src0_sel:BYTE_3 src1_sel:DWORD
; %bb.4506:                             ;   in Loop: Header=BB4_3710 Depth=2
	s_or_b64 exec, exec, s[18:19]
	v_cmp_lt_u32_e32 vcc, s61, v34
	v_mov_b32_e32 v3, 0
	v_mov_b32_e32 v27, 0
	s_and_saveexec_b64 s[18:19], vcc
	s_cbranch_execz .LBB4_4512
; %bb.4507:                             ;   in Loop: Header=BB4_3710 Depth=2
	v_lshrrev_b32_e32 v30, 24, v34
	v_cmp_ne_u32_sdwa s[78:79], v34, s50 src0_sel:BYTE_3 src1_sel:DWORD
	v_bfrev_b32_e32 v27, 1
	s_and_saveexec_b64 s[76:77], s[78:79]
	s_cbranch_execz .LBB4_4511
; %bb.4508:                             ;   in Loop: Header=BB4_3710 Depth=2
	v_bfe_u32 v28, v34, 24, 7
	v_cmp_ne_u32_e32 vcc, s39, v28
	v_mov_b32_e32 v27, 0x7f800001
	s_and_saveexec_b64 s[78:79], vcc
	s_cbranch_execz .LBB4_4510
; %bb.4509:                             ;   in Loop: Header=BB4_3710 Depth=2
	v_and_b32_e32 v29, 7, v30
	v_ffbh_u32_e32 v27, v29
	v_min_u32_e32 v42, 32, v27
	v_subrev_u32_e32 v27, 28, v42
	v_lshrrev_b32_e32 v41, 3, v28
	v_cmp_gt_u32_e32 vcc, 8, v28
	v_lshlrev_b64 v[27:28], v27, v[30:31]
	v_sub_u32_e32 v28, 29, v42
	v_and_b32_e32 v27, 7, v27
	v_cndmask_b32_e32 v27, v29, v27, vcc
	v_mov_b32_e32 v29, 24
	v_cndmask_b32_e32 v28, v41, v28, vcc
	v_lshlrev_b32_sdwa v29, v29, v34 dst_sel:DWORD dst_unused:UNUSED_PAD src0_sel:DWORD src1_sel:BYTE_3
	v_lshlrev_b32_e32 v27, 20, v27
	v_and_b32_e32 v29, 0x80000000, v29
	v_lshl_add_u32 v28, v28, 23, v58
	v_or3_b32 v27, v29, v28, v27
.LBB4_4510:                             ;   in Loop: Header=BB4_3710 Depth=2
	s_or_b64 exec, exec, s[78:79]
.LBB4_4511:                             ;   in Loop: Header=BB4_3710 Depth=2
	s_or_b64 exec, exec, s[76:77]
.LBB4_4512:                             ;   in Loop: Header=BB4_3710 Depth=2
	s_or_b64 exec, exec, s[18:19]
	v_cmp_lt_u32_e32 vcc, s61, v14
	s_and_saveexec_b64 s[18:19], vcc
	s_cbranch_execz .LBB4_4518
; %bb.4513:                             ;   in Loop: Header=BB4_3710 Depth=2
	v_lshrrev_b32_e32 v30, 24, v14
	v_cmp_ne_u32_e32 vcc, s50, v30
	v_bfrev_b32_e32 v3, 1
	s_and_saveexec_b64 s[76:77], vcc
	s_cbranch_execz .LBB4_4517
; %bb.4514:                             ;   in Loop: Header=BB4_3710 Depth=2
	v_bfe_u32 v28, v14, 24, 7
	v_cmp_ne_u32_e32 vcc, s39, v28
	v_mov_b32_e32 v3, 0x7f800001
	s_and_saveexec_b64 s[78:79], vcc
	s_cbranch_execz .LBB4_4516
; %bb.4515:                             ;   in Loop: Header=BB4_3710 Depth=2
	v_and_b32_e32 v3, 7, v30
	v_lshrrev_b32_e32 v34, 3, v28
	v_cmp_gt_u32_e32 vcc, 8, v28
	v_ffbh_u32_e32 v28, v3
	v_min_u32_e32 v41, 32, v28
	v_subrev_u32_e32 v28, 28, v41
	v_lshlrev_b64 v[28:29], v28, v[30:31]
	v_sub_u32_e32 v29, 29, v41
	v_and_b32_e32 v28, 7, v28
	v_cndmask_b32_e32 v29, v34, v29, vcc
	v_cndmask_b32_e32 v3, v3, v28, vcc
	v_lshlrev_b32_e32 v28, 24, v30
	v_lshlrev_b32_e32 v3, 20, v3
	v_and_b32_e32 v28, 0x80000000, v28
	v_lshl_add_u32 v29, v29, 23, v58
	v_or3_b32 v3, v28, v29, v3
.LBB4_4516:                             ;   in Loop: Header=BB4_3710 Depth=2
	s_or_b64 exec, exec, s[78:79]
.LBB4_4517:                             ;   in Loop: Header=BB4_3710 Depth=2
	s_or_b64 exec, exec, s[76:77]
.LBB4_4518:                             ;   in Loop: Header=BB4_3710 Depth=2
	s_or_b64 exec, exec, s[18:19]
	v_add_f32_e32 v28, v27, v3
	v_and_b32_e32 v34, 0x7f800000, v28
	v_cmp_ne_u64_e32 vcc, s[46:47], v[34:35]
                                        ; implicit-def: $vgpr27
	s_and_saveexec_b64 s[18:19], vcc
	s_xor_b64 s[76:77], exec, s[18:19]
	s_cbranch_execz .LBB4_4532
; %bb.4519:                             ;   in Loop: Header=BB4_3710 Depth=2
	v_and_b32_e32 v34, 0x7fffffff, v28
	v_cmp_gt_u64_e32 vcc, s[56:57], v[34:35]
	v_and_b32_sdwa v3, v28, s50 dst_sel:DWORD dst_unused:UNUSED_PAD src0_sel:BYTE_3 src1_sel:DWORD
                                        ; implicit-def: $vgpr27
	s_and_saveexec_b64 s[18:19], vcc
	s_xor_b64 s[78:79], exec, s[18:19]
	s_cbranch_execz .LBB4_4529
; %bb.4520:                             ;   in Loop: Header=BB4_3710 Depth=2
	v_mov_b32_e32 v27, 0
	v_cmp_ne_u32_e32 vcc, 0, v28
	s_and_saveexec_b64 s[88:89], vcc
	s_cbranch_execz .LBB4_4528
; %bb.4521:                             ;   in Loop: Header=BB4_3710 Depth=2
	v_bfe_u32 v27, v28, 23, 8
	v_and_b32_e32 v29, 0x7fffff, v28
	v_cmp_gt_u32_e64 s[18:19], s51, v27
	v_sub_u32_e32 v28, 0x79, v27
	v_cmp_eq_u32_e32 vcc, 0, v27
	v_cndmask_b32_e64 v28, 0, v28, s[18:19]
	v_or_b32_e32 v30, 0x800000, v29
	v_cndmask_b32_e32 v28, v28, v59, vcc
	v_cndmask_b32_e32 v34, v30, v29, vcc
	v_add_u32_e32 v29, 20, v28
	v_lshlrev_b64 v[29:30], v29, -1
	v_add_u32_e32 v41, 19, v28
	v_lshlrev_b64 v[41:42], v41, 1
	v_bfi_b32 v30, v30, 0, 0
	v_bfi_b32 v29, v29, 0, v34
	v_cmp_eq_u64_e64 s[18:19], v[29:30], v[41:42]
	v_lshrrev_b64 v[41:42], v28, v[34:35]
	v_mov_b32_e32 v43, v42
	v_mov_b32_e32 v42, v41
	s_and_saveexec_b64 s[90:91], s[18:19]
; %bb.4522:                             ;   in Loop: Header=BB4_3710 Depth=2
	v_bfe_u32 v29, v41, 20, 1
	v_add_co_u32_e64 v29, s[18:19], v41, v29
	v_add_co_u32_e64 v42, s[18:19], -1, v29
; %bb.4523:                             ;   in Loop: Header=BB4_3710 Depth=2
	s_or_b64 exec, exec, s[90:91]
	v_add_u32_e32 v27, 0xffffff81, v27
	v_cndmask_b32_e32 v27, v27, v60, vcc
	v_lshrrev_b32_e32 v29, 23, v41
	v_add3_u32 v29, v28, v27, v29
	v_add_u32_e32 v28, 6, v29
	v_and_b32_e32 v27, 0xfffff, v42
	v_add_u32_e32 v34, v27, v41
	v_cmp_ne_u32_e32 vcc, 0, v28
                                        ; implicit-def: $vgpr41_vgpr42
                                        ; implicit-def: $vgpr27
	s_and_saveexec_b64 s[18:19], vcc
	s_xor_b64 s[18:19], exec, s[18:19]
; %bb.4524:                             ;   in Loop: Header=BB4_3710 Depth=2
	v_cmp_lt_u64_e32 vcc, s[58:59], v[34:35]
	v_add_u32_e32 v27, 7, v29
	v_cndmask_b32_e32 v27, v28, v27, vcc
	v_cndmask_b32_e64 v28, 0, 1, vcc
	v_lshrrev_b64 v[41:42], v28, v[34:35]
; %bb.4525:                             ;   in Loop: Header=BB4_3710 Depth=2
	s_andn2_saveexec_b64 s[18:19], s[18:19]
; %bb.4526:                             ;   in Loop: Header=BB4_3710 Depth=2
	v_mov_b32_e32 v42, v35
	v_bfe_u32 v27, v34, 23, 1
	v_mov_b32_e32 v41, v34
; %bb.4527:                             ;   in Loop: Header=BB4_3710 Depth=2
	s_or_b64 exec, exec, s[18:19]
	v_lshrrev_b64 v[28:29], 20, v[41:42]
	v_cmp_gt_i32_e32 vcc, 16, v27
	v_cndmask_b32_e32 v29, 0, v29, vcc
	v_cndmask_b32_e32 v28, 7, v28, vcc
	v_cmp_eq_u32_e32 vcc, 0, v27
	v_min_i32_e32 v27, 15, v27
	v_cmp_eq_u64_e64 s[18:19], 0, v[28:29]
	v_lshlrev_b32_e32 v27, 3, v27
	v_and_b32_e32 v27, 0xf8, v27
	v_and_or_b32 v27, v28, 7, v27
	s_and_b64 s[18:19], vcc, s[18:19]
	v_cndmask_b32_e64 v27, v27, 0, s[18:19]
	v_or_b32_e32 v27, v27, v3
.LBB4_4528:                             ;   in Loop: Header=BB4_3710 Depth=2
	s_or_b64 exec, exec, s[88:89]
                                        ; implicit-def: $vgpr3
.LBB4_4529:                             ;   in Loop: Header=BB4_3710 Depth=2
	s_andn2_saveexec_b64 s[18:19], s[78:79]
; %bb.4530:                             ;   in Loop: Header=BB4_3710 Depth=2
	v_or_b32_e32 v27, 0x7e, v3
; %bb.4531:                             ;   in Loop: Header=BB4_3710 Depth=2
	s_or_b64 exec, exec, s[18:19]
                                        ; implicit-def: $vgpr28
.LBB4_4532:                             ;   in Loop: Header=BB4_3710 Depth=2
	s_andn2_saveexec_b64 s[18:19], s[76:77]
; %bb.4533:                             ;   in Loop: Header=BB4_3710 Depth=2
	v_or_b32_sdwa v27, v28, s39 dst_sel:DWORD dst_unused:UNUSED_PAD src0_sel:BYTE_3 src1_sel:DWORD
; %bb.4534:                             ;   in Loop: Header=BB4_3710 Depth=2
	s_or_b64 exec, exec, s[18:19]
	v_lshl_or_b32 v3, v31, 8, v61
	v_lshlrev_b32_e32 v28, 16, v46
	v_lshlrev_b32_e32 v23, 24, v23
	v_or3_b32 v34, v28, v23, v3
	v_cmp_ne_u32_e32 vcc, 0, v61
	v_mov_b32_e32 v28, 0
	v_mov_b32_e32 v23, 0
	s_and_saveexec_b64 s[18:19], vcc
	s_cbranch_execz .LBB4_4540
; %bb.4535:                             ;   in Loop: Header=BB4_3710 Depth=2
	v_cmp_ne_u32_e32 vcc, s50, v61
	v_bfrev_b32_e32 v23, 1
	s_and_saveexec_b64 s[76:77], vcc
	s_cbranch_execz .LBB4_4539
; %bb.4536:                             ;   in Loop: Header=BB4_3710 Depth=2
	v_and_b32_e32 v29, 0x7f, v61
	v_cmp_ne_u32_e32 vcc, s39, v29
	v_mov_b32_e32 v23, 0x7f800001
	s_and_saveexec_b64 s[78:79], vcc
	s_cbranch_execz .LBB4_4538
; %bb.4537:                             ;   in Loop: Header=BB4_3710 Depth=2
	v_and_b32_e32 v23, 7, v61
	v_ffbh_u32_e32 v23, v23
	v_min_u32_e32 v23, 32, v23
	v_lshrrev_b32_e32 v30, 3, v29
	v_cmp_gt_u32_e32 vcc, 8, v29
	v_subrev_u32_e32 v29, 28, v23
	v_sub_u32_e32 v23, 29, v23
	v_cndmask_b32_e32 v29, 0, v29, vcc
	v_cndmask_b32_e32 v23, v30, v23, vcc
	v_lshlrev_b64 v[29:30], v29, v[34:35]
	v_lshlrev_b32_e32 v30, 24, v34
	v_lshlrev_b32_e32 v29, 20, v29
	v_and_b32_e32 v29, 0x700000, v29
	v_and_b32_e32 v30, 0x80000000, v30
	v_lshl_add_u32 v23, v23, 23, v58
	v_or3_b32 v23, v30, v23, v29
.LBB4_4538:                             ;   in Loop: Header=BB4_3710 Depth=2
	s_or_b64 exec, exec, s[78:79]
.LBB4_4539:                             ;   in Loop: Header=BB4_3710 Depth=2
	s_or_b64 exec, exec, s[76:77]
.LBB4_4540:                             ;   in Loop: Header=BB4_3710 Depth=2
	s_or_b64 exec, exec, s[18:19]
	v_cmp_ne_u16_sdwa s[76:77], v15, v35 src0_sel:BYTE_0 src1_sel:DWORD
	s_and_saveexec_b64 s[18:19], s[76:77]
	s_cbranch_execz .LBB4_4546
; %bb.4541:                             ;   in Loop: Header=BB4_3710 Depth=2
	v_cmp_ne_u16_sdwa s[78:79], v15, s50 src0_sel:BYTE_0 src1_sel:DWORD
	v_bfrev_b32_e32 v28, 1
	s_and_saveexec_b64 s[76:77], s[78:79]
	s_cbranch_execz .LBB4_4545
; %bb.4542:                             ;   in Loop: Header=BB4_3710 Depth=2
	v_and_b32_e32 v29, 0x7f, v15
	v_cmp_ne_u32_e32 vcc, s39, v29
	v_mov_b32_e32 v28, 0x7f800001
	s_and_saveexec_b64 s[78:79], vcc
	s_cbranch_execz .LBB4_4544
; %bb.4543:                             ;   in Loop: Header=BB4_3710 Depth=2
	v_and_b32_e32 v28, 7, v15
	v_ffbh_u32_e32 v28, v28
	v_min_u32_e32 v28, 32, v28
	v_lshrrev_b32_e32 v41, 3, v29
	v_cmp_gt_u32_e32 vcc, 8, v29
	v_subrev_u32_e32 v29, 28, v28
	v_sub_u32_e32 v28, 29, v28
	v_mov_b32_e32 v30, v15
	v_mov_b32_e32 v31, v35
	v_cndmask_b32_e32 v41, v41, v28, vcc
	v_cndmask_b32_e32 v28, 0, v29, vcc
	v_lshlrev_b64 v[28:29], v28, v[30:31]
	v_lshlrev_b32_e32 v29, 24, v30
	v_lshlrev_b32_e32 v28, 20, v28
	v_and_b32_e32 v28, 0x700000, v28
	v_and_b32_e32 v29, 0x80000000, v29
	v_lshl_add_u32 v30, v41, 23, v58
	v_or3_b32 v28, v29, v30, v28
.LBB4_4544:                             ;   in Loop: Header=BB4_3710 Depth=2
	s_or_b64 exec, exec, s[78:79]
.LBB4_4545:                             ;   in Loop: Header=BB4_3710 Depth=2
	s_or_b64 exec, exec, s[76:77]
.LBB4_4546:                             ;   in Loop: Header=BB4_3710 Depth=2
	s_or_b64 exec, exec, s[18:19]
	v_add_f32_e32 v28, v23, v28
	v_and_b32_e32 v29, 0x7f800000, v28
	v_mov_b32_e32 v30, v35
	v_cmp_ne_u64_e32 vcc, s[46:47], v[29:30]
                                        ; implicit-def: $vgpr61
	s_and_saveexec_b64 s[18:19], vcc
	s_xor_b64 s[76:77], exec, s[18:19]
	s_cbranch_execz .LBB4_4560
; %bb.4547:                             ;   in Loop: Header=BB4_3710 Depth=2
	v_and_b32_e32 v29, 0x7fffffff, v28
	v_mov_b32_e32 v30, v35
	v_cmp_gt_u64_e32 vcc, s[56:57], v[29:30]
	v_and_b32_sdwa v23, v28, s50 dst_sel:DWORD dst_unused:UNUSED_PAD src0_sel:BYTE_3 src1_sel:DWORD
                                        ; implicit-def: $vgpr61
	s_and_saveexec_b64 s[18:19], vcc
	s_xor_b64 s[78:79], exec, s[18:19]
	s_cbranch_execz .LBB4_4557
; %bb.4548:                             ;   in Loop: Header=BB4_3710 Depth=2
	v_mov_b32_e32 v61, 0
	v_cmp_ne_u32_e32 vcc, 0, v28
	s_and_saveexec_b64 s[88:89], vcc
	s_cbranch_execz .LBB4_4556
; %bb.4549:                             ;   in Loop: Header=BB4_3710 Depth=2
	v_and_b32_e32 v30, 0x7fffff, v28
	v_bfe_u32 v28, v28, 23, 8
	v_cmp_gt_u32_e64 s[18:19], s51, v28
	v_sub_u32_e32 v29, 0x79, v28
	v_cmp_eq_u32_e32 vcc, 0, v28
	v_cndmask_b32_e64 v29, 0, v29, s[18:19]
	v_cndmask_b32_e32 v29, v29, v59, vcc
	v_add_u32_e32 v41, 20, v29
	v_or_b32_e32 v31, 0x800000, v30
	v_lshlrev_b64 v[41:42], v41, -1
	v_add_u32_e32 v43, 19, v29
	v_cndmask_b32_e32 v30, v31, v30, vcc
	v_lshlrev_b64 v[43:44], v43, 1
	v_mov_b32_e32 v31, v35
	v_bfi_b32 v42, v42, 0, 0
	v_bfi_b32 v41, v41, 0, v30
	v_cmp_eq_u64_e64 s[18:19], v[41:42], v[43:44]
	v_lshrrev_b64 v[41:42], v29, v[30:31]
	v_mov_b32_e32 v43, v42
	v_mov_b32_e32 v42, v41
	s_and_saveexec_b64 s[90:91], s[18:19]
; %bb.4550:                             ;   in Loop: Header=BB4_3710 Depth=2
	v_bfe_u32 v30, v41, 20, 1
	v_add_co_u32_e64 v30, s[18:19], v41, v30
	v_add_co_u32_e64 v42, s[18:19], -1, v30
; %bb.4551:                             ;   in Loop: Header=BB4_3710 Depth=2
	s_or_b64 exec, exec, s[90:91]
	v_add_u32_e32 v28, 0xffffff81, v28
	v_cndmask_b32_e32 v28, v28, v60, vcc
	v_lshrrev_b32_e32 v30, 23, v41
	v_add3_u32 v30, v29, v28, v30
	v_add_u32_e32 v29, 6, v30
	v_and_b32_e32 v28, 0xfffff, v42
	v_add_u32_e32 v41, v28, v41
	v_mov_b32_e32 v42, v35
	v_cmp_ne_u32_e32 vcc, 0, v29
                                        ; implicit-def: $vgpr28
	s_and_saveexec_b64 s[18:19], vcc
	s_xor_b64 s[18:19], exec, s[18:19]
; %bb.4552:                             ;   in Loop: Header=BB4_3710 Depth=2
	v_cmp_lt_u64_e32 vcc, s[58:59], v[41:42]
	v_add_u32_e32 v28, 7, v30
	v_cndmask_b32_e32 v28, v29, v28, vcc
	v_cndmask_b32_e64 v29, 0, 1, vcc
	v_lshrrev_b64 v[41:42], v29, v[41:42]
; %bb.4553:                             ;   in Loop: Header=BB4_3710 Depth=2
	s_andn2_saveexec_b64 s[18:19], s[18:19]
; %bb.4554:                             ;   in Loop: Header=BB4_3710 Depth=2
	v_bfe_u32 v28, v41, 23, 1
; %bb.4555:                             ;   in Loop: Header=BB4_3710 Depth=2
	s_or_b64 exec, exec, s[18:19]
	v_lshrrev_b64 v[29:30], 20, v[41:42]
	v_cmp_gt_i32_e32 vcc, 16, v28
	v_cndmask_b32_e32 v30, 0, v30, vcc
	v_cndmask_b32_e32 v29, 7, v29, vcc
	v_cmp_eq_u32_e32 vcc, 0, v28
	v_min_i32_e32 v28, 15, v28
	v_cmp_eq_u64_e64 s[18:19], 0, v[29:30]
	v_lshlrev_b32_e32 v28, 3, v28
	v_and_b32_e32 v28, 0xf8, v28
	v_and_or_b32 v28, v29, 7, v28
	s_and_b64 s[18:19], vcc, s[18:19]
	v_cndmask_b32_e64 v28, v28, 0, s[18:19]
	v_or_b32_e32 v61, v28, v23
.LBB4_4556:                             ;   in Loop: Header=BB4_3710 Depth=2
	s_or_b64 exec, exec, s[88:89]
                                        ; implicit-def: $vgpr23
.LBB4_4557:                             ;   in Loop: Header=BB4_3710 Depth=2
	s_andn2_saveexec_b64 s[18:19], s[78:79]
; %bb.4558:                             ;   in Loop: Header=BB4_3710 Depth=2
	v_or_b32_e32 v61, 0x7e, v23
; %bb.4559:                             ;   in Loop: Header=BB4_3710 Depth=2
	s_or_b64 exec, exec, s[18:19]
                                        ; implicit-def: $vgpr28
.LBB4_4560:                             ;   in Loop: Header=BB4_3710 Depth=2
	s_andn2_saveexec_b64 s[18:19], s[76:77]
; %bb.4561:                             ;   in Loop: Header=BB4_3710 Depth=2
	v_or_b32_sdwa v61, v28, s39 dst_sel:DWORD dst_unused:UNUSED_PAD src0_sel:BYTE_3 src1_sel:DWORD
; %bb.4562:                             ;   in Loop: Header=BB4_3710 Depth=2
	s_or_b64 exec, exec, s[18:19]
	v_lshrrev_b16_e32 v30, 8, v3
	v_cmp_ne_u16_e32 vcc, 0, v30
	v_mov_b32_e32 v23, 0
	v_mov_b32_e32 v28, 0
	s_and_saveexec_b64 s[18:19], vcc
	s_cbranch_execz .LBB4_4568
; %bb.4563:                             ;   in Loop: Header=BB4_3710 Depth=2
	v_cmp_ne_u16_e32 vcc, s50, v30
	v_bfrev_b32_e32 v28, 1
	s_and_saveexec_b64 s[76:77], vcc
	s_cbranch_execz .LBB4_4567
; %bb.4564:                             ;   in Loop: Header=BB4_3710 Depth=2
	v_and_b32_e32 v29, 0x7f, v30
	v_cmp_ne_u32_e32 vcc, s39, v29
	v_mov_b32_e32 v28, 0x7f800001
	s_and_saveexec_b64 s[78:79], vcc
	s_cbranch_execz .LBB4_4566
; %bb.4565:                             ;   in Loop: Header=BB4_3710 Depth=2
	v_and_b32_e32 v31, 7, v30
	v_ffbh_u32_e32 v28, v31
	v_min_u32_e32 v42, 32, v28
	v_subrev_u32_e32 v28, 28, v42
	v_lshrrev_b32_e32 v41, 3, v29
	v_cmp_gt_u32_e32 vcc, 8, v29
	v_lshlrev_b64 v[28:29], v28, v[30:31]
	v_sub_u32_e32 v29, 29, v42
	v_and_b32_e32 v28, 7, v28
	v_cndmask_b32_e32 v29, v41, v29, vcc
	v_cndmask_b32_e32 v28, v31, v28, vcc
	v_lshlrev_b32_e32 v3, 16, v3
	v_lshlrev_b32_e32 v28, 20, v28
	v_and_b32_e32 v3, 0x80000000, v3
	v_lshl_add_u32 v29, v29, 23, v58
	v_or3_b32 v28, v3, v29, v28
.LBB4_4566:                             ;   in Loop: Header=BB4_3710 Depth=2
	s_or_b64 exec, exec, s[78:79]
.LBB4_4567:                             ;   in Loop: Header=BB4_3710 Depth=2
	s_or_b64 exec, exec, s[76:77]
.LBB4_4568:                             ;   in Loop: Header=BB4_3710 Depth=2
	s_or_b64 exec, exec, s[18:19]
	v_lshrrev_b16_e32 v30, 8, v15
	v_cmp_ne_u16_e32 vcc, 0, v30
	s_and_saveexec_b64 s[18:19], vcc
	s_cbranch_execz .LBB4_4574
; %bb.4569:                             ;   in Loop: Header=BB4_3710 Depth=2
	v_cmp_ne_u16_e32 vcc, s50, v30
	v_bfrev_b32_e32 v23, 1
	s_and_saveexec_b64 s[76:77], vcc
	s_cbranch_execz .LBB4_4573
; %bb.4570:                             ;   in Loop: Header=BB4_3710 Depth=2
	v_and_b32_e32 v3, 0x7f, v30
	v_cmp_ne_u32_e32 vcc, s39, v3
	v_mov_b32_e32 v23, 0x7f800001
	s_and_saveexec_b64 s[78:79], vcc
	s_cbranch_execz .LBB4_4572
; %bb.4571:                             ;   in Loop: Header=BB4_3710 Depth=2
	v_and_b32_e32 v23, 7, v30
	v_lshrrev_b32_e32 v31, 3, v3
	v_cmp_gt_u32_e32 vcc, 8, v3
	v_ffbh_u32_e32 v3, v23
	v_min_u32_e32 v3, 32, v3
	v_subrev_u32_e32 v29, 28, v3
	v_lshlrev_b64 v[29:30], v29, v[30:31]
	v_sub_u32_e32 v3, 29, v3
	v_and_b32_e32 v29, 7, v29
	v_cndmask_b32_e32 v3, v31, v3, vcc
	v_cndmask_b32_e32 v23, v23, v29, vcc
	v_lshlrev_b32_e32 v29, 16, v15
	v_lshlrev_b32_e32 v23, 20, v23
	v_and_b32_e32 v29, 0x80000000, v29
	v_lshl_add_u32 v3, v3, 23, v58
	v_or3_b32 v23, v29, v3, v23
.LBB4_4572:                             ;   in Loop: Header=BB4_3710 Depth=2
	s_or_b64 exec, exec, s[78:79]
.LBB4_4573:                             ;   in Loop: Header=BB4_3710 Depth=2
	s_or_b64 exec, exec, s[76:77]
.LBB4_4574:                             ;   in Loop: Header=BB4_3710 Depth=2
	s_or_b64 exec, exec, s[18:19]
	v_add_f32_e32 v28, v28, v23
	v_and_b32_e32 v29, 0x7f800000, v28
	v_mov_b32_e32 v30, v35
	v_cmp_ne_u64_e32 vcc, s[46:47], v[29:30]
                                        ; implicit-def: $vgpr3
	s_and_saveexec_b64 s[18:19], vcc
	s_xor_b64 s[76:77], exec, s[18:19]
	s_cbranch_execz .LBB4_4588
; %bb.4575:                             ;   in Loop: Header=BB4_3710 Depth=2
	v_and_b32_e32 v29, 0x7fffffff, v28
	v_mov_b32_e32 v30, v35
	v_cmp_gt_u64_e32 vcc, s[56:57], v[29:30]
	v_and_b32_sdwa v23, v28, s50 dst_sel:DWORD dst_unused:UNUSED_PAD src0_sel:BYTE_3 src1_sel:DWORD
                                        ; implicit-def: $vgpr3
	s_and_saveexec_b64 s[18:19], vcc
	s_xor_b64 s[78:79], exec, s[18:19]
	s_cbranch_execz .LBB4_4585
; %bb.4576:                             ;   in Loop: Header=BB4_3710 Depth=2
	v_mov_b32_e32 v3, 0
	v_cmp_ne_u32_e32 vcc, 0, v28
	s_and_saveexec_b64 s[88:89], vcc
	s_cbranch_execz .LBB4_4584
; %bb.4577:                             ;   in Loop: Header=BB4_3710 Depth=2
	v_bfe_u32 v3, v28, 23, 8
	v_and_b32_e32 v29, 0x7fffff, v28
	v_cmp_gt_u32_e64 s[18:19], s51, v3
	v_sub_u32_e32 v28, 0x79, v3
	v_cmp_eq_u32_e32 vcc, 0, v3
	v_cndmask_b32_e64 v28, 0, v28, s[18:19]
	v_cndmask_b32_e32 v28, v28, v59, vcc
	v_add_u32_e32 v31, 20, v28
	v_or_b32_e32 v30, 0x800000, v29
	v_lshlrev_b64 v[41:42], v31, -1
	v_add_u32_e32 v31, 19, v28
	v_cndmask_b32_e32 v29, v30, v29, vcc
	v_lshlrev_b64 v[43:44], v31, 1
	v_mov_b32_e32 v30, v35
	v_bfi_b32 v42, v42, 0, 0
	v_bfi_b32 v41, v41, 0, v29
	v_cmp_eq_u64_e64 s[18:19], v[41:42], v[43:44]
	v_lshrrev_b64 v[41:42], v28, v[29:30]
	v_mov_b32_e32 v43, v42
	v_mov_b32_e32 v42, v41
	s_and_saveexec_b64 s[90:91], s[18:19]
; %bb.4578:                             ;   in Loop: Header=BB4_3710 Depth=2
	v_bfe_u32 v29, v41, 20, 1
	v_add_co_u32_e64 v29, s[18:19], v41, v29
	v_add_co_u32_e64 v42, s[18:19], -1, v29
; %bb.4579:                             ;   in Loop: Header=BB4_3710 Depth=2
	s_or_b64 exec, exec, s[90:91]
	v_add_u32_e32 v3, 0xffffff81, v3
	v_cndmask_b32_e32 v3, v3, v60, vcc
	v_lshrrev_b32_e32 v29, 23, v41
	v_add3_u32 v29, v28, v3, v29
	v_add_u32_e32 v28, 6, v29
	v_and_b32_e32 v3, 0xfffff, v42
	v_add_u32_e32 v41, v3, v41
	v_mov_b32_e32 v42, v35
	v_cmp_ne_u32_e32 vcc, 0, v28
                                        ; implicit-def: $vgpr3
	s_and_saveexec_b64 s[18:19], vcc
	s_xor_b64 s[18:19], exec, s[18:19]
; %bb.4580:                             ;   in Loop: Header=BB4_3710 Depth=2
	v_cmp_lt_u64_e32 vcc, s[58:59], v[41:42]
	v_add_u32_e32 v3, 7, v29
	v_cndmask_b32_e32 v3, v28, v3, vcc
	v_cndmask_b32_e64 v28, 0, 1, vcc
	v_lshrrev_b64 v[41:42], v28, v[41:42]
; %bb.4581:                             ;   in Loop: Header=BB4_3710 Depth=2
	s_andn2_saveexec_b64 s[18:19], s[18:19]
; %bb.4582:                             ;   in Loop: Header=BB4_3710 Depth=2
	v_bfe_u32 v3, v41, 23, 1
; %bb.4583:                             ;   in Loop: Header=BB4_3710 Depth=2
	s_or_b64 exec, exec, s[18:19]
	v_lshrrev_b64 v[28:29], 20, v[41:42]
	v_cmp_gt_i32_e32 vcc, 16, v3
	v_cndmask_b32_e32 v29, 0, v29, vcc
	v_cndmask_b32_e32 v28, 7, v28, vcc
	v_cmp_eq_u32_e32 vcc, 0, v3
	v_min_i32_e32 v3, 15, v3
	v_cmp_eq_u64_e64 s[18:19], 0, v[28:29]
	v_lshlrev_b32_e32 v3, 3, v3
	v_and_b32_e32 v3, 0xf8, v3
	v_and_or_b32 v3, v28, 7, v3
	s_and_b64 s[18:19], vcc, s[18:19]
	v_cndmask_b32_e64 v3, v3, 0, s[18:19]
	v_or_b32_e32 v3, v3, v23
.LBB4_4584:                             ;   in Loop: Header=BB4_3710 Depth=2
	s_or_b64 exec, exec, s[88:89]
                                        ; implicit-def: $vgpr23
.LBB4_4585:                             ;   in Loop: Header=BB4_3710 Depth=2
	s_andn2_saveexec_b64 s[18:19], s[78:79]
; %bb.4586:                             ;   in Loop: Header=BB4_3710 Depth=2
	v_or_b32_e32 v3, 0x7e, v23
; %bb.4587:                             ;   in Loop: Header=BB4_3710 Depth=2
	s_or_b64 exec, exec, s[18:19]
                                        ; implicit-def: $vgpr28
.LBB4_4588:                             ;   in Loop: Header=BB4_3710 Depth=2
	s_andn2_saveexec_b64 s[18:19], s[76:77]
; %bb.4589:                             ;   in Loop: Header=BB4_3710 Depth=2
	v_or_b32_sdwa v3, v28, s39 dst_sel:DWORD dst_unused:UNUSED_PAD src0_sel:BYTE_3 src1_sel:DWORD
; %bb.4590:                             ;   in Loop: Header=BB4_3710 Depth=2
	s_or_b64 exec, exec, s[18:19]
	v_lshrrev_b32_e32 v30, 16, v34
	v_cmp_ne_u16_sdwa s[76:77], v30, v35 src0_sel:BYTE_0 src1_sel:DWORD
	v_mov_b32_e32 v23, 0
	v_mov_b32_e32 v28, 0
	s_and_saveexec_b64 s[18:19], s[76:77]
	s_cbranch_execz .LBB4_4596
; %bb.4591:                             ;   in Loop: Header=BB4_3710 Depth=2
	v_cmp_ne_u16_sdwa s[78:79], v30, s50 src0_sel:BYTE_0 src1_sel:DWORD
	v_bfrev_b32_e32 v28, 1
	s_and_saveexec_b64 s[76:77], s[78:79]
	s_cbranch_execz .LBB4_4595
; %bb.4592:                             ;   in Loop: Header=BB4_3710 Depth=2
	v_bfe_u32 v29, v34, 16, 7
	v_cmp_ne_u32_e32 vcc, s39, v29
	v_mov_b32_e32 v28, 0x7f800001
	s_and_saveexec_b64 s[78:79], vcc
	s_cbranch_execz .LBB4_4594
; %bb.4593:                             ;   in Loop: Header=BB4_3710 Depth=2
	v_and_b32_e32 v31, 7, v30
	v_ffbh_u32_e32 v28, v31
	v_min_u32_e32 v42, 32, v28
	v_subrev_u32_e32 v28, 28, v42
	v_lshrrev_b32_e32 v41, 3, v29
	v_cmp_gt_u32_e32 vcc, 8, v29
	v_lshlrev_b64 v[28:29], v28, v[30:31]
	v_sub_u32_e32 v29, 29, v42
	v_and_b32_e32 v28, 7, v28
	v_cndmask_b32_e32 v29, v41, v29, vcc
	v_cndmask_b32_e32 v28, v31, v28, vcc
	v_lshlrev_b32_e32 v30, 24, v30
	v_lshlrev_b32_e32 v28, 20, v28
	v_and_b32_e32 v30, 0x80000000, v30
	v_lshl_add_u32 v29, v29, 23, v58
	v_or3_b32 v28, v30, v29, v28
.LBB4_4594:                             ;   in Loop: Header=BB4_3710 Depth=2
	s_or_b64 exec, exec, s[78:79]
.LBB4_4595:                             ;   in Loop: Header=BB4_3710 Depth=2
	s_or_b64 exec, exec, s[76:77]
.LBB4_4596:                             ;   in Loop: Header=BB4_3710 Depth=2
	s_or_b64 exec, exec, s[18:19]
	v_lshrrev_b32_e32 v30, 16, v15
	v_cmp_ne_u16_sdwa s[76:77], v30, v35 src0_sel:BYTE_0 src1_sel:DWORD
	s_and_saveexec_b64 s[18:19], s[76:77]
	s_cbranch_execz .LBB4_4602
; %bb.4597:                             ;   in Loop: Header=BB4_3710 Depth=2
	v_cmp_ne_u16_sdwa s[78:79], v30, s50 src0_sel:BYTE_0 src1_sel:DWORD
	v_bfrev_b32_e32 v23, 1
	s_and_saveexec_b64 s[76:77], s[78:79]
	s_cbranch_execz .LBB4_4601
; %bb.4598:                             ;   in Loop: Header=BB4_3710 Depth=2
	v_bfe_u32 v29, v15, 16, 7
	v_cmp_ne_u32_e32 vcc, s39, v29
	v_mov_b32_e32 v23, 0x7f800001
	s_and_saveexec_b64 s[78:79], vcc
	s_cbranch_execz .LBB4_4600
; %bb.4599:                             ;   in Loop: Header=BB4_3710 Depth=2
	v_and_b32_e32 v23, 7, v30
	v_lshrrev_b32_e32 v31, 3, v29
	v_cmp_gt_u32_e32 vcc, 8, v29
	v_ffbh_u32_e32 v29, v23
	v_min_u32_e32 v41, 32, v29
	v_subrev_u32_e32 v29, 28, v41
	v_lshlrev_b64 v[29:30], v29, v[30:31]
	v_sub_u32_e32 v30, 29, v41
	v_and_b32_e32 v29, 7, v29
	v_cndmask_b32_e32 v30, v31, v30, vcc
	v_cndmask_b32_e32 v23, v23, v29, vcc
	v_lshlrev_b32_e32 v29, 8, v15
	v_lshlrev_b32_e32 v23, 20, v23
	v_and_b32_e32 v29, 0x80000000, v29
	v_lshl_add_u32 v30, v30, 23, v58
	v_or3_b32 v23, v29, v30, v23
.LBB4_4600:                             ;   in Loop: Header=BB4_3710 Depth=2
	s_or_b64 exec, exec, s[78:79]
.LBB4_4601:                             ;   in Loop: Header=BB4_3710 Depth=2
	s_or_b64 exec, exec, s[76:77]
.LBB4_4602:                             ;   in Loop: Header=BB4_3710 Depth=2
	s_or_b64 exec, exec, s[18:19]
	v_add_f32_e32 v28, v28, v23
	v_and_b32_e32 v29, 0x7f800000, v28
	v_mov_b32_e32 v30, v35
	v_cmp_ne_u64_e32 vcc, s[46:47], v[29:30]
                                        ; implicit-def: $vgpr31
	s_and_saveexec_b64 s[18:19], vcc
	s_xor_b64 s[76:77], exec, s[18:19]
	s_cbranch_execz .LBB4_4616
; %bb.4603:                             ;   in Loop: Header=BB4_3710 Depth=2
	v_and_b32_e32 v29, 0x7fffffff, v28
	v_mov_b32_e32 v30, v35
	v_cmp_gt_u64_e32 vcc, s[56:57], v[29:30]
	v_and_b32_sdwa v23, v28, s50 dst_sel:DWORD dst_unused:UNUSED_PAD src0_sel:BYTE_3 src1_sel:DWORD
                                        ; implicit-def: $vgpr31
	s_and_saveexec_b64 s[18:19], vcc
	s_xor_b64 s[78:79], exec, s[18:19]
	s_cbranch_execz .LBB4_4613
; %bb.4604:                             ;   in Loop: Header=BB4_3710 Depth=2
	v_mov_b32_e32 v31, 0
	v_cmp_ne_u32_e32 vcc, 0, v28
	s_and_saveexec_b64 s[88:89], vcc
	s_cbranch_execz .LBB4_4612
; %bb.4605:                             ;   in Loop: Header=BB4_3710 Depth=2
	v_and_b32_e32 v30, 0x7fffff, v28
	v_bfe_u32 v28, v28, 23, 8
	v_cmp_gt_u32_e64 s[18:19], s51, v28
	v_sub_u32_e32 v29, 0x79, v28
	v_cmp_eq_u32_e32 vcc, 0, v28
	v_cndmask_b32_e64 v29, 0, v29, s[18:19]
	v_cndmask_b32_e32 v29, v29, v59, vcc
	v_add_u32_e32 v41, 20, v29
	v_or_b32_e32 v31, 0x800000, v30
	v_lshlrev_b64 v[41:42], v41, -1
	v_add_u32_e32 v43, 19, v29
	v_cndmask_b32_e32 v30, v31, v30, vcc
	v_lshlrev_b64 v[43:44], v43, 1
	v_mov_b32_e32 v31, v35
	v_bfi_b32 v42, v42, 0, 0
	v_bfi_b32 v41, v41, 0, v30
	v_cmp_eq_u64_e64 s[18:19], v[41:42], v[43:44]
	v_lshrrev_b64 v[41:42], v29, v[30:31]
	v_mov_b32_e32 v43, v42
	v_mov_b32_e32 v42, v41
	s_and_saveexec_b64 s[90:91], s[18:19]
; %bb.4606:                             ;   in Loop: Header=BB4_3710 Depth=2
	v_bfe_u32 v30, v41, 20, 1
	v_add_co_u32_e64 v30, s[18:19], v41, v30
	v_add_co_u32_e64 v42, s[18:19], -1, v30
; %bb.4607:                             ;   in Loop: Header=BB4_3710 Depth=2
	s_or_b64 exec, exec, s[90:91]
	v_add_u32_e32 v28, 0xffffff81, v28
	v_cndmask_b32_e32 v28, v28, v60, vcc
	v_lshrrev_b32_e32 v30, 23, v41
	v_add3_u32 v30, v29, v28, v30
	v_add_u32_e32 v29, 6, v30
	v_and_b32_e32 v28, 0xfffff, v42
	v_add_u32_e32 v41, v28, v41
	v_mov_b32_e32 v42, v35
	v_cmp_ne_u32_e32 vcc, 0, v29
                                        ; implicit-def: $vgpr28
	s_and_saveexec_b64 s[18:19], vcc
	s_xor_b64 s[18:19], exec, s[18:19]
; %bb.4608:                             ;   in Loop: Header=BB4_3710 Depth=2
	v_cmp_lt_u64_e32 vcc, s[58:59], v[41:42]
	v_add_u32_e32 v28, 7, v30
	v_cndmask_b32_e32 v28, v29, v28, vcc
	v_cndmask_b32_e64 v29, 0, 1, vcc
	v_lshrrev_b64 v[41:42], v29, v[41:42]
; %bb.4609:                             ;   in Loop: Header=BB4_3710 Depth=2
	s_andn2_saveexec_b64 s[18:19], s[18:19]
; %bb.4610:                             ;   in Loop: Header=BB4_3710 Depth=2
	v_bfe_u32 v28, v41, 23, 1
; %bb.4611:                             ;   in Loop: Header=BB4_3710 Depth=2
	s_or_b64 exec, exec, s[18:19]
	v_lshrrev_b64 v[29:30], 20, v[41:42]
	v_cmp_gt_i32_e32 vcc, 16, v28
	v_cndmask_b32_e32 v30, 0, v30, vcc
	v_cndmask_b32_e32 v29, 7, v29, vcc
	v_cmp_eq_u32_e32 vcc, 0, v28
	v_min_i32_e32 v28, 15, v28
	v_cmp_eq_u64_e64 s[18:19], 0, v[29:30]
	v_lshlrev_b32_e32 v28, 3, v28
	v_and_b32_e32 v28, 0xf8, v28
	v_and_or_b32 v28, v29, 7, v28
	s_and_b64 s[18:19], vcc, s[18:19]
	v_cndmask_b32_e64 v28, v28, 0, s[18:19]
	v_or_b32_e32 v31, v28, v23
.LBB4_4612:                             ;   in Loop: Header=BB4_3710 Depth=2
	s_or_b64 exec, exec, s[88:89]
                                        ; implicit-def: $vgpr23
.LBB4_4613:                             ;   in Loop: Header=BB4_3710 Depth=2
	s_andn2_saveexec_b64 s[18:19], s[78:79]
; %bb.4614:                             ;   in Loop: Header=BB4_3710 Depth=2
	v_or_b32_e32 v31, 0x7e, v23
; %bb.4615:                             ;   in Loop: Header=BB4_3710 Depth=2
	s_or_b64 exec, exec, s[18:19]
                                        ; implicit-def: $vgpr28
.LBB4_4616:                             ;   in Loop: Header=BB4_3710 Depth=2
	s_andn2_saveexec_b64 s[18:19], s[76:77]
; %bb.4617:                             ;   in Loop: Header=BB4_3710 Depth=2
	v_or_b32_sdwa v31, v28, s39 dst_sel:DWORD dst_unused:UNUSED_PAD src0_sel:BYTE_3 src1_sel:DWORD
; %bb.4618:                             ;   in Loop: Header=BB4_3710 Depth=2
	s_or_b64 exec, exec, s[18:19]
	v_cmp_lt_u32_e32 vcc, s61, v34
	v_mov_b32_e32 v23, 0
	v_mov_b32_e32 v28, 0
	s_and_saveexec_b64 s[18:19], vcc
	s_cbranch_execz .LBB4_4624
; %bb.4619:                             ;   in Loop: Header=BB4_3710 Depth=2
	v_lshrrev_b32_e32 v30, 24, v34
	v_cmp_ne_u32_sdwa s[78:79], v34, s50 src0_sel:BYTE_3 src1_sel:DWORD
	v_bfrev_b32_e32 v28, 1
	s_and_saveexec_b64 s[76:77], s[78:79]
	s_cbranch_execz .LBB4_4623
; %bb.4620:                             ;   in Loop: Header=BB4_3710 Depth=2
	v_bfe_u32 v29, v34, 24, 7
	v_cmp_ne_u32_e32 vcc, s39, v29
	v_mov_b32_e32 v28, 0x7f800001
	s_and_saveexec_b64 s[78:79], vcc
	s_cbranch_execz .LBB4_4622
; %bb.4621:                             ;   in Loop: Header=BB4_3710 Depth=2
	v_and_b32_e32 v41, 7, v30
	v_ffbh_u32_e32 v28, v41
	v_min_u32_e32 v43, 32, v28
	v_subrev_u32_e32 v28, 28, v43
	v_lshrrev_b32_e32 v42, 3, v29
	v_cmp_gt_u32_e32 vcc, 8, v29
	v_lshlrev_b64 v[28:29], v28, v[30:31]
	v_sub_u32_e32 v29, 29, v43
	v_and_b32_e32 v28, 7, v28
	v_mov_b32_e32 v30, 24
	v_cndmask_b32_e32 v29, v42, v29, vcc
	v_cndmask_b32_e32 v28, v41, v28, vcc
	v_lshlrev_b32_sdwa v30, v30, v34 dst_sel:DWORD dst_unused:UNUSED_PAD src0_sel:DWORD src1_sel:BYTE_3
	v_lshlrev_b32_e32 v28, 20, v28
	v_and_b32_e32 v30, 0x80000000, v30
	v_lshl_add_u32 v29, v29, 23, v58
	v_or3_b32 v28, v30, v29, v28
.LBB4_4622:                             ;   in Loop: Header=BB4_3710 Depth=2
	s_or_b64 exec, exec, s[78:79]
.LBB4_4623:                             ;   in Loop: Header=BB4_3710 Depth=2
	s_or_b64 exec, exec, s[76:77]
.LBB4_4624:                             ;   in Loop: Header=BB4_3710 Depth=2
	s_or_b64 exec, exec, s[18:19]
	v_cmp_lt_u64_e32 vcc, s[60:61], v[14:15]
	s_and_saveexec_b64 s[18:19], vcc
	s_cbranch_execz .LBB4_4630
; %bb.4625:                             ;   in Loop: Header=BB4_3710 Depth=2
	v_lshrrev_b32_e32 v14, 24, v15
	v_cmp_ne_u32_e32 vcc, s50, v14
	v_bfrev_b32_e32 v23, 1
	s_and_saveexec_b64 s[76:77], vcc
	s_cbranch_execz .LBB4_4629
; %bb.4626:                             ;   in Loop: Header=BB4_3710 Depth=2
	v_bfe_u32 v15, v15, 24, 7
	v_cmp_ne_u32_e32 vcc, s39, v15
	v_mov_b32_e32 v23, 0x7f800001
	s_and_saveexec_b64 s[78:79], vcc
	s_cbranch_execz .LBB4_4628
; %bb.4627:                             ;   in Loop: Header=BB4_3710 Depth=2
	v_and_b32_e32 v23, 7, v14
	v_lshrrev_b32_e32 v34, 3, v15
	v_cmp_gt_u32_e32 vcc, 8, v15
	v_ffbh_u32_e32 v15, v23
	v_min_u32_e32 v15, 32, v15
	v_subrev_u32_e32 v29, 28, v15
	v_lshlrev_b64 v[29:30], v29, v[14:15]
	v_sub_u32_e32 v15, 29, v15
	v_and_b32_e32 v29, 7, v29
	v_cndmask_b32_e32 v15, v34, v15, vcc
	v_cndmask_b32_e32 v23, v23, v29, vcc
	v_lshlrev_b32_e32 v14, 24, v14
	v_lshlrev_b32_e32 v23, 20, v23
	v_and_b32_e32 v14, 0x80000000, v14
	v_lshl_add_u32 v15, v15, 23, v58
	v_or3_b32 v23, v14, v15, v23
.LBB4_4628:                             ;   in Loop: Header=BB4_3710 Depth=2
	s_or_b64 exec, exec, s[78:79]
.LBB4_4629:                             ;   in Loop: Header=BB4_3710 Depth=2
	s_or_b64 exec, exec, s[76:77]
.LBB4_4630:                             ;   in Loop: Header=BB4_3710 Depth=2
	s_or_b64 exec, exec, s[18:19]
	v_add_f32_e32 v14, v28, v23
	v_and_b32_e32 v34, 0x7f800000, v14
	v_cmp_ne_u64_e32 vcc, s[46:47], v[34:35]
                                        ; implicit-def: $vgpr23
	s_and_saveexec_b64 s[18:19], vcc
	s_xor_b64 s[76:77], exec, s[18:19]
	s_cbranch_execz .LBB4_4644
; %bb.4631:                             ;   in Loop: Header=BB4_3710 Depth=2
	v_and_b32_e32 v34, 0x7fffffff, v14
	v_cmp_gt_u64_e32 vcc, s[56:57], v[34:35]
	v_and_b32_sdwa v28, v14, s50 dst_sel:DWORD dst_unused:UNUSED_PAD src0_sel:BYTE_3 src1_sel:DWORD
                                        ; implicit-def: $vgpr23
	s_and_saveexec_b64 s[18:19], vcc
	s_xor_b64 s[78:79], exec, s[18:19]
	s_cbranch_execz .LBB4_4641
; %bb.4632:                             ;   in Loop: Header=BB4_3710 Depth=2
	v_mov_b32_e32 v23, 0
	v_cmp_ne_u32_e32 vcc, 0, v14
	s_and_saveexec_b64 s[88:89], vcc
	s_cbranch_execz .LBB4_4640
; %bb.4633:                             ;   in Loop: Header=BB4_3710 Depth=2
	v_bfe_u32 v23, v14, 23, 8
	v_and_b32_e32 v15, 0x7fffff, v14
	v_cmp_gt_u32_e64 s[18:19], s51, v23
	v_sub_u32_e32 v14, 0x79, v23
	v_cmp_eq_u32_e32 vcc, 0, v23
	v_cndmask_b32_e64 v14, 0, v14, s[18:19]
	v_cndmask_b32_e32 v29, v14, v59, vcc
	v_or_b32_e32 v30, 0x800000, v15
	v_add_u32_e32 v14, 20, v29
	v_cndmask_b32_e32 v34, v30, v15, vcc
	v_lshlrev_b64 v[14:15], v14, -1
	v_add_u32_e32 v30, 19, v29
	v_lshlrev_b64 v[41:42], v30, 1
	v_bfi_b32 v15, v15, 0, 0
	v_bfi_b32 v14, v14, 0, v34
	v_cmp_eq_u64_e64 s[18:19], v[14:15], v[41:42]
	v_lshrrev_b64 v[14:15], v29, v[34:35]
	v_mov_b32_e32 v42, v15
	v_mov_b32_e32 v41, v14
	s_and_saveexec_b64 s[90:91], s[18:19]
; %bb.4634:                             ;   in Loop: Header=BB4_3710 Depth=2
	v_bfe_u32 v15, v14, 20, 1
	v_add_co_u32_e64 v15, s[18:19], v14, v15
	v_add_co_u32_e64 v41, s[18:19], -1, v15
; %bb.4635:                             ;   in Loop: Header=BB4_3710 Depth=2
	s_or_b64 exec, exec, s[90:91]
	v_add_u32_e32 v15, 0xffffff81, v23
	v_cndmask_b32_e32 v15, v15, v60, vcc
	v_lshrrev_b32_e32 v23, 23, v14
	v_add3_u32 v30, v29, v15, v23
	v_add_u32_e32 v29, 6, v30
	v_and_b32_e32 v15, 0xfffff, v41
	v_add_u32_e32 v34, v15, v14
	v_cmp_ne_u32_e32 vcc, 0, v29
                                        ; implicit-def: $vgpr14_vgpr15
                                        ; implicit-def: $vgpr23
	s_and_saveexec_b64 s[18:19], vcc
	s_xor_b64 s[18:19], exec, s[18:19]
; %bb.4636:                             ;   in Loop: Header=BB4_3710 Depth=2
	v_cmp_lt_u64_e32 vcc, s[58:59], v[34:35]
	v_add_u32_e32 v14, 7, v30
	v_cndmask_b32_e32 v23, v29, v14, vcc
	v_cndmask_b32_e64 v14, 0, 1, vcc
	v_lshrrev_b64 v[14:15], v14, v[34:35]
; %bb.4637:                             ;   in Loop: Header=BB4_3710 Depth=2
	s_andn2_saveexec_b64 s[18:19], s[18:19]
; %bb.4638:                             ;   in Loop: Header=BB4_3710 Depth=2
	v_mov_b32_e32 v14, v34
	v_bfe_u32 v23, v34, 23, 1
	v_mov_b32_e32 v15, v35
; %bb.4639:                             ;   in Loop: Header=BB4_3710 Depth=2
	s_or_b64 exec, exec, s[18:19]
	v_lshrrev_b64 v[14:15], 20, v[14:15]
	v_cmp_gt_i32_e32 vcc, 16, v23
	v_cndmask_b32_e32 v15, 0, v15, vcc
	v_cndmask_b32_e32 v14, 7, v14, vcc
	v_cmp_eq_u64_e64 s[18:19], 0, v[14:15]
	v_min_i32_e32 v15, 15, v23
	v_lshlrev_b32_e32 v15, 3, v15
	v_cmp_eq_u32_e32 vcc, 0, v23
	v_and_b32_e32 v15, 0xf8, v15
	v_and_or_b32 v14, v14, 7, v15
	s_and_b64 s[18:19], vcc, s[18:19]
	v_cndmask_b32_e64 v14, v14, 0, s[18:19]
	v_or_b32_e32 v23, v14, v28
.LBB4_4640:                             ;   in Loop: Header=BB4_3710 Depth=2
	s_or_b64 exec, exec, s[88:89]
                                        ; implicit-def: $vgpr28
.LBB4_4641:                             ;   in Loop: Header=BB4_3710 Depth=2
	s_andn2_saveexec_b64 s[18:19], s[78:79]
; %bb.4642:                             ;   in Loop: Header=BB4_3710 Depth=2
	v_or_b32_e32 v23, 0x7e, v28
; %bb.4643:                             ;   in Loop: Header=BB4_3710 Depth=2
	s_or_b64 exec, exec, s[18:19]
                                        ; implicit-def: $vgpr14
.LBB4_4644:                             ;   in Loop: Header=BB4_3710 Depth=2
	s_andn2_saveexec_b64 s[18:19], s[76:77]
; %bb.4645:                             ;   in Loop: Header=BB4_3710 Depth=2
	v_or_b32_sdwa v23, v14, s39 dst_sel:DWORD dst_unused:UNUSED_PAD src0_sel:BYTE_3 src1_sel:DWORD
; %bb.4646:                             ;   in Loop: Header=BB4_3710 Depth=2
	s_or_b64 exec, exec, s[18:19]
	v_lshl_or_b32 v28, v45, 8, v20
	v_lshlrev_b32_e32 v2, 16, v2
	v_lshlrev_b32_e32 v14, 24, v22
	v_or3_b32 v34, v2, v14, v28
	v_cmp_ne_u32_e32 vcc, 0, v20
	v_mov_b32_e32 v2, 0
	v_mov_b32_e32 v14, 0
	s_and_saveexec_b64 s[18:19], vcc
	s_cbranch_execz .LBB4_4652
; %bb.4647:                             ;   in Loop: Header=BB4_3710 Depth=2
	v_cmp_ne_u32_e32 vcc, s50, v20
	v_bfrev_b32_e32 v14, 1
	s_and_saveexec_b64 s[76:77], vcc
	s_cbranch_execz .LBB4_4651
; %bb.4648:                             ;   in Loop: Header=BB4_3710 Depth=2
	v_and_b32_e32 v15, 0x7f, v20
	v_cmp_ne_u32_e32 vcc, s39, v15
	v_mov_b32_e32 v14, 0x7f800001
	s_and_saveexec_b64 s[78:79], vcc
	s_cbranch_execz .LBB4_4650
; %bb.4649:                             ;   in Loop: Header=BB4_3710 Depth=2
	v_and_b32_e32 v14, 7, v20
	v_ffbh_u32_e32 v14, v14
	v_min_u32_e32 v14, 32, v14
	v_lshrrev_b32_e32 v20, 3, v15
	v_cmp_gt_u32_e32 vcc, 8, v15
	v_subrev_u32_e32 v15, 28, v14
	v_sub_u32_e32 v14, 29, v14
	v_cndmask_b32_e32 v20, v20, v14, vcc
	v_cndmask_b32_e32 v14, 0, v15, vcc
	v_lshlrev_b64 v[14:15], v14, v[34:35]
	v_lshlrev_b32_e32 v15, 24, v34
	v_lshlrev_b32_e32 v14, 20, v14
	v_and_b32_e32 v14, 0x700000, v14
	v_and_b32_e32 v15, 0x80000000, v15
	v_lshl_add_u32 v20, v20, 23, v58
	v_or3_b32 v14, v15, v20, v14
.LBB4_4650:                             ;   in Loop: Header=BB4_3710 Depth=2
	s_or_b64 exec, exec, s[78:79]
.LBB4_4651:                             ;   in Loop: Header=BB4_3710 Depth=2
	s_or_b64 exec, exec, s[76:77]
.LBB4_4652:                             ;   in Loop: Header=BB4_3710 Depth=2
	s_or_b64 exec, exec, s[18:19]
	v_cmp_ne_u16_sdwa s[76:77], v16, v35 src0_sel:BYTE_0 src1_sel:DWORD
	s_and_saveexec_b64 s[18:19], s[76:77]
	s_cbranch_execz .LBB4_4658
; %bb.4653:                             ;   in Loop: Header=BB4_3710 Depth=2
	v_cmp_ne_u16_sdwa s[78:79], v16, s50 src0_sel:BYTE_0 src1_sel:DWORD
	v_bfrev_b32_e32 v2, 1
	s_and_saveexec_b64 s[76:77], s[78:79]
	s_cbranch_execz .LBB4_4657
; %bb.4654:                             ;   in Loop: Header=BB4_3710 Depth=2
	v_and_b32_e32 v15, 0x7f, v16
	v_cmp_ne_u32_e32 vcc, s39, v15
	v_mov_b32_e32 v2, 0x7f800001
	s_and_saveexec_b64 s[78:79], vcc
	s_cbranch_execz .LBB4_4656
; %bb.4655:                             ;   in Loop: Header=BB4_3710 Depth=2
	v_and_b32_e32 v2, 7, v16
	v_ffbh_u32_e32 v2, v2
	v_min_u32_e32 v2, 32, v2
	v_lshrrev_b32_e32 v20, 3, v15
	v_cmp_gt_u32_e32 vcc, 8, v15
	v_subrev_u32_e32 v15, 28, v2
	v_cndmask_b32_e32 v15, 0, v15, vcc
	v_lshlrev_b64 v[29:30], v15, v[16:17]
	v_sub_u32_e32 v2, 29, v2
	v_cndmask_b32_e32 v2, v20, v2, vcc
	v_lshlrev_b32_e32 v15, 20, v29
	v_lshlrev_b32_e32 v20, 24, v16
	v_and_b32_e32 v15, 0x700000, v15
	v_and_b32_e32 v20, 0x80000000, v20
	v_lshl_add_u32 v2, v2, 23, v58
	v_or3_b32 v2, v20, v2, v15
.LBB4_4656:                             ;   in Loop: Header=BB4_3710 Depth=2
	s_or_b64 exec, exec, s[78:79]
.LBB4_4657:                             ;   in Loop: Header=BB4_3710 Depth=2
	s_or_b64 exec, exec, s[76:77]
.LBB4_4658:                             ;   in Loop: Header=BB4_3710 Depth=2
	s_or_b64 exec, exec, s[18:19]
	v_add_f32_e32 v14, v14, v2
	v_and_b32_e32 v29, 0x7f800000, v14
	v_mov_b32_e32 v30, v35
	v_cmp_ne_u64_e32 vcc, s[46:47], v[29:30]
                                        ; implicit-def: $vgpr2
	s_and_saveexec_b64 s[18:19], vcc
	s_xor_b64 s[76:77], exec, s[18:19]
	s_cbranch_execz .LBB4_4672
; %bb.4659:                             ;   in Loop: Header=BB4_3710 Depth=2
	v_and_b32_e32 v29, 0x7fffffff, v14
	v_mov_b32_e32 v30, v35
	v_cmp_gt_u64_e32 vcc, s[56:57], v[29:30]
	v_and_b32_sdwa v20, v14, s50 dst_sel:DWORD dst_unused:UNUSED_PAD src0_sel:BYTE_3 src1_sel:DWORD
                                        ; implicit-def: $vgpr2
	s_and_saveexec_b64 s[18:19], vcc
	s_xor_b64 s[78:79], exec, s[18:19]
	s_cbranch_execz .LBB4_4669
; %bb.4660:                             ;   in Loop: Header=BB4_3710 Depth=2
	v_mov_b32_e32 v2, 0
	v_cmp_ne_u32_e32 vcc, 0, v14
	s_and_saveexec_b64 s[88:89], vcc
	s_cbranch_execz .LBB4_4668
; %bb.4661:                             ;   in Loop: Header=BB4_3710 Depth=2
	v_bfe_u32 v2, v14, 23, 8
	v_and_b32_e32 v15, 0x7fffff, v14
	v_cmp_gt_u32_e64 s[18:19], s51, v2
	v_sub_u32_e32 v14, 0x79, v2
	v_cmp_eq_u32_e32 vcc, 0, v2
	v_cndmask_b32_e64 v14, 0, v14, s[18:19]
	v_or_b32_e32 v29, 0x800000, v15
	v_cndmask_b32_e32 v22, v14, v59, vcc
	v_cndmask_b32_e32 v14, v29, v15, vcc
	v_add_u32_e32 v29, 20, v22
	v_lshlrev_b64 v[29:30], v29, -1
	v_mov_b32_e32 v15, v35
	v_add_u32_e32 v41, 19, v22
	v_bfi_b32 v29, v29, 0, v14
	v_lshlrev_b64 v[41:42], v41, 1
	v_lshrrev_b64 v[14:15], v22, v[14:15]
	v_bfi_b32 v30, v30, 0, 0
	v_cmp_eq_u64_e64 s[18:19], v[29:30], v[41:42]
	v_mov_b32_e32 v42, v15
	v_mov_b32_e32 v41, v14
	s_and_saveexec_b64 s[90:91], s[18:19]
; %bb.4662:                             ;   in Loop: Header=BB4_3710 Depth=2
	v_bfe_u32 v15, v14, 20, 1
	v_add_co_u32_e64 v15, s[18:19], v14, v15
	v_add_co_u32_e64 v41, s[18:19], -1, v15
; %bb.4663:                             ;   in Loop: Header=BB4_3710 Depth=2
	s_or_b64 exec, exec, s[90:91]
	v_add_u32_e32 v2, 0xffffff81, v2
	v_cndmask_b32_e32 v2, v2, v60, vcc
	v_lshrrev_b32_e32 v15, 23, v14
	v_add3_u32 v29, v22, v2, v15
	v_add_u32_e32 v22, 6, v29
	v_and_b32_e32 v2, 0xfffff, v41
	v_add_u32_e32 v14, v2, v14
	v_mov_b32_e32 v15, v35
	v_cmp_ne_u32_e32 vcc, 0, v22
                                        ; implicit-def: $vgpr2
	s_and_saveexec_b64 s[18:19], vcc
	s_xor_b64 s[18:19], exec, s[18:19]
; %bb.4664:                             ;   in Loop: Header=BB4_3710 Depth=2
	v_cmp_lt_u64_e32 vcc, s[58:59], v[14:15]
	v_add_u32_e32 v2, 7, v29
	v_cndmask_b32_e32 v2, v22, v2, vcc
	v_cndmask_b32_e64 v22, 0, 1, vcc
	v_lshrrev_b64 v[14:15], v22, v[14:15]
; %bb.4665:                             ;   in Loop: Header=BB4_3710 Depth=2
	s_andn2_saveexec_b64 s[18:19], s[18:19]
; %bb.4666:                             ;   in Loop: Header=BB4_3710 Depth=2
	v_bfe_u32 v2, v14, 23, 1
; %bb.4667:                             ;   in Loop: Header=BB4_3710 Depth=2
	s_or_b64 exec, exec, s[18:19]
	v_lshrrev_b64 v[14:15], 20, v[14:15]
	v_cmp_gt_i32_e32 vcc, 16, v2
	v_cndmask_b32_e32 v15, 0, v15, vcc
	v_cndmask_b32_e32 v14, 7, v14, vcc
	v_cmp_eq_u32_e32 vcc, 0, v2
	v_min_i32_e32 v2, 15, v2
	v_cmp_eq_u64_e64 s[18:19], 0, v[14:15]
	v_lshlrev_b32_e32 v2, 3, v2
	v_and_b32_e32 v2, 0xf8, v2
	v_and_or_b32 v2, v14, 7, v2
	s_and_b64 s[18:19], vcc, s[18:19]
	v_cndmask_b32_e64 v2, v2, 0, s[18:19]
	v_or_b32_e32 v2, v2, v20
.LBB4_4668:                             ;   in Loop: Header=BB4_3710 Depth=2
	s_or_b64 exec, exec, s[88:89]
                                        ; implicit-def: $vgpr20
.LBB4_4669:                             ;   in Loop: Header=BB4_3710 Depth=2
	s_andn2_saveexec_b64 s[18:19], s[78:79]
; %bb.4670:                             ;   in Loop: Header=BB4_3710 Depth=2
	v_or_b32_e32 v2, 0x7e, v20
; %bb.4671:                             ;   in Loop: Header=BB4_3710 Depth=2
	s_or_b64 exec, exec, s[18:19]
                                        ; implicit-def: $vgpr14
.LBB4_4672:                             ;   in Loop: Header=BB4_3710 Depth=2
	s_andn2_saveexec_b64 s[18:19], s[76:77]
; %bb.4673:                             ;   in Loop: Header=BB4_3710 Depth=2
	v_or_b32_sdwa v2, v14, s39 dst_sel:DWORD dst_unused:UNUSED_PAD src0_sel:BYTE_3 src1_sel:DWORD
; %bb.4674:                             ;   in Loop: Header=BB4_3710 Depth=2
	s_or_b64 exec, exec, s[18:19]
	v_lshrrev_b16_e32 v14, 8, v28
	v_cmp_ne_u16_e32 vcc, 0, v14
	v_mov_b32_e32 v15, 0
	v_mov_b32_e32 v20, 0
	s_and_saveexec_b64 s[18:19], vcc
	s_cbranch_execz .LBB4_4680
; %bb.4675:                             ;   in Loop: Header=BB4_3710 Depth=2
	v_cmp_ne_u16_e32 vcc, s50, v14
	v_bfrev_b32_e32 v20, 1
	s_and_saveexec_b64 s[76:77], vcc
	s_cbranch_execz .LBB4_4679
; %bb.4676:                             ;   in Loop: Header=BB4_3710 Depth=2
	v_and_b32_e32 v22, 0x7f, v14
	v_cmp_ne_u32_e32 vcc, s39, v22
	v_mov_b32_e32 v20, 0x7f800001
	s_and_saveexec_b64 s[78:79], vcc
	s_cbranch_execz .LBB4_4678
; %bb.4677:                             ;   in Loop: Header=BB4_3710 Depth=2
	v_and_b32_e32 v20, 7, v14
	v_lshrrev_b32_e32 v41, 3, v22
	v_cmp_gt_u32_e32 vcc, 8, v22
	v_ffbh_u32_e32 v22, v20
	v_min_u32_e32 v22, 32, v22
	v_subrev_u32_e32 v29, 28, v22
	v_lshlrev_b64 v[29:30], v29, v[14:15]
	v_sub_u32_e32 v14, 29, v22
	v_and_b32_e32 v22, 7, v29
	v_cndmask_b32_e32 v14, v41, v14, vcc
	v_cndmask_b32_e32 v20, v20, v22, vcc
	v_lshlrev_b32_e32 v22, 16, v28
	v_lshlrev_b32_e32 v20, 20, v20
	v_and_b32_e32 v22, 0x80000000, v22
	v_lshl_add_u32 v14, v14, 23, v58
	v_or3_b32 v20, v22, v14, v20
.LBB4_4678:                             ;   in Loop: Header=BB4_3710 Depth=2
	s_or_b64 exec, exec, s[78:79]
.LBB4_4679:                             ;   in Loop: Header=BB4_3710 Depth=2
	s_or_b64 exec, exec, s[76:77]
.LBB4_4680:                             ;   in Loop: Header=BB4_3710 Depth=2
	s_or_b64 exec, exec, s[18:19]
	v_lshrrev_b16_e32 v14, 8, v16
	v_cmp_ne_u16_e32 vcc, 0, v14
	s_and_saveexec_b64 s[18:19], vcc
	s_cbranch_execz .LBB4_4686
; %bb.4681:                             ;   in Loop: Header=BB4_3710 Depth=2
	v_cmp_ne_u16_e32 vcc, s50, v14
	v_bfrev_b32_e32 v15, 1
	s_and_saveexec_b64 s[76:77], vcc
	s_cbranch_execz .LBB4_4685
; %bb.4682:                             ;   in Loop: Header=BB4_3710 Depth=2
	v_and_b32_e32 v22, 0x7f, v14
	v_cmp_ne_u32_e32 vcc, s39, v22
	v_mov_b32_e32 v15, 0x7f800001
	s_and_saveexec_b64 s[78:79], vcc
	s_cbranch_execz .LBB4_4684
; %bb.4683:                             ;   in Loop: Header=BB4_3710 Depth=2
	v_and_b32_e32 v28, 7, v14
	v_ffbh_u32_e32 v15, v28
	v_lshrrev_b32_e32 v29, 3, v22
	v_cmp_gt_u32_e32 vcc, 8, v22
	v_min_u32_e32 v22, 32, v15
	v_subrev_u32_e32 v15, 28, v22
	v_lshlrev_b64 v[14:15], v15, v[14:15]
	v_sub_u32_e32 v15, 29, v22
	v_and_b32_e32 v14, 7, v14
	v_cndmask_b32_e32 v15, v29, v15, vcc
	v_cndmask_b32_e32 v14, v28, v14, vcc
	v_lshlrev_b32_e32 v22, 16, v16
	v_lshlrev_b32_e32 v14, 20, v14
	v_and_b32_e32 v22, 0x80000000, v22
	v_lshl_add_u32 v15, v15, 23, v58
	v_or3_b32 v15, v22, v15, v14
.LBB4_4684:                             ;   in Loop: Header=BB4_3710 Depth=2
	s_or_b64 exec, exec, s[78:79]
.LBB4_4685:                             ;   in Loop: Header=BB4_3710 Depth=2
	s_or_b64 exec, exec, s[76:77]
.LBB4_4686:                             ;   in Loop: Header=BB4_3710 Depth=2
	s_or_b64 exec, exec, s[18:19]
	v_add_f32_e32 v14, v20, v15
	v_and_b32_e32 v28, 0x7f800000, v14
	v_mov_b32_e32 v29, v35
	v_cmp_ne_u64_e32 vcc, s[46:47], v[28:29]
                                        ; implicit-def: $vgpr20
	s_and_saveexec_b64 s[18:19], vcc
	s_xor_b64 s[76:77], exec, s[18:19]
	s_cbranch_execz .LBB4_4700
; %bb.4687:                             ;   in Loop: Header=BB4_3710 Depth=2
	v_and_b32_e32 v28, 0x7fffffff, v14
	v_mov_b32_e32 v29, v35
	v_cmp_gt_u64_e32 vcc, s[56:57], v[28:29]
	v_and_b32_sdwa v22, v14, s50 dst_sel:DWORD dst_unused:UNUSED_PAD src0_sel:BYTE_3 src1_sel:DWORD
                                        ; implicit-def: $vgpr20
	s_and_saveexec_b64 s[18:19], vcc
	s_xor_b64 s[78:79], exec, s[18:19]
	s_cbranch_execz .LBB4_4697
; %bb.4688:                             ;   in Loop: Header=BB4_3710 Depth=2
	v_mov_b32_e32 v20, 0
	v_cmp_ne_u32_e32 vcc, 0, v14
	s_and_saveexec_b64 s[88:89], vcc
	s_cbranch_execz .LBB4_4696
; %bb.4689:                             ;   in Loop: Header=BB4_3710 Depth=2
	v_bfe_u32 v20, v14, 23, 8
	v_and_b32_e32 v15, 0x7fffff, v14
	v_cmp_gt_u32_e64 s[18:19], s51, v20
	v_sub_u32_e32 v14, 0x79, v20
	v_cmp_eq_u32_e32 vcc, 0, v20
	v_cndmask_b32_e64 v14, 0, v14, s[18:19]
	v_or_b32_e32 v29, 0x800000, v15
	v_cndmask_b32_e32 v28, v14, v59, vcc
	v_cndmask_b32_e32 v14, v29, v15, vcc
	v_add_u32_e32 v29, 20, v28
	v_lshlrev_b64 v[29:30], v29, -1
	v_mov_b32_e32 v15, v35
	v_add_u32_e32 v41, 19, v28
	v_bfi_b32 v29, v29, 0, v14
	v_lshlrev_b64 v[41:42], v41, 1
	v_lshrrev_b64 v[14:15], v28, v[14:15]
	v_bfi_b32 v30, v30, 0, 0
	v_cmp_eq_u64_e64 s[18:19], v[29:30], v[41:42]
	v_mov_b32_e32 v42, v15
	v_mov_b32_e32 v41, v14
	s_and_saveexec_b64 s[90:91], s[18:19]
; %bb.4690:                             ;   in Loop: Header=BB4_3710 Depth=2
	v_bfe_u32 v15, v14, 20, 1
	v_add_co_u32_e64 v15, s[18:19], v14, v15
	v_add_co_u32_e64 v41, s[18:19], -1, v15
; %bb.4691:                             ;   in Loop: Header=BB4_3710 Depth=2
	s_or_b64 exec, exec, s[90:91]
	v_add_u32_e32 v15, 0xffffff81, v20
	v_cndmask_b32_e32 v15, v15, v60, vcc
	v_lshrrev_b32_e32 v20, 23, v14
	v_add3_u32 v29, v28, v15, v20
	v_add_u32_e32 v28, 6, v29
	v_and_b32_e32 v15, 0xfffff, v41
	v_add_u32_e32 v14, v15, v14
	v_mov_b32_e32 v15, v35
	v_cmp_ne_u32_e32 vcc, 0, v28
                                        ; implicit-def: $vgpr20
	s_and_saveexec_b64 s[18:19], vcc
	s_xor_b64 s[18:19], exec, s[18:19]
; %bb.4692:                             ;   in Loop: Header=BB4_3710 Depth=2
	v_cmp_lt_u64_e32 vcc, s[58:59], v[14:15]
	v_add_u32_e32 v20, 7, v29
	v_cndmask_b32_e32 v20, v28, v20, vcc
	v_cndmask_b32_e64 v28, 0, 1, vcc
	v_lshrrev_b64 v[14:15], v28, v[14:15]
; %bb.4693:                             ;   in Loop: Header=BB4_3710 Depth=2
	s_andn2_saveexec_b64 s[18:19], s[18:19]
; %bb.4694:                             ;   in Loop: Header=BB4_3710 Depth=2
	v_bfe_u32 v20, v14, 23, 1
; %bb.4695:                             ;   in Loop: Header=BB4_3710 Depth=2
	s_or_b64 exec, exec, s[18:19]
	v_lshrrev_b64 v[14:15], 20, v[14:15]
	v_cmp_gt_i32_e32 vcc, 16, v20
	v_cndmask_b32_e32 v15, 0, v15, vcc
	v_cndmask_b32_e32 v14, 7, v14, vcc
	v_cmp_eq_u64_e64 s[18:19], 0, v[14:15]
	v_min_i32_e32 v15, 15, v20
	v_lshlrev_b32_e32 v15, 3, v15
	v_cmp_eq_u32_e32 vcc, 0, v20
	v_and_b32_e32 v15, 0xf8, v15
	v_and_or_b32 v14, v14, 7, v15
	s_and_b64 s[18:19], vcc, s[18:19]
	v_cndmask_b32_e64 v14, v14, 0, s[18:19]
	v_or_b32_e32 v20, v14, v22
.LBB4_4696:                             ;   in Loop: Header=BB4_3710 Depth=2
	s_or_b64 exec, exec, s[88:89]
                                        ; implicit-def: $vgpr22
.LBB4_4697:                             ;   in Loop: Header=BB4_3710 Depth=2
	s_andn2_saveexec_b64 s[18:19], s[78:79]
; %bb.4698:                             ;   in Loop: Header=BB4_3710 Depth=2
	v_or_b32_e32 v20, 0x7e, v22
; %bb.4699:                             ;   in Loop: Header=BB4_3710 Depth=2
	s_or_b64 exec, exec, s[18:19]
                                        ; implicit-def: $vgpr14
.LBB4_4700:                             ;   in Loop: Header=BB4_3710 Depth=2
	s_andn2_saveexec_b64 s[18:19], s[76:77]
; %bb.4701:                             ;   in Loop: Header=BB4_3710 Depth=2
	v_or_b32_sdwa v20, v14, s39 dst_sel:DWORD dst_unused:UNUSED_PAD src0_sel:BYTE_3 src1_sel:DWORD
; %bb.4702:                             ;   in Loop: Header=BB4_3710 Depth=2
	s_or_b64 exec, exec, s[18:19]
	v_lshrrev_b32_e32 v14, 16, v34
	v_cmp_ne_u16_sdwa s[76:77], v14, v35 src0_sel:BYTE_0 src1_sel:DWORD
	v_mov_b32_e32 v15, 0
	v_mov_b32_e32 v22, 0
	s_and_saveexec_b64 s[18:19], s[76:77]
	s_cbranch_execz .LBB4_4708
; %bb.4703:                             ;   in Loop: Header=BB4_3710 Depth=2
	v_cmp_ne_u16_sdwa s[78:79], v14, s50 src0_sel:BYTE_0 src1_sel:DWORD
	v_bfrev_b32_e32 v22, 1
	s_and_saveexec_b64 s[76:77], s[78:79]
	s_cbranch_execz .LBB4_4707
; %bb.4704:                             ;   in Loop: Header=BB4_3710 Depth=2
	v_bfe_u32 v28, v34, 16, 7
	v_cmp_ne_u32_e32 vcc, s39, v28
	v_mov_b32_e32 v22, 0x7f800001
	s_and_saveexec_b64 s[78:79], vcc
	s_cbranch_execz .LBB4_4706
; %bb.4705:                             ;   in Loop: Header=BB4_3710 Depth=2
	v_and_b32_e32 v22, 7, v14
	v_lshrrev_b32_e32 v30, 3, v28
	v_cmp_gt_u32_e32 vcc, 8, v28
	v_ffbh_u32_e32 v28, v22
	v_min_u32_e32 v41, 32, v28
	v_subrev_u32_e32 v28, 28, v41
	v_lshlrev_b64 v[28:29], v28, v[14:15]
	v_sub_u32_e32 v29, 29, v41
	v_and_b32_e32 v28, 7, v28
	v_cndmask_b32_e32 v29, v30, v29, vcc
	v_cndmask_b32_e32 v22, v22, v28, vcc
	v_lshlrev_b32_e32 v14, 24, v14
	v_lshlrev_b32_e32 v22, 20, v22
	v_and_b32_e32 v14, 0x80000000, v14
	v_lshl_add_u32 v28, v29, 23, v58
	v_or3_b32 v22, v14, v28, v22
.LBB4_4706:                             ;   in Loop: Header=BB4_3710 Depth=2
	s_or_b64 exec, exec, s[78:79]
.LBB4_4707:                             ;   in Loop: Header=BB4_3710 Depth=2
	s_or_b64 exec, exec, s[76:77]
.LBB4_4708:                             ;   in Loop: Header=BB4_3710 Depth=2
	s_or_b64 exec, exec, s[18:19]
	v_lshrrev_b32_e32 v14, 16, v16
	v_cmp_ne_u16_sdwa s[76:77], v14, v35 src0_sel:BYTE_0 src1_sel:DWORD
	s_and_saveexec_b64 s[18:19], s[76:77]
	s_cbranch_execz .LBB4_4714
; %bb.4709:                             ;   in Loop: Header=BB4_3710 Depth=2
	v_cmp_ne_u16_sdwa s[78:79], v14, s50 src0_sel:BYTE_0 src1_sel:DWORD
	v_bfrev_b32_e32 v15, 1
	s_and_saveexec_b64 s[76:77], s[78:79]
	s_cbranch_execz .LBB4_4713
; %bb.4710:                             ;   in Loop: Header=BB4_3710 Depth=2
	v_bfe_u32 v28, v16, 16, 7
	v_cmp_ne_u32_e32 vcc, s39, v28
	v_mov_b32_e32 v15, 0x7f800001
	s_and_saveexec_b64 s[78:79], vcc
	s_cbranch_execz .LBB4_4712
; %bb.4711:                             ;   in Loop: Header=BB4_3710 Depth=2
	v_and_b32_e32 v29, 7, v14
	v_ffbh_u32_e32 v15, v29
	v_lshrrev_b32_e32 v30, 3, v28
	v_cmp_gt_u32_e32 vcc, 8, v28
	v_min_u32_e32 v28, 32, v15
	v_subrev_u32_e32 v15, 28, v28
	v_lshlrev_b64 v[14:15], v15, v[14:15]
	v_sub_u32_e32 v15, 29, v28
	v_and_b32_e32 v14, 7, v14
	v_cndmask_b32_e32 v15, v30, v15, vcc
	v_cndmask_b32_e32 v14, v29, v14, vcc
	v_lshlrev_b32_e32 v28, 8, v16
	v_lshlrev_b32_e32 v14, 20, v14
	v_and_b32_e32 v28, 0x80000000, v28
	v_lshl_add_u32 v15, v15, 23, v58
	v_or3_b32 v15, v28, v15, v14
.LBB4_4712:                             ;   in Loop: Header=BB4_3710 Depth=2
	s_or_b64 exec, exec, s[78:79]
.LBB4_4713:                             ;   in Loop: Header=BB4_3710 Depth=2
	s_or_b64 exec, exec, s[76:77]
.LBB4_4714:                             ;   in Loop: Header=BB4_3710 Depth=2
	s_or_b64 exec, exec, s[18:19]
	v_add_f32_e32 v14, v22, v15
	v_and_b32_e32 v28, 0x7f800000, v14
	v_mov_b32_e32 v29, v35
	v_cmp_ne_u64_e32 vcc, s[46:47], v[28:29]
                                        ; implicit-def: $vgpr22
	s_and_saveexec_b64 s[18:19], vcc
	s_xor_b64 s[76:77], exec, s[18:19]
	s_cbranch_execz .LBB4_4728
; %bb.4715:                             ;   in Loop: Header=BB4_3710 Depth=2
	v_and_b32_e32 v28, 0x7fffffff, v14
	v_mov_b32_e32 v29, v35
	v_cmp_gt_u64_e32 vcc, s[56:57], v[28:29]
	v_and_b32_sdwa v28, v14, s50 dst_sel:DWORD dst_unused:UNUSED_PAD src0_sel:BYTE_3 src1_sel:DWORD
                                        ; implicit-def: $vgpr22
	s_and_saveexec_b64 s[18:19], vcc
	s_xor_b64 s[78:79], exec, s[18:19]
	s_cbranch_execz .LBB4_4725
; %bb.4716:                             ;   in Loop: Header=BB4_3710 Depth=2
	v_mov_b32_e32 v22, 0
	v_cmp_ne_u32_e32 vcc, 0, v14
	s_and_saveexec_b64 s[88:89], vcc
	s_cbranch_execz .LBB4_4724
; %bb.4717:                             ;   in Loop: Header=BB4_3710 Depth=2
	v_bfe_u32 v22, v14, 23, 8
	v_and_b32_e32 v15, 0x7fffff, v14
	v_cmp_gt_u32_e64 s[18:19], s51, v22
	v_sub_u32_e32 v14, 0x79, v22
	v_cmp_eq_u32_e32 vcc, 0, v22
	v_cndmask_b32_e64 v14, 0, v14, s[18:19]
	v_or_b32_e32 v30, 0x800000, v15
	v_cndmask_b32_e32 v29, v14, v59, vcc
	v_cndmask_b32_e32 v14, v30, v15, vcc
	v_add_u32_e32 v30, 20, v29
	v_lshlrev_b64 v[41:42], v30, -1
	v_mov_b32_e32 v15, v35
	v_add_u32_e32 v30, 19, v29
	v_bfi_b32 v41, v41, 0, v14
	v_lshlrev_b64 v[43:44], v30, 1
	v_lshrrev_b64 v[14:15], v29, v[14:15]
	v_bfi_b32 v42, v42, 0, 0
	v_cmp_eq_u64_e64 s[18:19], v[41:42], v[43:44]
	v_mov_b32_e32 v42, v15
	v_mov_b32_e32 v41, v14
	s_and_saveexec_b64 s[90:91], s[18:19]
; %bb.4718:                             ;   in Loop: Header=BB4_3710 Depth=2
	v_bfe_u32 v15, v14, 20, 1
	v_add_co_u32_e64 v15, s[18:19], v14, v15
	v_add_co_u32_e64 v41, s[18:19], -1, v15
; %bb.4719:                             ;   in Loop: Header=BB4_3710 Depth=2
	s_or_b64 exec, exec, s[90:91]
	v_add_u32_e32 v15, 0xffffff81, v22
	v_cndmask_b32_e32 v15, v15, v60, vcc
	v_lshrrev_b32_e32 v22, 23, v14
	v_add3_u32 v30, v29, v15, v22
	v_add_u32_e32 v29, 6, v30
	v_and_b32_e32 v15, 0xfffff, v41
	v_add_u32_e32 v14, v15, v14
	v_mov_b32_e32 v15, v35
	v_cmp_ne_u32_e32 vcc, 0, v29
                                        ; implicit-def: $vgpr22
	s_and_saveexec_b64 s[18:19], vcc
	s_xor_b64 s[18:19], exec, s[18:19]
; %bb.4720:                             ;   in Loop: Header=BB4_3710 Depth=2
	v_cmp_lt_u64_e32 vcc, s[58:59], v[14:15]
	v_add_u32_e32 v22, 7, v30
	v_cndmask_b32_e32 v22, v29, v22, vcc
	v_cndmask_b32_e64 v29, 0, 1, vcc
	v_lshrrev_b64 v[14:15], v29, v[14:15]
; %bb.4721:                             ;   in Loop: Header=BB4_3710 Depth=2
	s_andn2_saveexec_b64 s[18:19], s[18:19]
; %bb.4722:                             ;   in Loop: Header=BB4_3710 Depth=2
	v_bfe_u32 v22, v14, 23, 1
; %bb.4723:                             ;   in Loop: Header=BB4_3710 Depth=2
	s_or_b64 exec, exec, s[18:19]
	v_lshrrev_b64 v[14:15], 20, v[14:15]
	v_cmp_gt_i32_e32 vcc, 16, v22
	v_cndmask_b32_e32 v15, 0, v15, vcc
	v_cndmask_b32_e32 v14, 7, v14, vcc
	v_cmp_eq_u64_e64 s[18:19], 0, v[14:15]
	v_min_i32_e32 v15, 15, v22
	v_lshlrev_b32_e32 v15, 3, v15
	v_cmp_eq_u32_e32 vcc, 0, v22
	v_and_b32_e32 v15, 0xf8, v15
	v_and_or_b32 v14, v14, 7, v15
	s_and_b64 s[18:19], vcc, s[18:19]
	v_cndmask_b32_e64 v14, v14, 0, s[18:19]
	v_or_b32_e32 v22, v14, v28
.LBB4_4724:                             ;   in Loop: Header=BB4_3710 Depth=2
	s_or_b64 exec, exec, s[88:89]
                                        ; implicit-def: $vgpr28
.LBB4_4725:                             ;   in Loop: Header=BB4_3710 Depth=2
	s_andn2_saveexec_b64 s[18:19], s[78:79]
; %bb.4726:                             ;   in Loop: Header=BB4_3710 Depth=2
	v_or_b32_e32 v22, 0x7e, v28
; %bb.4727:                             ;   in Loop: Header=BB4_3710 Depth=2
	s_or_b64 exec, exec, s[18:19]
                                        ; implicit-def: $vgpr14
.LBB4_4728:                             ;   in Loop: Header=BB4_3710 Depth=2
	s_andn2_saveexec_b64 s[18:19], s[76:77]
; %bb.4729:                             ;   in Loop: Header=BB4_3710 Depth=2
	v_or_b32_sdwa v22, v14, s39 dst_sel:DWORD dst_unused:UNUSED_PAD src0_sel:BYTE_3 src1_sel:DWORD
; %bb.4730:                             ;   in Loop: Header=BB4_3710 Depth=2
	s_or_b64 exec, exec, s[18:19]
	v_cmp_lt_u32_e32 vcc, s61, v34
	v_mov_b32_e32 v15, 0
	v_mov_b32_e32 v28, 0
	s_and_saveexec_b64 s[18:19], vcc
	s_cbranch_execz .LBB4_4736
; %bb.4731:                             ;   in Loop: Header=BB4_3710 Depth=2
	v_lshrrev_b32_e32 v14, 24, v34
	v_cmp_ne_u32_sdwa s[78:79], v34, s50 src0_sel:BYTE_3 src1_sel:DWORD
	v_bfrev_b32_e32 v28, 1
	s_and_saveexec_b64 s[76:77], s[78:79]
	s_cbranch_execz .LBB4_4735
; %bb.4732:                             ;   in Loop: Header=BB4_3710 Depth=2
	v_bfe_u32 v29, v34, 24, 7
	v_cmp_ne_u32_e32 vcc, s39, v29
	v_mov_b32_e32 v28, 0x7f800001
	s_and_saveexec_b64 s[78:79], vcc
	s_cbranch_execz .LBB4_4734
; %bb.4733:                             ;   in Loop: Header=BB4_3710 Depth=2
	v_and_b32_e32 v30, 7, v14
	v_ffbh_u32_e32 v28, v30
	v_min_u32_e32 v42, 32, v28
	v_subrev_u32_e32 v28, 28, v42
	v_lshrrev_b32_e32 v41, 3, v29
	v_cmp_gt_u32_e32 vcc, 8, v29
	v_lshlrev_b64 v[28:29], v28, v[14:15]
	v_sub_u32_e32 v14, 29, v42
	v_and_b32_e32 v28, 7, v28
	v_mov_b32_e32 v29, 24
	v_cndmask_b32_e32 v14, v41, v14, vcc
	v_cndmask_b32_e32 v28, v30, v28, vcc
	v_lshlrev_b32_sdwa v29, v29, v34 dst_sel:DWORD dst_unused:UNUSED_PAD src0_sel:DWORD src1_sel:BYTE_3
	v_lshlrev_b32_e32 v28, 20, v28
	v_and_b32_e32 v29, 0x80000000, v29
	v_lshl_add_u32 v14, v14, 23, v58
	v_or3_b32 v28, v29, v14, v28
.LBB4_4734:                             ;   in Loop: Header=BB4_3710 Depth=2
	s_or_b64 exec, exec, s[78:79]
.LBB4_4735:                             ;   in Loop: Header=BB4_3710 Depth=2
	s_or_b64 exec, exec, s[76:77]
.LBB4_4736:                             ;   in Loop: Header=BB4_3710 Depth=2
	s_or_b64 exec, exec, s[18:19]
	v_cmp_lt_u32_e32 vcc, s61, v16
	s_and_saveexec_b64 s[18:19], vcc
	s_cbranch_execz .LBB4_4742
; %bb.4737:                             ;   in Loop: Header=BB4_3710 Depth=2
	v_lshrrev_b32_e32 v14, 24, v16
	v_cmp_ne_u32_e32 vcc, s50, v14
	v_bfrev_b32_e32 v15, 1
	s_and_saveexec_b64 s[76:77], vcc
	s_cbranch_execz .LBB4_4741
; %bb.4738:                             ;   in Loop: Header=BB4_3710 Depth=2
	v_bfe_u32 v29, v16, 24, 7
	v_cmp_ne_u32_e32 vcc, s39, v29
	v_mov_b32_e32 v15, 0x7f800001
	s_and_saveexec_b64 s[78:79], vcc
	s_cbranch_execz .LBB4_4740
; %bb.4739:                             ;   in Loop: Header=BB4_3710 Depth=2
	v_and_b32_e32 v15, 7, v14
	v_lshrrev_b32_e32 v34, 3, v29
	v_cmp_gt_u32_e32 vcc, 8, v29
	v_ffbh_u32_e32 v29, v15
	v_min_u32_e32 v41, 32, v29
	v_subrev_u32_e32 v29, 28, v41
	v_lshlrev_b64 v[29:30], v29, v[14:15]
	v_sub_u32_e32 v30, 29, v41
	v_and_b32_e32 v29, 7, v29
	v_cndmask_b32_e32 v30, v34, v30, vcc
	v_cndmask_b32_e32 v15, v15, v29, vcc
	v_lshlrev_b32_e32 v14, 24, v14
	v_lshlrev_b32_e32 v15, 20, v15
	v_and_b32_e32 v14, 0x80000000, v14
	v_lshl_add_u32 v29, v30, 23, v58
	v_or3_b32 v15, v14, v29, v15
.LBB4_4740:                             ;   in Loop: Header=BB4_3710 Depth=2
	s_or_b64 exec, exec, s[78:79]
.LBB4_4741:                             ;   in Loop: Header=BB4_3710 Depth=2
	s_or_b64 exec, exec, s[76:77]
.LBB4_4742:                             ;   in Loop: Header=BB4_3710 Depth=2
	s_or_b64 exec, exec, s[18:19]
	v_add_f32_e32 v14, v28, v15
	v_and_b32_e32 v34, 0x7f800000, v14
	v_cmp_ne_u64_e32 vcc, s[46:47], v[34:35]
                                        ; implicit-def: $vgpr30
	s_and_saveexec_b64 s[18:19], vcc
	s_xor_b64 s[76:77], exec, s[18:19]
	s_cbranch_execz .LBB4_4756
; %bb.4743:                             ;   in Loop: Header=BB4_3710 Depth=2
	v_and_b32_e32 v34, 0x7fffffff, v14
	v_cmp_gt_u64_e32 vcc, s[56:57], v[34:35]
	v_and_b32_sdwa v28, v14, s50 dst_sel:DWORD dst_unused:UNUSED_PAD src0_sel:BYTE_3 src1_sel:DWORD
                                        ; implicit-def: $vgpr30
	s_and_saveexec_b64 s[18:19], vcc
	s_xor_b64 s[78:79], exec, s[18:19]
	s_cbranch_execz .LBB4_4753
; %bb.4744:                             ;   in Loop: Header=BB4_3710 Depth=2
	v_mov_b32_e32 v30, 0
	v_cmp_ne_u32_e32 vcc, 0, v14
	s_and_saveexec_b64 s[88:89], vcc
	s_cbranch_execz .LBB4_4752
; %bb.4745:                             ;   in Loop: Header=BB4_3710 Depth=2
	v_bfe_u32 v29, v14, 23, 8
	v_and_b32_e32 v15, 0x7fffff, v14
	v_cmp_gt_u32_e64 s[18:19], s51, v29
	v_sub_u32_e32 v14, 0x79, v29
	v_cmp_eq_u32_e32 vcc, 0, v29
	v_cndmask_b32_e64 v14, 0, v14, s[18:19]
	v_cndmask_b32_e32 v30, v14, v59, vcc
	v_or_b32_e32 v34, 0x800000, v15
	v_add_u32_e32 v14, 20, v30
	v_cndmask_b32_e32 v34, v34, v15, vcc
	v_lshlrev_b64 v[14:15], v14, -1
	v_add_u32_e32 v41, 19, v30
	v_lshlrev_b64 v[41:42], v41, 1
	v_bfi_b32 v15, v15, 0, 0
	v_bfi_b32 v14, v14, 0, v34
	v_cmp_eq_u64_e64 s[18:19], v[14:15], v[41:42]
	v_lshrrev_b64 v[14:15], v30, v[34:35]
	v_mov_b32_e32 v42, v15
	v_mov_b32_e32 v41, v14
	s_and_saveexec_b64 s[90:91], s[18:19]
; %bb.4746:                             ;   in Loop: Header=BB4_3710 Depth=2
	v_bfe_u32 v15, v14, 20, 1
	v_add_co_u32_e64 v15, s[18:19], v14, v15
	v_add_co_u32_e64 v41, s[18:19], -1, v15
; %bb.4747:                             ;   in Loop: Header=BB4_3710 Depth=2
	s_or_b64 exec, exec, s[90:91]
	v_add_u32_e32 v15, 0xffffff81, v29
	v_cndmask_b32_e32 v15, v15, v60, vcc
	v_lshrrev_b32_e32 v29, 23, v14
	v_add3_u32 v42, v30, v15, v29
	v_add_u32_e32 v30, 6, v42
	v_and_b32_e32 v15, 0xfffff, v41
	v_add_u32_e32 v34, v15, v14
	v_cmp_ne_u32_e32 vcc, 0, v30
                                        ; implicit-def: $vgpr14_vgpr15
                                        ; implicit-def: $vgpr29
	s_and_saveexec_b64 s[18:19], vcc
	s_xor_b64 s[18:19], exec, s[18:19]
; %bb.4748:                             ;   in Loop: Header=BB4_3710 Depth=2
	v_cmp_lt_u64_e32 vcc, s[58:59], v[34:35]
	v_add_u32_e32 v14, 7, v42
	v_cndmask_b32_e32 v29, v30, v14, vcc
	v_cndmask_b32_e64 v14, 0, 1, vcc
	v_lshrrev_b64 v[14:15], v14, v[34:35]
; %bb.4749:                             ;   in Loop: Header=BB4_3710 Depth=2
	s_andn2_saveexec_b64 s[18:19], s[18:19]
; %bb.4750:                             ;   in Loop: Header=BB4_3710 Depth=2
	v_mov_b32_e32 v14, v34
	v_bfe_u32 v29, v34, 23, 1
	v_mov_b32_e32 v15, v35
; %bb.4751:                             ;   in Loop: Header=BB4_3710 Depth=2
	s_or_b64 exec, exec, s[18:19]
	v_lshrrev_b64 v[14:15], 20, v[14:15]
	v_cmp_gt_i32_e32 vcc, 16, v29
	v_cndmask_b32_e32 v15, 0, v15, vcc
	v_cndmask_b32_e32 v14, 7, v14, vcc
	v_cmp_eq_u64_e64 s[18:19], 0, v[14:15]
	v_min_i32_e32 v15, 15, v29
	v_lshlrev_b32_e32 v15, 3, v15
	v_cmp_eq_u32_e32 vcc, 0, v29
	v_and_b32_e32 v15, 0xf8, v15
	v_and_or_b32 v14, v14, 7, v15
	s_and_b64 s[18:19], vcc, s[18:19]
	v_cndmask_b32_e64 v14, v14, 0, s[18:19]
	v_or_b32_e32 v30, v14, v28
.LBB4_4752:                             ;   in Loop: Header=BB4_3710 Depth=2
	s_or_b64 exec, exec, s[88:89]
                                        ; implicit-def: $vgpr28
.LBB4_4753:                             ;   in Loop: Header=BB4_3710 Depth=2
	s_andn2_saveexec_b64 s[18:19], s[78:79]
; %bb.4754:                             ;   in Loop: Header=BB4_3710 Depth=2
	v_or_b32_e32 v30, 0x7e, v28
; %bb.4755:                             ;   in Loop: Header=BB4_3710 Depth=2
	s_or_b64 exec, exec, s[18:19]
                                        ; implicit-def: $vgpr14
.LBB4_4756:                             ;   in Loop: Header=BB4_3710 Depth=2
	s_andn2_saveexec_b64 s[18:19], s[76:77]
; %bb.4757:                             ;   in Loop: Header=BB4_3710 Depth=2
	v_or_b32_sdwa v30, v14, s39 dst_sel:DWORD dst_unused:UNUSED_PAD src0_sel:BYTE_3 src1_sel:DWORD
; %bb.4758:                             ;   in Loop: Header=BB4_3710 Depth=2
	s_or_b64 exec, exec, s[18:19]
	v_lshlrev_b32_e32 v14, 24, v47
	v_lshlrev_b32_e32 v15, 16, v50
	v_lshl_or_b32 v28, v62, 8, v32
	v_or3_b32 v34, v15, v14, v28
	v_cmp_ne_u32_e32 vcc, 0, v32
	v_mov_b32_e32 v15, 0
	v_mov_b32_e32 v14, 0
	s_and_saveexec_b64 s[18:19], vcc
	s_cbranch_execz .LBB4_4764
; %bb.4759:                             ;   in Loop: Header=BB4_3710 Depth=2
	v_cmp_ne_u32_e32 vcc, s50, v32
	v_bfrev_b32_e32 v14, 1
	s_and_saveexec_b64 s[76:77], vcc
	s_cbranch_execz .LBB4_4763
; %bb.4760:                             ;   in Loop: Header=BB4_3710 Depth=2
	v_and_b32_e32 v29, 0x7f, v32
	v_cmp_ne_u32_e32 vcc, s39, v29
	v_mov_b32_e32 v14, 0x7f800001
	s_and_saveexec_b64 s[78:79], vcc
	s_cbranch_execz .LBB4_4762
; %bb.4761:                             ;   in Loop: Header=BB4_3710 Depth=2
	v_and_b32_e32 v14, 7, v32
	v_ffbh_u32_e32 v14, v14
	v_min_u32_e32 v14, 32, v14
	v_lshrrev_b32_e32 v32, 3, v29
	v_cmp_gt_u32_e32 vcc, 8, v29
	v_subrev_u32_e32 v29, 28, v14
	v_cndmask_b32_e32 v29, 0, v29, vcc
	v_lshlrev_b64 v[41:42], v29, v[34:35]
	v_sub_u32_e32 v14, 29, v14
	v_cndmask_b32_e32 v14, v32, v14, vcc
	v_lshlrev_b32_e32 v29, 20, v41
	v_lshlrev_b32_e32 v32, 24, v34
	v_and_b32_e32 v29, 0x700000, v29
	v_and_b32_e32 v32, 0x80000000, v32
	v_lshl_add_u32 v14, v14, 23, v58
	v_or3_b32 v14, v32, v14, v29
.LBB4_4762:                             ;   in Loop: Header=BB4_3710 Depth=2
	s_or_b64 exec, exec, s[78:79]
.LBB4_4763:                             ;   in Loop: Header=BB4_3710 Depth=2
	s_or_b64 exec, exec, s[76:77]
.LBB4_4764:                             ;   in Loop: Header=BB4_3710 Depth=2
	s_or_b64 exec, exec, s[18:19]
	v_cmp_ne_u16_sdwa s[76:77], v17, v35 src0_sel:BYTE_0 src1_sel:DWORD
	s_and_saveexec_b64 s[18:19], s[76:77]
	s_cbranch_execz .LBB4_4770
; %bb.4765:                             ;   in Loop: Header=BB4_3710 Depth=2
	v_cmp_ne_u16_sdwa s[78:79], v17, s50 src0_sel:BYTE_0 src1_sel:DWORD
	v_bfrev_b32_e32 v15, 1
	s_and_saveexec_b64 s[76:77], s[78:79]
	s_cbranch_execz .LBB4_4769
; %bb.4766:                             ;   in Loop: Header=BB4_3710 Depth=2
	v_and_b32_e32 v29, 0x7f, v17
	v_cmp_ne_u32_e32 vcc, s39, v29
	v_mov_b32_e32 v15, 0x7f800001
	s_and_saveexec_b64 s[78:79], vcc
	s_cbranch_execz .LBB4_4768
; %bb.4767:                             ;   in Loop: Header=BB4_3710 Depth=2
	v_and_b32_e32 v15, 7, v17
	v_ffbh_u32_e32 v15, v15
	v_min_u32_e32 v15, 32, v15
	v_lshrrev_b32_e32 v32, 3, v29
	v_cmp_gt_u32_e32 vcc, 8, v29
	v_subrev_u32_e32 v29, 28, v15
	v_mov_b32_e32 v41, v17
	v_mov_b32_e32 v42, v35
	v_cndmask_b32_e32 v29, 0, v29, vcc
	v_lshlrev_b64 v[42:43], v29, v[41:42]
	v_sub_u32_e32 v15, 29, v15
	v_cndmask_b32_e32 v15, v32, v15, vcc
	v_lshlrev_b32_e32 v29, 20, v42
	v_lshlrev_b32_e32 v32, 24, v41
	v_and_b32_e32 v29, 0x700000, v29
	v_and_b32_e32 v32, 0x80000000, v32
	v_lshl_add_u32 v15, v15, 23, v58
	v_or3_b32 v15, v32, v15, v29
.LBB4_4768:                             ;   in Loop: Header=BB4_3710 Depth=2
	s_or_b64 exec, exec, s[78:79]
.LBB4_4769:                             ;   in Loop: Header=BB4_3710 Depth=2
	s_or_b64 exec, exec, s[76:77]
.LBB4_4770:                             ;   in Loop: Header=BB4_3710 Depth=2
	s_or_b64 exec, exec, s[18:19]
	v_add_f32_e32 v14, v14, v15
	v_and_b32_e32 v41, 0x7f800000, v14
	v_mov_b32_e32 v42, v35
	v_cmp_ne_u64_e32 vcc, s[46:47], v[41:42]
                                        ; implicit-def: $vgpr32
	s_and_saveexec_b64 s[18:19], vcc
	s_xor_b64 s[76:77], exec, s[18:19]
	s_cbranch_execz .LBB4_4784
; %bb.4771:                             ;   in Loop: Header=BB4_3710 Depth=2
	v_and_b32_e32 v41, 0x7fffffff, v14
	v_mov_b32_e32 v42, v35
	v_cmp_gt_u64_e32 vcc, s[56:57], v[41:42]
	v_and_b32_sdwa v29, v14, s50 dst_sel:DWORD dst_unused:UNUSED_PAD src0_sel:BYTE_3 src1_sel:DWORD
                                        ; implicit-def: $vgpr32
	s_and_saveexec_b64 s[18:19], vcc
	s_xor_b64 s[78:79], exec, s[18:19]
	s_cbranch_execz .LBB4_4781
; %bb.4772:                             ;   in Loop: Header=BB4_3710 Depth=2
	v_mov_b32_e32 v32, 0
	v_cmp_ne_u32_e32 vcc, 0, v14
	s_and_saveexec_b64 s[88:89], vcc
	s_cbranch_execz .LBB4_4780
; %bb.4773:                             ;   in Loop: Header=BB4_3710 Depth=2
	v_bfe_u32 v32, v14, 23, 8
	v_and_b32_e32 v15, 0x7fffff, v14
	v_cmp_gt_u32_e64 s[18:19], s51, v32
	v_sub_u32_e32 v14, 0x79, v32
	v_cmp_eq_u32_e32 vcc, 0, v32
	v_cndmask_b32_e64 v14, 0, v14, s[18:19]
	v_or_b32_e32 v41, 0x800000, v15
	v_cndmask_b32_e32 v50, v14, v59, vcc
	v_cndmask_b32_e32 v14, v41, v15, vcc
	v_add_u32_e32 v41, 20, v50
	v_lshlrev_b64 v[41:42], v41, -1
	v_mov_b32_e32 v15, v35
	v_add_u32_e32 v43, 19, v50
	v_bfi_b32 v41, v41, 0, v14
	v_lshlrev_b64 v[43:44], v43, 1
	v_lshrrev_b64 v[14:15], v50, v[14:15]
	v_bfi_b32 v42, v42, 0, 0
	v_cmp_eq_u64_e64 s[18:19], v[41:42], v[43:44]
	v_mov_b32_e32 v42, v15
	v_mov_b32_e32 v41, v14
	s_and_saveexec_b64 s[90:91], s[18:19]
; %bb.4774:                             ;   in Loop: Header=BB4_3710 Depth=2
	v_bfe_u32 v15, v14, 20, 1
	v_add_co_u32_e64 v15, s[18:19], v14, v15
	v_add_co_u32_e64 v41, s[18:19], -1, v15
; %bb.4775:                             ;   in Loop: Header=BB4_3710 Depth=2
	s_or_b64 exec, exec, s[90:91]
	v_add_u32_e32 v15, 0xffffff81, v32
	v_cndmask_b32_e32 v15, v15, v60, vcc
	v_lshrrev_b32_e32 v32, 23, v14
	v_add3_u32 v42, v50, v15, v32
	v_add_u32_e32 v50, 6, v42
	v_and_b32_e32 v15, 0xfffff, v41
	v_add_u32_e32 v14, v15, v14
	v_mov_b32_e32 v15, v35
	v_cmp_ne_u32_e32 vcc, 0, v50
                                        ; implicit-def: $vgpr32
	s_and_saveexec_b64 s[18:19], vcc
	s_xor_b64 s[18:19], exec, s[18:19]
; %bb.4776:                             ;   in Loop: Header=BB4_3710 Depth=2
	v_cmp_lt_u64_e32 vcc, s[58:59], v[14:15]
	v_add_u32_e32 v32, 7, v42
	v_cndmask_b32_e32 v32, v50, v32, vcc
	v_cndmask_b32_e64 v50, 0, 1, vcc
	v_lshrrev_b64 v[14:15], v50, v[14:15]
; %bb.4777:                             ;   in Loop: Header=BB4_3710 Depth=2
	s_andn2_saveexec_b64 s[18:19], s[18:19]
; %bb.4778:                             ;   in Loop: Header=BB4_3710 Depth=2
	v_bfe_u32 v32, v14, 23, 1
; %bb.4779:                             ;   in Loop: Header=BB4_3710 Depth=2
	s_or_b64 exec, exec, s[18:19]
	v_lshrrev_b64 v[14:15], 20, v[14:15]
	v_cmp_gt_i32_e32 vcc, 16, v32
	v_cndmask_b32_e32 v15, 0, v15, vcc
	v_cndmask_b32_e32 v14, 7, v14, vcc
	v_cmp_eq_u64_e64 s[18:19], 0, v[14:15]
	v_min_i32_e32 v15, 15, v32
	v_lshlrev_b32_e32 v15, 3, v15
	v_cmp_eq_u32_e32 vcc, 0, v32
	v_and_b32_e32 v15, 0xf8, v15
	v_and_or_b32 v14, v14, 7, v15
	s_and_b64 s[18:19], vcc, s[18:19]
	v_cndmask_b32_e64 v14, v14, 0, s[18:19]
	v_or_b32_e32 v32, v14, v29
.LBB4_4780:                             ;   in Loop: Header=BB4_3710 Depth=2
	s_or_b64 exec, exec, s[88:89]
                                        ; implicit-def: $vgpr29
.LBB4_4781:                             ;   in Loop: Header=BB4_3710 Depth=2
	s_andn2_saveexec_b64 s[18:19], s[78:79]
; %bb.4782:                             ;   in Loop: Header=BB4_3710 Depth=2
	v_or_b32_e32 v32, 0x7e, v29
; %bb.4783:                             ;   in Loop: Header=BB4_3710 Depth=2
	s_or_b64 exec, exec, s[18:19]
                                        ; implicit-def: $vgpr14
.LBB4_4784:                             ;   in Loop: Header=BB4_3710 Depth=2
	s_andn2_saveexec_b64 s[18:19], s[76:77]
; %bb.4785:                             ;   in Loop: Header=BB4_3710 Depth=2
	v_or_b32_sdwa v32, v14, s39 dst_sel:DWORD dst_unused:UNUSED_PAD src0_sel:BYTE_3 src1_sel:DWORD
; %bb.4786:                             ;   in Loop: Header=BB4_3710 Depth=2
	s_or_b64 exec, exec, s[18:19]
	v_lshrrev_b16_e32 v14, 8, v28
	v_cmp_ne_u16_e32 vcc, 0, v14
	v_mov_b32_e32 v15, 0
	v_mov_b32_e32 v29, 0
	s_and_saveexec_b64 s[18:19], vcc
	s_cbranch_execz .LBB4_4792
; %bb.4787:                             ;   in Loop: Header=BB4_3710 Depth=2
	v_cmp_ne_u16_e32 vcc, s50, v14
	v_bfrev_b32_e32 v29, 1
	s_and_saveexec_b64 s[76:77], vcc
	s_cbranch_execz .LBB4_4791
; %bb.4788:                             ;   in Loop: Header=BB4_3710 Depth=2
	v_and_b32_e32 v50, 0x7f, v14
	v_cmp_ne_u32_e32 vcc, s39, v50
	v_mov_b32_e32 v29, 0x7f800001
	s_and_saveexec_b64 s[78:79], vcc
	s_cbranch_execz .LBB4_4790
; %bb.4789:                             ;   in Loop: Header=BB4_3710 Depth=2
	v_and_b32_e32 v29, 7, v14
	v_lshrrev_b32_e32 v43, 3, v50
	v_cmp_gt_u32_e32 vcc, 8, v50
	v_ffbh_u32_e32 v50, v29
	v_min_u32_e32 v50, 32, v50
	v_subrev_u32_e32 v41, 28, v50
	v_lshlrev_b64 v[41:42], v41, v[14:15]
	v_sub_u32_e32 v14, 29, v50
	v_and_b32_e32 v50, 7, v41
	v_cndmask_b32_e32 v14, v43, v14, vcc
	v_cndmask_b32_e32 v29, v29, v50, vcc
	v_lshlrev_b32_e32 v28, 16, v28
	v_lshlrev_b32_e32 v29, 20, v29
	v_and_b32_e32 v28, 0x80000000, v28
	v_lshl_add_u32 v14, v14, 23, v58
	v_or3_b32 v29, v28, v14, v29
.LBB4_4790:                             ;   in Loop: Header=BB4_3710 Depth=2
	s_or_b64 exec, exec, s[78:79]
.LBB4_4791:                             ;   in Loop: Header=BB4_3710 Depth=2
	s_or_b64 exec, exec, s[76:77]
.LBB4_4792:                             ;   in Loop: Header=BB4_3710 Depth=2
	s_or_b64 exec, exec, s[18:19]
	v_lshrrev_b16_e32 v14, 8, v17
	v_cmp_ne_u16_e32 vcc, 0, v14
	s_and_saveexec_b64 s[18:19], vcc
	s_cbranch_execz .LBB4_4798
; %bb.4793:                             ;   in Loop: Header=BB4_3710 Depth=2
	v_cmp_ne_u16_e32 vcc, s50, v14
	v_bfrev_b32_e32 v15, 1
	s_and_saveexec_b64 s[76:77], vcc
	s_cbranch_execz .LBB4_4797
; %bb.4794:                             ;   in Loop: Header=BB4_3710 Depth=2
	v_and_b32_e32 v28, 0x7f, v14
	v_cmp_ne_u32_e32 vcc, s39, v28
	v_mov_b32_e32 v15, 0x7f800001
	s_and_saveexec_b64 s[78:79], vcc
	s_cbranch_execz .LBB4_4796
; %bb.4795:                             ;   in Loop: Header=BB4_3710 Depth=2
	v_and_b32_e32 v50, 7, v14
	v_ffbh_u32_e32 v15, v50
	v_lshrrev_b32_e32 v41, 3, v28
	v_cmp_gt_u32_e32 vcc, 8, v28
	v_min_u32_e32 v28, 32, v15
	v_subrev_u32_e32 v15, 28, v28
	v_lshlrev_b64 v[14:15], v15, v[14:15]
	v_sub_u32_e32 v15, 29, v28
	v_and_b32_e32 v14, 7, v14
	v_cndmask_b32_e32 v15, v41, v15, vcc
	v_cndmask_b32_e32 v14, v50, v14, vcc
	v_lshlrev_b32_e32 v28, 16, v17
	v_lshlrev_b32_e32 v14, 20, v14
	v_and_b32_e32 v28, 0x80000000, v28
	v_lshl_add_u32 v15, v15, 23, v58
	v_or3_b32 v15, v28, v15, v14
.LBB4_4796:                             ;   in Loop: Header=BB4_3710 Depth=2
	s_or_b64 exec, exec, s[78:79]
.LBB4_4797:                             ;   in Loop: Header=BB4_3710 Depth=2
	s_or_b64 exec, exec, s[76:77]
.LBB4_4798:                             ;   in Loop: Header=BB4_3710 Depth=2
	s_or_b64 exec, exec, s[18:19]
	v_add_f32_e32 v14, v29, v15
	v_and_b32_e32 v28, 0x7f800000, v14
	v_mov_b32_e32 v29, v35
	v_cmp_ne_u64_e32 vcc, s[46:47], v[28:29]
                                        ; implicit-def: $vgpr50
	s_and_saveexec_b64 s[18:19], vcc
	s_xor_b64 s[76:77], exec, s[18:19]
	s_cbranch_execz .LBB4_4812
; %bb.4799:                             ;   in Loop: Header=BB4_3710 Depth=2
	v_and_b32_e32 v28, 0x7fffffff, v14
	v_mov_b32_e32 v29, v35
	v_cmp_gt_u64_e32 vcc, s[56:57], v[28:29]
	v_and_b32_sdwa v28, v14, s50 dst_sel:DWORD dst_unused:UNUSED_PAD src0_sel:BYTE_3 src1_sel:DWORD
                                        ; implicit-def: $vgpr50
	s_and_saveexec_b64 s[18:19], vcc
	s_xor_b64 s[78:79], exec, s[18:19]
	s_cbranch_execz .LBB4_4809
; %bb.4800:                             ;   in Loop: Header=BB4_3710 Depth=2
	v_mov_b32_e32 v50, 0
	v_cmp_ne_u32_e32 vcc, 0, v14
	s_and_saveexec_b64 s[88:89], vcc
	s_cbranch_execz .LBB4_4808
; %bb.4801:                             ;   in Loop: Header=BB4_3710 Depth=2
	v_bfe_u32 v29, v14, 23, 8
	v_and_b32_e32 v15, 0x7fffff, v14
	v_cmp_gt_u32_e64 s[18:19], s51, v29
	v_sub_u32_e32 v14, 0x79, v29
	v_cmp_eq_u32_e32 vcc, 0, v29
	v_cndmask_b32_e64 v14, 0, v14, s[18:19]
	v_or_b32_e32 v41, 0x800000, v15
	v_cndmask_b32_e32 v50, v14, v59, vcc
	v_cndmask_b32_e32 v14, v41, v15, vcc
	v_add_u32_e32 v41, 20, v50
	v_lshlrev_b64 v[41:42], v41, -1
	v_mov_b32_e32 v15, v35
	v_add_u32_e32 v43, 19, v50
	v_bfi_b32 v41, v41, 0, v14
	v_lshlrev_b64 v[43:44], v43, 1
	v_lshrrev_b64 v[14:15], v50, v[14:15]
	v_bfi_b32 v42, v42, 0, 0
	v_cmp_eq_u64_e64 s[18:19], v[41:42], v[43:44]
	v_mov_b32_e32 v42, v15
	v_mov_b32_e32 v41, v14
	s_and_saveexec_b64 s[90:91], s[18:19]
; %bb.4802:                             ;   in Loop: Header=BB4_3710 Depth=2
	v_bfe_u32 v15, v14, 20, 1
	v_add_co_u32_e64 v15, s[18:19], v14, v15
	v_add_co_u32_e64 v41, s[18:19], -1, v15
; %bb.4803:                             ;   in Loop: Header=BB4_3710 Depth=2
	s_or_b64 exec, exec, s[90:91]
	v_add_u32_e32 v15, 0xffffff81, v29
	v_cndmask_b32_e32 v15, v15, v60, vcc
	v_lshrrev_b32_e32 v29, 23, v14
	v_add3_u32 v42, v50, v15, v29
	v_add_u32_e32 v50, 6, v42
	v_and_b32_e32 v15, 0xfffff, v41
	v_add_u32_e32 v14, v15, v14
	v_mov_b32_e32 v15, v35
	v_cmp_ne_u32_e32 vcc, 0, v50
                                        ; implicit-def: $vgpr29
	s_and_saveexec_b64 s[18:19], vcc
	s_xor_b64 s[18:19], exec, s[18:19]
; %bb.4804:                             ;   in Loop: Header=BB4_3710 Depth=2
	v_cmp_lt_u64_e32 vcc, s[58:59], v[14:15]
	v_add_u32_e32 v29, 7, v42
	v_cndmask_b32_e32 v29, v50, v29, vcc
	v_cndmask_b32_e64 v50, 0, 1, vcc
	v_lshrrev_b64 v[14:15], v50, v[14:15]
; %bb.4805:                             ;   in Loop: Header=BB4_3710 Depth=2
	s_andn2_saveexec_b64 s[18:19], s[18:19]
; %bb.4806:                             ;   in Loop: Header=BB4_3710 Depth=2
	v_bfe_u32 v29, v14, 23, 1
; %bb.4807:                             ;   in Loop: Header=BB4_3710 Depth=2
	s_or_b64 exec, exec, s[18:19]
	v_lshrrev_b64 v[14:15], 20, v[14:15]
	v_cmp_gt_i32_e32 vcc, 16, v29
	v_cndmask_b32_e32 v15, 0, v15, vcc
	v_cndmask_b32_e32 v14, 7, v14, vcc
	v_cmp_eq_u64_e64 s[18:19], 0, v[14:15]
	v_min_i32_e32 v15, 15, v29
	v_lshlrev_b32_e32 v15, 3, v15
	v_cmp_eq_u32_e32 vcc, 0, v29
	v_and_b32_e32 v15, 0xf8, v15
	v_and_or_b32 v14, v14, 7, v15
	s_and_b64 s[18:19], vcc, s[18:19]
	v_cndmask_b32_e64 v14, v14, 0, s[18:19]
	v_or_b32_e32 v50, v14, v28
.LBB4_4808:                             ;   in Loop: Header=BB4_3710 Depth=2
	s_or_b64 exec, exec, s[88:89]
                                        ; implicit-def: $vgpr28
.LBB4_4809:                             ;   in Loop: Header=BB4_3710 Depth=2
	s_andn2_saveexec_b64 s[18:19], s[78:79]
; %bb.4810:                             ;   in Loop: Header=BB4_3710 Depth=2
	v_or_b32_e32 v50, 0x7e, v28
; %bb.4811:                             ;   in Loop: Header=BB4_3710 Depth=2
	s_or_b64 exec, exec, s[18:19]
                                        ; implicit-def: $vgpr14
.LBB4_4812:                             ;   in Loop: Header=BB4_3710 Depth=2
	s_andn2_saveexec_b64 s[18:19], s[76:77]
; %bb.4813:                             ;   in Loop: Header=BB4_3710 Depth=2
	v_or_b32_sdwa v50, v14, s39 dst_sel:DWORD dst_unused:UNUSED_PAD src0_sel:BYTE_3 src1_sel:DWORD
; %bb.4814:                             ;   in Loop: Header=BB4_3710 Depth=2
	s_or_b64 exec, exec, s[18:19]
	v_lshrrev_b32_e32 v14, 16, v34
	v_cmp_ne_u16_sdwa s[76:77], v14, v35 src0_sel:BYTE_0 src1_sel:DWORD
	v_mov_b32_e32 v15, 0
	v_mov_b32_e32 v28, 0
	s_and_saveexec_b64 s[18:19], s[76:77]
	s_cbranch_execz .LBB4_4820
; %bb.4815:                             ;   in Loop: Header=BB4_3710 Depth=2
	v_cmp_ne_u16_sdwa s[78:79], v14, s50 src0_sel:BYTE_0 src1_sel:DWORD
	v_bfrev_b32_e32 v28, 1
	s_and_saveexec_b64 s[76:77], s[78:79]
	s_cbranch_execz .LBB4_4819
; %bb.4816:                             ;   in Loop: Header=BB4_3710 Depth=2
	v_bfe_u32 v29, v34, 16, 7
	v_cmp_ne_u32_e32 vcc, s39, v29
	v_mov_b32_e32 v28, 0x7f800001
	s_and_saveexec_b64 s[78:79], vcc
	s_cbranch_execz .LBB4_4818
; %bb.4817:                             ;   in Loop: Header=BB4_3710 Depth=2
	v_and_b32_e32 v41, 7, v14
	v_ffbh_u32_e32 v28, v41
	v_min_u32_e32 v43, 32, v28
	v_subrev_u32_e32 v28, 28, v43
	v_lshrrev_b32_e32 v42, 3, v29
	v_cmp_gt_u32_e32 vcc, 8, v29
	v_lshlrev_b64 v[28:29], v28, v[14:15]
	v_sub_u32_e32 v29, 29, v43
	v_and_b32_e32 v28, 7, v28
	v_cndmask_b32_e32 v29, v42, v29, vcc
	v_cndmask_b32_e32 v28, v41, v28, vcc
	v_lshlrev_b32_e32 v14, 24, v14
	v_lshlrev_b32_e32 v28, 20, v28
	v_and_b32_e32 v14, 0x80000000, v14
	v_lshl_add_u32 v29, v29, 23, v58
	v_or3_b32 v28, v14, v29, v28
.LBB4_4818:                             ;   in Loop: Header=BB4_3710 Depth=2
	s_or_b64 exec, exec, s[78:79]
.LBB4_4819:                             ;   in Loop: Header=BB4_3710 Depth=2
	s_or_b64 exec, exec, s[76:77]
.LBB4_4820:                             ;   in Loop: Header=BB4_3710 Depth=2
	s_or_b64 exec, exec, s[18:19]
	v_lshrrev_b32_e32 v14, 16, v17
	v_cmp_ne_u16_sdwa s[76:77], v14, v35 src0_sel:BYTE_0 src1_sel:DWORD
	s_and_saveexec_b64 s[18:19], s[76:77]
	s_cbranch_execz .LBB4_4826
; %bb.4821:                             ;   in Loop: Header=BB4_3710 Depth=2
	v_cmp_ne_u16_sdwa s[78:79], v14, s50 src0_sel:BYTE_0 src1_sel:DWORD
	v_bfrev_b32_e32 v15, 1
	s_and_saveexec_b64 s[76:77], s[78:79]
	s_cbranch_execz .LBB4_4825
; %bb.4822:                             ;   in Loop: Header=BB4_3710 Depth=2
	v_bfe_u32 v29, v17, 16, 7
	v_cmp_ne_u32_e32 vcc, s39, v29
	v_mov_b32_e32 v15, 0x7f800001
	s_and_saveexec_b64 s[78:79], vcc
	s_cbranch_execz .LBB4_4824
; %bb.4823:                             ;   in Loop: Header=BB4_3710 Depth=2
	v_and_b32_e32 v41, 7, v14
	v_ffbh_u32_e32 v15, v41
	v_lshrrev_b32_e32 v42, 3, v29
	v_cmp_gt_u32_e32 vcc, 8, v29
	v_min_u32_e32 v29, 32, v15
	v_subrev_u32_e32 v15, 28, v29
	v_lshlrev_b64 v[14:15], v15, v[14:15]
	v_sub_u32_e32 v15, 29, v29
	v_and_b32_e32 v14, 7, v14
	v_cndmask_b32_e32 v15, v42, v15, vcc
	v_cndmask_b32_e32 v14, v41, v14, vcc
	v_lshlrev_b32_e32 v29, 8, v17
	v_lshlrev_b32_e32 v14, 20, v14
	v_and_b32_e32 v29, 0x80000000, v29
	v_lshl_add_u32 v15, v15, 23, v58
	v_or3_b32 v15, v29, v15, v14
.LBB4_4824:                             ;   in Loop: Header=BB4_3710 Depth=2
	s_or_b64 exec, exec, s[78:79]
.LBB4_4825:                             ;   in Loop: Header=BB4_3710 Depth=2
	s_or_b64 exec, exec, s[76:77]
.LBB4_4826:                             ;   in Loop: Header=BB4_3710 Depth=2
	s_or_b64 exec, exec, s[18:19]
	v_add_f32_e32 v14, v28, v15
	v_and_b32_e32 v28, 0x7f800000, v14
	v_mov_b32_e32 v29, v35
	v_cmp_ne_u64_e32 vcc, s[46:47], v[28:29]
                                        ; implicit-def: $vgpr41
	s_and_saveexec_b64 s[18:19], vcc
	s_xor_b64 s[76:77], exec, s[18:19]
	s_cbranch_execz .LBB4_4840
; %bb.4827:                             ;   in Loop: Header=BB4_3710 Depth=2
	v_and_b32_e32 v28, 0x7fffffff, v14
	v_mov_b32_e32 v29, v35
	v_cmp_gt_u64_e32 vcc, s[56:57], v[28:29]
	v_and_b32_sdwa v28, v14, s50 dst_sel:DWORD dst_unused:UNUSED_PAD src0_sel:BYTE_3 src1_sel:DWORD
                                        ; implicit-def: $vgpr41
	s_and_saveexec_b64 s[18:19], vcc
	s_xor_b64 s[78:79], exec, s[18:19]
	s_cbranch_execz .LBB4_4837
; %bb.4828:                             ;   in Loop: Header=BB4_3710 Depth=2
	v_mov_b32_e32 v41, 0
	v_cmp_ne_u32_e32 vcc, 0, v14
	s_and_saveexec_b64 s[88:89], vcc
	s_cbranch_execz .LBB4_4836
; %bb.4829:                             ;   in Loop: Header=BB4_3710 Depth=2
	v_bfe_u32 v29, v14, 23, 8
	v_and_b32_e32 v15, 0x7fffff, v14
	v_cmp_gt_u32_e64 s[18:19], s51, v29
	v_sub_u32_e32 v14, 0x79, v29
	v_cmp_eq_u32_e32 vcc, 0, v29
	v_cndmask_b32_e64 v14, 0, v14, s[18:19]
	v_or_b32_e32 v41, 0x800000, v15
	v_cndmask_b32_e32 v43, v14, v59, vcc
	v_cndmask_b32_e32 v14, v41, v15, vcc
	v_add_u32_e32 v41, 20, v43
	v_lshlrev_b64 v[41:42], v41, -1
	v_mov_b32_e32 v15, v35
	v_add_u32_e32 v44, 19, v43
	v_bfi_b32 v41, v41, 0, v14
	v_lshlrev_b64 v[44:45], v44, 1
	v_lshrrev_b64 v[14:15], v43, v[14:15]
	v_bfi_b32 v42, v42, 0, 0
	v_cmp_eq_u64_e64 s[18:19], v[41:42], v[44:45]
	v_mov_b32_e32 v42, v15
	v_mov_b32_e32 v41, v14
	s_and_saveexec_b64 s[90:91], s[18:19]
; %bb.4830:                             ;   in Loop: Header=BB4_3710 Depth=2
	v_bfe_u32 v15, v14, 20, 1
	v_add_co_u32_e64 v15, s[18:19], v14, v15
	v_add_co_u32_e64 v41, s[18:19], -1, v15
; %bb.4831:                             ;   in Loop: Header=BB4_3710 Depth=2
	s_or_b64 exec, exec, s[90:91]
	v_add_u32_e32 v15, 0xffffff81, v29
	v_cndmask_b32_e32 v15, v15, v60, vcc
	v_lshrrev_b32_e32 v29, 23, v14
	v_add3_u32 v43, v43, v15, v29
	v_add_u32_e32 v42, 6, v43
	v_and_b32_e32 v15, 0xfffff, v41
	v_add_u32_e32 v14, v15, v14
	v_mov_b32_e32 v15, v35
	v_cmp_ne_u32_e32 vcc, 0, v42
                                        ; implicit-def: $vgpr29
	s_and_saveexec_b64 s[18:19], vcc
	s_xor_b64 s[18:19], exec, s[18:19]
; %bb.4832:                             ;   in Loop: Header=BB4_3710 Depth=2
	v_cmp_lt_u64_e32 vcc, s[58:59], v[14:15]
	v_add_u32_e32 v29, 7, v43
	v_cndmask_b32_e64 v41, 0, 1, vcc
	v_cndmask_b32_e32 v29, v42, v29, vcc
	v_lshrrev_b64 v[14:15], v41, v[14:15]
; %bb.4833:                             ;   in Loop: Header=BB4_3710 Depth=2
	s_andn2_saveexec_b64 s[18:19], s[18:19]
; %bb.4834:                             ;   in Loop: Header=BB4_3710 Depth=2
	v_bfe_u32 v29, v14, 23, 1
; %bb.4835:                             ;   in Loop: Header=BB4_3710 Depth=2
	s_or_b64 exec, exec, s[18:19]
	v_lshrrev_b64 v[14:15], 20, v[14:15]
	v_cmp_gt_i32_e32 vcc, 16, v29
	v_cndmask_b32_e32 v15, 0, v15, vcc
	v_cndmask_b32_e32 v14, 7, v14, vcc
	v_cmp_eq_u64_e64 s[18:19], 0, v[14:15]
	v_min_i32_e32 v15, 15, v29
	v_lshlrev_b32_e32 v15, 3, v15
	v_cmp_eq_u32_e32 vcc, 0, v29
	v_and_b32_e32 v15, 0xf8, v15
	v_and_or_b32 v14, v14, 7, v15
	s_and_b64 s[18:19], vcc, s[18:19]
	v_cndmask_b32_e64 v14, v14, 0, s[18:19]
	v_or_b32_e32 v41, v14, v28
.LBB4_4836:                             ;   in Loop: Header=BB4_3710 Depth=2
	s_or_b64 exec, exec, s[88:89]
                                        ; implicit-def: $vgpr28
.LBB4_4837:                             ;   in Loop: Header=BB4_3710 Depth=2
	s_andn2_saveexec_b64 s[18:19], s[78:79]
; %bb.4838:                             ;   in Loop: Header=BB4_3710 Depth=2
	v_or_b32_e32 v41, 0x7e, v28
; %bb.4839:                             ;   in Loop: Header=BB4_3710 Depth=2
	s_or_b64 exec, exec, s[18:19]
                                        ; implicit-def: $vgpr14
.LBB4_4840:                             ;   in Loop: Header=BB4_3710 Depth=2
	s_andn2_saveexec_b64 s[18:19], s[76:77]
; %bb.4841:                             ;   in Loop: Header=BB4_3710 Depth=2
	v_or_b32_sdwa v41, v14, s39 dst_sel:DWORD dst_unused:UNUSED_PAD src0_sel:BYTE_3 src1_sel:DWORD
; %bb.4842:                             ;   in Loop: Header=BB4_3710 Depth=2
	s_or_b64 exec, exec, s[18:19]
	v_cmp_lt_u32_e32 vcc, s61, v34
	v_mov_b32_e32 v15, 0
	v_mov_b32_e32 v28, 0
	s_and_saveexec_b64 s[18:19], vcc
	s_cbranch_execz .LBB4_4848
; %bb.4843:                             ;   in Loop: Header=BB4_3710 Depth=2
	v_lshrrev_b32_e32 v14, 24, v34
	v_cmp_ne_u32_sdwa s[78:79], v34, s50 src0_sel:BYTE_3 src1_sel:DWORD
	v_bfrev_b32_e32 v28, 1
	s_and_saveexec_b64 s[76:77], s[78:79]
	s_cbranch_execz .LBB4_4847
; %bb.4844:                             ;   in Loop: Header=BB4_3710 Depth=2
	v_bfe_u32 v29, v34, 24, 7
	v_cmp_ne_u32_e32 vcc, s39, v29
	v_mov_b32_e32 v28, 0x7f800001
	s_and_saveexec_b64 s[78:79], vcc
	s_cbranch_execz .LBB4_4846
; %bb.4845:                             ;   in Loop: Header=BB4_3710 Depth=2
	v_and_b32_e32 v42, 7, v14
	v_ffbh_u32_e32 v28, v42
	v_min_u32_e32 v44, 32, v28
	v_subrev_u32_e32 v28, 28, v44
	v_lshrrev_b32_e32 v43, 3, v29
	v_cmp_gt_u32_e32 vcc, 8, v29
	v_lshlrev_b64 v[28:29], v28, v[14:15]
	v_sub_u32_e32 v14, 29, v44
	v_and_b32_e32 v28, 7, v28
	v_mov_b32_e32 v29, 24
	v_cndmask_b32_e32 v14, v43, v14, vcc
	v_cndmask_b32_e32 v28, v42, v28, vcc
	v_lshlrev_b32_sdwa v29, v29, v34 dst_sel:DWORD dst_unused:UNUSED_PAD src0_sel:DWORD src1_sel:BYTE_3
	v_lshlrev_b32_e32 v28, 20, v28
	v_and_b32_e32 v29, 0x80000000, v29
	v_lshl_add_u32 v14, v14, 23, v58
	v_or3_b32 v28, v29, v14, v28
.LBB4_4846:                             ;   in Loop: Header=BB4_3710 Depth=2
	s_or_b64 exec, exec, s[78:79]
.LBB4_4847:                             ;   in Loop: Header=BB4_3710 Depth=2
	s_or_b64 exec, exec, s[76:77]
.LBB4_4848:                             ;   in Loop: Header=BB4_3710 Depth=2
	s_or_b64 exec, exec, s[18:19]
	v_cmp_lt_u64_e32 vcc, s[60:61], v[16:17]
	s_and_saveexec_b64 s[18:19], vcc
	s_cbranch_execz .LBB4_4854
; %bb.4849:                             ;   in Loop: Header=BB4_3710 Depth=2
	v_lshrrev_b32_e32 v14, 24, v17
	v_cmp_ne_u32_e32 vcc, s50, v14
	v_bfrev_b32_e32 v15, 1
	s_and_saveexec_b64 s[76:77], vcc
	s_cbranch_execz .LBB4_4853
; %bb.4850:                             ;   in Loop: Header=BB4_3710 Depth=2
	v_bfe_u32 v16, v17, 24, 7
	v_cmp_ne_u32_e32 vcc, s39, v16
	v_mov_b32_e32 v15, 0x7f800001
	s_and_saveexec_b64 s[78:79], vcc
	s_cbranch_execz .LBB4_4852
; %bb.4851:                             ;   in Loop: Header=BB4_3710 Depth=2
	v_and_b32_e32 v17, 7, v14
	v_ffbh_u32_e32 v15, v17
	v_min_u32_e32 v34, 32, v15
	v_subrev_u32_e32 v15, 28, v34
	v_lshrrev_b32_e32 v29, 3, v16
	v_cmp_gt_u32_e32 vcc, 8, v16
	v_lshlrev_b64 v[15:16], v15, v[14:15]
	v_sub_u32_e32 v16, 29, v34
	v_and_b32_e32 v15, 7, v15
	v_cndmask_b32_e32 v16, v29, v16, vcc
	v_cndmask_b32_e32 v15, v17, v15, vcc
	v_lshlrev_b32_e32 v14, 24, v14
	v_lshlrev_b32_e32 v15, 20, v15
	v_and_b32_e32 v14, 0x80000000, v14
	v_lshl_add_u32 v16, v16, 23, v58
	v_or3_b32 v15, v14, v16, v15
.LBB4_4852:                             ;   in Loop: Header=BB4_3710 Depth=2
	s_or_b64 exec, exec, s[78:79]
.LBB4_4853:                             ;   in Loop: Header=BB4_3710 Depth=2
	s_or_b64 exec, exec, s[76:77]
.LBB4_4854:                             ;   in Loop: Header=BB4_3710 Depth=2
	s_or_b64 exec, exec, s[18:19]
	v_add_f32_e32 v14, v28, v15
	v_and_b32_e32 v34, 0x7f800000, v14
	v_cmp_ne_u64_e32 vcc, s[46:47], v[34:35]
                                        ; implicit-def: $vgpr17
	s_and_saveexec_b64 s[18:19], vcc
	s_xor_b64 s[76:77], exec, s[18:19]
	s_cbranch_execz .LBB4_4868
; %bb.4855:                             ;   in Loop: Header=BB4_3710 Depth=2
	v_and_b32_e32 v34, 0x7fffffff, v14
	v_cmp_gt_u64_e32 vcc, s[56:57], v[34:35]
	v_and_b32_sdwa v28, v14, s50 dst_sel:DWORD dst_unused:UNUSED_PAD src0_sel:BYTE_3 src1_sel:DWORD
                                        ; implicit-def: $vgpr17
	s_and_saveexec_b64 s[18:19], vcc
	s_xor_b64 s[78:79], exec, s[18:19]
	s_cbranch_execz .LBB4_4865
; %bb.4856:                             ;   in Loop: Header=BB4_3710 Depth=2
	v_mov_b32_e32 v17, 0
	v_cmp_ne_u32_e32 vcc, 0, v14
	s_and_saveexec_b64 s[88:89], vcc
	s_cbranch_execz .LBB4_4864
; %bb.4857:                             ;   in Loop: Header=BB4_3710 Depth=2
	v_bfe_u32 v17, v14, 23, 8
	v_and_b32_e32 v15, 0x7fffff, v14
	v_cmp_gt_u32_e64 s[18:19], s51, v17
	v_sub_u32_e32 v14, 0x79, v17
	v_cmp_eq_u32_e32 vcc, 0, v17
	v_cndmask_b32_e64 v14, 0, v14, s[18:19]
	v_cndmask_b32_e32 v29, v14, v59, vcc
	v_or_b32_e32 v16, 0x800000, v15
	v_add_u32_e32 v14, 20, v29
	v_cndmask_b32_e32 v34, v16, v15, vcc
	v_lshlrev_b64 v[14:15], v14, -1
	v_add_u32_e32 v16, 19, v29
	v_lshlrev_b64 v[42:43], v16, 1
	v_bfi_b32 v15, v15, 0, 0
	v_bfi_b32 v14, v14, 0, v34
	v_cmp_eq_u64_e64 s[18:19], v[14:15], v[42:43]
	v_lshrrev_b64 v[14:15], v29, v[34:35]
	v_mov_b32_e32 v16, v15
	v_mov_b32_e32 v15, v14
	s_and_saveexec_b64 s[90:91], s[18:19]
; %bb.4858:                             ;   in Loop: Header=BB4_3710 Depth=2
	v_bfe_u32 v15, v14, 20, 1
	v_add_co_u32_e64 v15, s[18:19], v14, v15
	v_add_co_u32_e64 v15, s[18:19], -1, v15
; %bb.4859:                             ;   in Loop: Header=BB4_3710 Depth=2
	s_or_b64 exec, exec, s[90:91]
	v_add_u32_e32 v16, 0xffffff81, v17
	v_cndmask_b32_e32 v16, v16, v60, vcc
	v_lshrrev_b32_e32 v17, 23, v14
	v_add3_u32 v29, v29, v16, v17
	v_add_u32_e32 v17, 6, v29
	v_and_b32_e32 v15, 0xfffff, v15
	v_add_u32_e32 v34, v15, v14
	v_cmp_ne_u32_e32 vcc, 0, v17
                                        ; implicit-def: $vgpr14_vgpr15
                                        ; implicit-def: $vgpr16
	s_and_saveexec_b64 s[18:19], vcc
	s_xor_b64 s[18:19], exec, s[18:19]
; %bb.4860:                             ;   in Loop: Header=BB4_3710 Depth=2
	v_cmp_lt_u64_e32 vcc, s[58:59], v[34:35]
	v_add_u32_e32 v14, 7, v29
	v_cndmask_b32_e32 v16, v17, v14, vcc
	v_cndmask_b32_e64 v14, 0, 1, vcc
	v_lshrrev_b64 v[14:15], v14, v[34:35]
; %bb.4861:                             ;   in Loop: Header=BB4_3710 Depth=2
	s_andn2_saveexec_b64 s[18:19], s[18:19]
; %bb.4862:                             ;   in Loop: Header=BB4_3710 Depth=2
	v_mov_b32_e32 v14, v34
	v_bfe_u32 v16, v34, 23, 1
	v_mov_b32_e32 v15, v35
; %bb.4863:                             ;   in Loop: Header=BB4_3710 Depth=2
	s_or_b64 exec, exec, s[18:19]
	v_lshrrev_b64 v[14:15], 20, v[14:15]
	v_cmp_gt_i32_e32 vcc, 16, v16
	v_cndmask_b32_e32 v15, 0, v15, vcc
	v_cndmask_b32_e32 v14, 7, v14, vcc
	v_cmp_eq_u64_e64 s[18:19], 0, v[14:15]
	v_min_i32_e32 v15, 15, v16
	v_lshlrev_b32_e32 v15, 3, v15
	v_cmp_eq_u32_e32 vcc, 0, v16
	v_and_b32_e32 v15, 0xf8, v15
	v_and_or_b32 v14, v14, 7, v15
	s_and_b64 s[18:19], vcc, s[18:19]
	v_cndmask_b32_e64 v14, v14, 0, s[18:19]
	v_or_b32_e32 v17, v14, v28
.LBB4_4864:                             ;   in Loop: Header=BB4_3710 Depth=2
	s_or_b64 exec, exec, s[88:89]
                                        ; implicit-def: $vgpr28
.LBB4_4865:                             ;   in Loop: Header=BB4_3710 Depth=2
	s_andn2_saveexec_b64 s[18:19], s[78:79]
; %bb.4866:                             ;   in Loop: Header=BB4_3710 Depth=2
	v_or_b32_e32 v17, 0x7e, v28
; %bb.4867:                             ;   in Loop: Header=BB4_3710 Depth=2
	s_or_b64 exec, exec, s[18:19]
                                        ; implicit-def: $vgpr14
.LBB4_4868:                             ;   in Loop: Header=BB4_3710 Depth=2
	s_andn2_saveexec_b64 s[18:19], s[76:77]
; %bb.4869:                             ;   in Loop: Header=BB4_3710 Depth=2
	v_or_b32_sdwa v17, v14, s39 dst_sel:DWORD dst_unused:UNUSED_PAD src0_sel:BYTE_3 src1_sel:DWORD
; %bb.4870:                             ;   in Loop: Header=BB4_3710 Depth=2
	s_or_b64 exec, exec, s[18:19]
	v_lshl_or_b32 v28, v33, 8, v19
	v_lshlrev_b32_e32 v14, 16, v48
	v_lshlrev_b32_e32 v15, 24, v51
	v_or3_b32 v34, v14, v15, v28
	v_cmp_ne_u32_e32 vcc, 0, v19
	v_mov_b32_e32 v14, 0
	v_mov_b32_e32 v15, 0
	s_and_saveexec_b64 s[18:19], vcc
	s_cbranch_execz .LBB4_4876
; %bb.4871:                             ;   in Loop: Header=BB4_3710 Depth=2
	v_cmp_ne_u32_e32 vcc, s50, v19
	v_bfrev_b32_e32 v15, 1
	s_and_saveexec_b64 s[76:77], vcc
	s_cbranch_execz .LBB4_4875
; %bb.4872:                             ;   in Loop: Header=BB4_3710 Depth=2
	v_and_b32_e32 v16, 0x7f, v19
	v_cmp_ne_u32_e32 vcc, s39, v16
	v_mov_b32_e32 v15, 0x7f800001
	s_and_saveexec_b64 s[78:79], vcc
	s_cbranch_execz .LBB4_4874
; %bb.4873:                             ;   in Loop: Header=BB4_3710 Depth=2
	v_and_b32_e32 v15, 7, v19
	v_ffbh_u32_e32 v15, v15
	v_min_u32_e32 v15, 32, v15
	v_lshrrev_b32_e32 v19, 3, v16
	v_cmp_gt_u32_e32 vcc, 8, v16
	v_subrev_u32_e32 v16, 28, v15
	v_sub_u32_e32 v15, 29, v15
	v_cndmask_b32_e32 v19, v19, v15, vcc
	v_cndmask_b32_e32 v15, 0, v16, vcc
	v_lshlrev_b64 v[15:16], v15, v[34:35]
	v_lshlrev_b32_e32 v16, 24, v34
	v_lshlrev_b32_e32 v15, 20, v15
	v_and_b32_e32 v15, 0x700000, v15
	v_and_b32_e32 v16, 0x80000000, v16
	v_lshl_add_u32 v19, v19, 23, v58
	v_or3_b32 v15, v16, v19, v15
.LBB4_4874:                             ;   in Loop: Header=BB4_3710 Depth=2
	s_or_b64 exec, exec, s[78:79]
.LBB4_4875:                             ;   in Loop: Header=BB4_3710 Depth=2
	s_or_b64 exec, exec, s[76:77]
.LBB4_4876:                             ;   in Loop: Header=BB4_3710 Depth=2
	s_or_b64 exec, exec, s[18:19]
	s_waitcnt vmcnt(0)
	v_cmp_ne_u16_sdwa s[76:77], v10, v35 src0_sel:BYTE_0 src1_sel:DWORD
	s_and_saveexec_b64 s[18:19], s[76:77]
	s_cbranch_execz .LBB4_4882
; %bb.4877:                             ;   in Loop: Header=BB4_3710 Depth=2
	v_cmp_ne_u16_sdwa s[78:79], v10, s50 src0_sel:BYTE_0 src1_sel:DWORD
	v_bfrev_b32_e32 v14, 1
	s_and_saveexec_b64 s[76:77], s[78:79]
	s_cbranch_execz .LBB4_4881
; %bb.4878:                             ;   in Loop: Header=BB4_3710 Depth=2
	v_and_b32_e32 v16, 0x7f, v10
	v_cmp_ne_u32_e32 vcc, s39, v16
	v_mov_b32_e32 v14, 0x7f800001
	s_and_saveexec_b64 s[78:79], vcc
	s_cbranch_execz .LBB4_4880
; %bb.4879:                             ;   in Loop: Header=BB4_3710 Depth=2
	v_and_b32_e32 v14, 7, v10
	v_ffbh_u32_e32 v14, v14
	v_min_u32_e32 v14, 32, v14
	v_lshrrev_b32_e32 v19, 3, v16
	v_cmp_gt_u32_e32 vcc, 8, v16
	v_subrev_u32_e32 v16, 28, v14
	v_cndmask_b32_e32 v16, 0, v16, vcc
	v_lshlrev_b64 v[42:43], v16, v[10:11]
	v_sub_u32_e32 v14, 29, v14
	v_cndmask_b32_e32 v14, v19, v14, vcc
	v_lshlrev_b32_e32 v16, 20, v42
	v_lshlrev_b32_e32 v19, 24, v10
	v_and_b32_e32 v16, 0x700000, v16
	v_and_b32_e32 v19, 0x80000000, v19
	v_lshl_add_u32 v14, v14, 23, v58
	v_or3_b32 v14, v19, v14, v16
.LBB4_4880:                             ;   in Loop: Header=BB4_3710 Depth=2
	s_or_b64 exec, exec, s[78:79]
.LBB4_4881:                             ;   in Loop: Header=BB4_3710 Depth=2
	s_or_b64 exec, exec, s[76:77]
.LBB4_4882:                             ;   in Loop: Header=BB4_3710 Depth=2
	s_or_b64 exec, exec, s[18:19]
	v_add_f32_e32 v14, v15, v14
	v_and_b32_e32 v15, 0x7f800000, v14
	v_mov_b32_e32 v16, v35
	v_cmp_ne_u64_e32 vcc, s[46:47], v[15:16]
                                        ; implicit-def: $vgpr19
	s_and_saveexec_b64 s[18:19], vcc
	s_xor_b64 s[76:77], exec, s[18:19]
	s_cbranch_execz .LBB4_4896
; %bb.4883:                             ;   in Loop: Header=BB4_3710 Depth=2
	v_and_b32_e32 v15, 0x7fffffff, v14
	v_mov_b32_e32 v16, v35
	v_cmp_gt_u64_e32 vcc, s[56:57], v[15:16]
	v_and_b32_sdwa v29, v14, s50 dst_sel:DWORD dst_unused:UNUSED_PAD src0_sel:BYTE_3 src1_sel:DWORD
                                        ; implicit-def: $vgpr19
	s_and_saveexec_b64 s[18:19], vcc
	s_xor_b64 s[78:79], exec, s[18:19]
	s_cbranch_execz .LBB4_4893
; %bb.4884:                             ;   in Loop: Header=BB4_3710 Depth=2
	v_mov_b32_e32 v19, 0
	v_cmp_ne_u32_e32 vcc, 0, v14
	s_and_saveexec_b64 s[88:89], vcc
	s_cbranch_execz .LBB4_4892
; %bb.4885:                             ;   in Loop: Header=BB4_3710 Depth=2
	v_bfe_u32 v19, v14, 23, 8
	v_and_b32_e32 v15, 0x7fffff, v14
	v_cmp_gt_u32_e64 s[18:19], s51, v19
	v_sub_u32_e32 v14, 0x79, v19
	v_cmp_eq_u32_e32 vcc, 0, v19
	v_cndmask_b32_e64 v14, 0, v14, s[18:19]
	v_or_b32_e32 v16, 0x800000, v15
	v_cndmask_b32_e32 v33, v14, v59, vcc
	v_cndmask_b32_e32 v14, v16, v15, vcc
	v_add_u32_e32 v16, 20, v33
	v_lshlrev_b64 v[42:43], v16, -1
	v_mov_b32_e32 v15, v35
	v_add_u32_e32 v16, 19, v33
	v_bfi_b32 v42, v42, 0, v14
	v_lshlrev_b64 v[44:45], v16, 1
	v_lshrrev_b64 v[14:15], v33, v[14:15]
	v_bfi_b32 v43, v43, 0, 0
	v_cmp_eq_u64_e64 s[18:19], v[42:43], v[44:45]
	v_mov_b32_e32 v16, v15
	v_mov_b32_e32 v15, v14
	s_and_saveexec_b64 s[90:91], s[18:19]
; %bb.4886:                             ;   in Loop: Header=BB4_3710 Depth=2
	v_bfe_u32 v15, v14, 20, 1
	v_add_co_u32_e64 v15, s[18:19], v14, v15
	v_add_co_u32_e64 v15, s[18:19], -1, v15
; %bb.4887:                             ;   in Loop: Header=BB4_3710 Depth=2
	s_or_b64 exec, exec, s[90:91]
	v_add_u32_e32 v16, 0xffffff81, v19
	v_cndmask_b32_e32 v16, v16, v60, vcc
	v_lshrrev_b32_e32 v19, 23, v14
	v_add3_u32 v33, v33, v16, v19
	v_add_u32_e32 v19, 6, v33
	v_and_b32_e32 v15, 0xfffff, v15
	v_add_u32_e32 v14, v15, v14
	v_mov_b32_e32 v15, v35
	v_cmp_ne_u32_e32 vcc, 0, v19
                                        ; implicit-def: $vgpr16
	s_and_saveexec_b64 s[18:19], vcc
	s_xor_b64 s[18:19], exec, s[18:19]
; %bb.4888:                             ;   in Loop: Header=BB4_3710 Depth=2
	v_cmp_lt_u64_e32 vcc, s[58:59], v[14:15]
	v_add_u32_e32 v16, 7, v33
	v_cndmask_b32_e32 v16, v19, v16, vcc
	v_cndmask_b32_e64 v19, 0, 1, vcc
	v_lshrrev_b64 v[14:15], v19, v[14:15]
; %bb.4889:                             ;   in Loop: Header=BB4_3710 Depth=2
	s_andn2_saveexec_b64 s[18:19], s[18:19]
; %bb.4890:                             ;   in Loop: Header=BB4_3710 Depth=2
	v_bfe_u32 v16, v14, 23, 1
; %bb.4891:                             ;   in Loop: Header=BB4_3710 Depth=2
	s_or_b64 exec, exec, s[18:19]
	v_lshrrev_b64 v[14:15], 20, v[14:15]
	v_cmp_gt_i32_e32 vcc, 16, v16
	v_cndmask_b32_e32 v15, 0, v15, vcc
	v_cndmask_b32_e32 v14, 7, v14, vcc
	v_cmp_eq_u64_e64 s[18:19], 0, v[14:15]
	v_min_i32_e32 v15, 15, v16
	v_lshlrev_b32_e32 v15, 3, v15
	v_cmp_eq_u32_e32 vcc, 0, v16
	v_and_b32_e32 v15, 0xf8, v15
	v_and_or_b32 v14, v14, 7, v15
	s_and_b64 s[18:19], vcc, s[18:19]
	v_cndmask_b32_e64 v14, v14, 0, s[18:19]
	v_or_b32_e32 v19, v14, v29
.LBB4_4892:                             ;   in Loop: Header=BB4_3710 Depth=2
	s_or_b64 exec, exec, s[88:89]
                                        ; implicit-def: $vgpr29
.LBB4_4893:                             ;   in Loop: Header=BB4_3710 Depth=2
	s_andn2_saveexec_b64 s[18:19], s[78:79]
; %bb.4894:                             ;   in Loop: Header=BB4_3710 Depth=2
	v_or_b32_e32 v19, 0x7e, v29
; %bb.4895:                             ;   in Loop: Header=BB4_3710 Depth=2
	s_or_b64 exec, exec, s[18:19]
                                        ; implicit-def: $vgpr14
.LBB4_4896:                             ;   in Loop: Header=BB4_3710 Depth=2
	s_andn2_saveexec_b64 s[18:19], s[76:77]
; %bb.4897:                             ;   in Loop: Header=BB4_3710 Depth=2
	v_or_b32_sdwa v19, v14, s39 dst_sel:DWORD dst_unused:UNUSED_PAD src0_sel:BYTE_3 src1_sel:DWORD
; %bb.4898:                             ;   in Loop: Header=BB4_3710 Depth=2
	s_or_b64 exec, exec, s[18:19]
	v_lshrrev_b16_e32 v14, 8, v28
	v_cmp_ne_u16_e32 vcc, 0, v14
	v_mov_b32_e32 v15, 0
	v_mov_b32_e32 v16, 0
	s_and_saveexec_b64 s[18:19], vcc
	s_cbranch_execz .LBB4_4904
; %bb.4899:                             ;   in Loop: Header=BB4_3710 Depth=2
	v_cmp_ne_u16_e32 vcc, s50, v14
	v_bfrev_b32_e32 v16, 1
	s_and_saveexec_b64 s[76:77], vcc
	s_cbranch_execz .LBB4_4903
; %bb.4900:                             ;   in Loop: Header=BB4_3710 Depth=2
	v_and_b32_e32 v29, 0x7f, v14
	v_cmp_ne_u32_e32 vcc, s39, v29
	v_mov_b32_e32 v16, 0x7f800001
	s_and_saveexec_b64 s[78:79], vcc
	s_cbranch_execz .LBB4_4902
; %bb.4901:                             ;   in Loop: Header=BB4_3710 Depth=2
	v_and_b32_e32 v16, 7, v14
	v_lshrrev_b32_e32 v33, 3, v29
	v_cmp_gt_u32_e32 vcc, 8, v29
	v_ffbh_u32_e32 v29, v16
	v_min_u32_e32 v29, 32, v29
	v_subrev_u32_e32 v48, 28, v29
	v_lshlrev_b64 v[42:43], v48, v[14:15]
	v_sub_u32_e32 v14, 29, v29
	v_and_b32_e32 v29, 7, v42
	v_cndmask_b32_e32 v14, v33, v14, vcc
	v_cndmask_b32_e32 v16, v16, v29, vcc
	v_lshlrev_b32_e32 v28, 16, v28
	v_lshlrev_b32_e32 v16, 20, v16
	v_and_b32_e32 v28, 0x80000000, v28
	v_lshl_add_u32 v14, v14, 23, v58
	v_or3_b32 v16, v28, v14, v16
.LBB4_4902:                             ;   in Loop: Header=BB4_3710 Depth=2
	s_or_b64 exec, exec, s[78:79]
.LBB4_4903:                             ;   in Loop: Header=BB4_3710 Depth=2
	s_or_b64 exec, exec, s[76:77]
.LBB4_4904:                             ;   in Loop: Header=BB4_3710 Depth=2
	s_or_b64 exec, exec, s[18:19]
	v_lshrrev_b16_e32 v14, 8, v10
	v_cmp_ne_u16_e32 vcc, 0, v14
	s_and_saveexec_b64 s[18:19], vcc
	s_cbranch_execz .LBB4_4910
; %bb.4905:                             ;   in Loop: Header=BB4_3710 Depth=2
	v_cmp_ne_u16_e32 vcc, s50, v14
	v_bfrev_b32_e32 v15, 1
	s_and_saveexec_b64 s[76:77], vcc
	s_cbranch_execz .LBB4_4909
; %bb.4906:                             ;   in Loop: Header=BB4_3710 Depth=2
	v_and_b32_e32 v28, 0x7f, v14
	v_cmp_ne_u32_e32 vcc, s39, v28
	v_mov_b32_e32 v15, 0x7f800001
	s_and_saveexec_b64 s[78:79], vcc
	s_cbranch_execz .LBB4_4908
; %bb.4907:                             ;   in Loop: Header=BB4_3710 Depth=2
	v_and_b32_e32 v29, 7, v14
	v_ffbh_u32_e32 v15, v29
	v_lshrrev_b32_e32 v33, 3, v28
	v_cmp_gt_u32_e32 vcc, 8, v28
	v_min_u32_e32 v28, 32, v15
	v_subrev_u32_e32 v15, 28, v28
	v_lshlrev_b64 v[14:15], v15, v[14:15]
	v_sub_u32_e32 v15, 29, v28
	v_and_b32_e32 v14, 7, v14
	v_cndmask_b32_e32 v15, v33, v15, vcc
	v_cndmask_b32_e32 v14, v29, v14, vcc
	v_lshlrev_b32_e32 v28, 16, v10
	v_lshlrev_b32_e32 v14, 20, v14
	v_and_b32_e32 v28, 0x80000000, v28
	v_lshl_add_u32 v15, v15, 23, v58
	v_or3_b32 v15, v28, v15, v14
.LBB4_4908:                             ;   in Loop: Header=BB4_3710 Depth=2
	s_or_b64 exec, exec, s[78:79]
.LBB4_4909:                             ;   in Loop: Header=BB4_3710 Depth=2
	s_or_b64 exec, exec, s[76:77]
.LBB4_4910:                             ;   in Loop: Header=BB4_3710 Depth=2
	s_or_b64 exec, exec, s[18:19]
	v_add_f32_e32 v14, v16, v15
	v_and_b32_e32 v15, 0x7f800000, v14
	v_mov_b32_e32 v16, v35
	v_cmp_ne_u64_e32 vcc, s[46:47], v[15:16]
                                        ; implicit-def: $vgpr33
	s_and_saveexec_b64 s[18:19], vcc
	s_xor_b64 s[76:77], exec, s[18:19]
	s_cbranch_execz .LBB4_4924
; %bb.4911:                             ;   in Loop: Header=BB4_3710 Depth=2
	v_and_b32_e32 v15, 0x7fffffff, v14
	v_mov_b32_e32 v16, v35
	v_cmp_gt_u64_e32 vcc, s[56:57], v[15:16]
	v_and_b32_sdwa v28, v14, s50 dst_sel:DWORD dst_unused:UNUSED_PAD src0_sel:BYTE_3 src1_sel:DWORD
                                        ; implicit-def: $vgpr33
	s_and_saveexec_b64 s[18:19], vcc
	s_xor_b64 s[78:79], exec, s[18:19]
	s_cbranch_execz .LBB4_4921
; %bb.4912:                             ;   in Loop: Header=BB4_3710 Depth=2
	v_mov_b32_e32 v33, 0
	v_cmp_ne_u32_e32 vcc, 0, v14
	s_and_saveexec_b64 s[88:89], vcc
	s_cbranch_execz .LBB4_4920
; %bb.4913:                             ;   in Loop: Header=BB4_3710 Depth=2
	v_bfe_u32 v29, v14, 23, 8
	v_and_b32_e32 v15, 0x7fffff, v14
	v_cmp_gt_u32_e64 s[18:19], s51, v29
	v_sub_u32_e32 v14, 0x79, v29
	v_cmp_eq_u32_e32 vcc, 0, v29
	v_cndmask_b32_e64 v14, 0, v14, s[18:19]
	v_or_b32_e32 v16, 0x800000, v15
	v_cndmask_b32_e32 v33, v14, v59, vcc
	v_cndmask_b32_e32 v14, v16, v15, vcc
	v_add_u32_e32 v16, 20, v33
	v_lshlrev_b64 v[42:43], v16, -1
	v_mov_b32_e32 v15, v35
	v_add_u32_e32 v16, 19, v33
	v_bfi_b32 v42, v42, 0, v14
	v_lshlrev_b64 v[44:45], v16, 1
	v_lshrrev_b64 v[14:15], v33, v[14:15]
	v_bfi_b32 v43, v43, 0, 0
	v_cmp_eq_u64_e64 s[18:19], v[42:43], v[44:45]
	v_mov_b32_e32 v16, v15
	v_mov_b32_e32 v15, v14
	s_and_saveexec_b64 s[90:91], s[18:19]
; %bb.4914:                             ;   in Loop: Header=BB4_3710 Depth=2
	v_bfe_u32 v15, v14, 20, 1
	v_add_co_u32_e64 v15, s[18:19], v14, v15
	v_add_co_u32_e64 v15, s[18:19], -1, v15
; %bb.4915:                             ;   in Loop: Header=BB4_3710 Depth=2
	s_or_b64 exec, exec, s[90:91]
	v_add_u32_e32 v16, 0xffffff81, v29
	v_cndmask_b32_e32 v16, v16, v60, vcc
	v_lshrrev_b32_e32 v29, 23, v14
	v_add3_u32 v33, v33, v16, v29
	v_add_u32_e32 v29, 6, v33
	v_and_b32_e32 v15, 0xfffff, v15
	v_add_u32_e32 v14, v15, v14
	v_mov_b32_e32 v15, v35
	v_cmp_ne_u32_e32 vcc, 0, v29
                                        ; implicit-def: $vgpr16
	s_and_saveexec_b64 s[18:19], vcc
	s_xor_b64 s[18:19], exec, s[18:19]
; %bb.4916:                             ;   in Loop: Header=BB4_3710 Depth=2
	v_cmp_lt_u64_e32 vcc, s[58:59], v[14:15]
	v_add_u32_e32 v16, 7, v33
	v_cndmask_b32_e32 v16, v29, v16, vcc
	v_cndmask_b32_e64 v29, 0, 1, vcc
	v_lshrrev_b64 v[14:15], v29, v[14:15]
; %bb.4917:                             ;   in Loop: Header=BB4_3710 Depth=2
	s_andn2_saveexec_b64 s[18:19], s[18:19]
; %bb.4918:                             ;   in Loop: Header=BB4_3710 Depth=2
	v_bfe_u32 v16, v14, 23, 1
; %bb.4919:                             ;   in Loop: Header=BB4_3710 Depth=2
	s_or_b64 exec, exec, s[18:19]
	v_lshrrev_b64 v[14:15], 20, v[14:15]
	v_cmp_gt_i32_e32 vcc, 16, v16
	v_cndmask_b32_e32 v15, 0, v15, vcc
	v_cndmask_b32_e32 v14, 7, v14, vcc
	v_cmp_eq_u64_e64 s[18:19], 0, v[14:15]
	v_min_i32_e32 v15, 15, v16
	v_lshlrev_b32_e32 v15, 3, v15
	v_cmp_eq_u32_e32 vcc, 0, v16
	v_and_b32_e32 v15, 0xf8, v15
	v_and_or_b32 v14, v14, 7, v15
	s_and_b64 s[18:19], vcc, s[18:19]
	v_cndmask_b32_e64 v14, v14, 0, s[18:19]
	v_or_b32_e32 v33, v14, v28
.LBB4_4920:                             ;   in Loop: Header=BB4_3710 Depth=2
	s_or_b64 exec, exec, s[88:89]
                                        ; implicit-def: $vgpr28
.LBB4_4921:                             ;   in Loop: Header=BB4_3710 Depth=2
	s_andn2_saveexec_b64 s[18:19], s[78:79]
; %bb.4922:                             ;   in Loop: Header=BB4_3710 Depth=2
	v_or_b32_e32 v33, 0x7e, v28
; %bb.4923:                             ;   in Loop: Header=BB4_3710 Depth=2
	s_or_b64 exec, exec, s[18:19]
                                        ; implicit-def: $vgpr14
.LBB4_4924:                             ;   in Loop: Header=BB4_3710 Depth=2
	s_andn2_saveexec_b64 s[18:19], s[76:77]
; %bb.4925:                             ;   in Loop: Header=BB4_3710 Depth=2
	v_or_b32_sdwa v33, v14, s39 dst_sel:DWORD dst_unused:UNUSED_PAD src0_sel:BYTE_3 src1_sel:DWORD
; %bb.4926:                             ;   in Loop: Header=BB4_3710 Depth=2
	s_or_b64 exec, exec, s[18:19]
	v_lshrrev_b32_e32 v14, 16, v34
	v_cmp_ne_u16_sdwa s[76:77], v14, v35 src0_sel:BYTE_0 src1_sel:DWORD
	v_mov_b32_e32 v15, 0
	v_mov_b32_e32 v16, 0
	s_and_saveexec_b64 s[18:19], s[76:77]
	s_cbranch_execz .LBB4_4932
; %bb.4927:                             ;   in Loop: Header=BB4_3710 Depth=2
	v_cmp_ne_u16_sdwa s[78:79], v14, s50 src0_sel:BYTE_0 src1_sel:DWORD
	v_bfrev_b32_e32 v16, 1
	s_and_saveexec_b64 s[76:77], s[78:79]
	s_cbranch_execz .LBB4_4931
; %bb.4928:                             ;   in Loop: Header=BB4_3710 Depth=2
	v_bfe_u32 v28, v34, 16, 7
	v_cmp_ne_u32_e32 vcc, s39, v28
	v_mov_b32_e32 v16, 0x7f800001
	s_and_saveexec_b64 s[78:79], vcc
	s_cbranch_execz .LBB4_4930
; %bb.4929:                             ;   in Loop: Header=BB4_3710 Depth=2
	v_and_b32_e32 v16, 7, v14
	v_lshrrev_b32_e32 v48, 3, v28
	v_cmp_gt_u32_e32 vcc, 8, v28
	v_ffbh_u32_e32 v28, v16
	v_min_u32_e32 v51, 32, v28
	v_subrev_u32_e32 v28, 28, v51
	v_lshlrev_b64 v[28:29], v28, v[14:15]
	v_sub_u32_e32 v29, 29, v51
	v_and_b32_e32 v28, 7, v28
	v_cndmask_b32_e32 v29, v48, v29, vcc
	v_cndmask_b32_e32 v16, v16, v28, vcc
	v_lshlrev_b32_e32 v14, 24, v14
	v_lshlrev_b32_e32 v16, 20, v16
	v_and_b32_e32 v14, 0x80000000, v14
	v_lshl_add_u32 v28, v29, 23, v58
	v_or3_b32 v16, v14, v28, v16
.LBB4_4930:                             ;   in Loop: Header=BB4_3710 Depth=2
	s_or_b64 exec, exec, s[78:79]
.LBB4_4931:                             ;   in Loop: Header=BB4_3710 Depth=2
	s_or_b64 exec, exec, s[76:77]
.LBB4_4932:                             ;   in Loop: Header=BB4_3710 Depth=2
	s_or_b64 exec, exec, s[18:19]
	v_lshrrev_b32_e32 v14, 16, v10
	v_cmp_ne_u16_sdwa s[76:77], v14, v35 src0_sel:BYTE_0 src1_sel:DWORD
	s_and_saveexec_b64 s[18:19], s[76:77]
	s_cbranch_execz .LBB4_4938
; %bb.4933:                             ;   in Loop: Header=BB4_3710 Depth=2
	v_cmp_ne_u16_sdwa s[78:79], v14, s50 src0_sel:BYTE_0 src1_sel:DWORD
	v_bfrev_b32_e32 v15, 1
	s_and_saveexec_b64 s[76:77], s[78:79]
	s_cbranch_execz .LBB4_4937
; %bb.4934:                             ;   in Loop: Header=BB4_3710 Depth=2
	v_bfe_u32 v28, v10, 16, 7
	v_cmp_ne_u32_e32 vcc, s39, v28
	v_mov_b32_e32 v15, 0x7f800001
	s_and_saveexec_b64 s[78:79], vcc
	s_cbranch_execz .LBB4_4936
; %bb.4935:                             ;   in Loop: Header=BB4_3710 Depth=2
	v_and_b32_e32 v29, 7, v14
	v_ffbh_u32_e32 v15, v29
	v_lshrrev_b32_e32 v48, 3, v28
	v_cmp_gt_u32_e32 vcc, 8, v28
	v_min_u32_e32 v28, 32, v15
	v_subrev_u32_e32 v15, 28, v28
	v_lshlrev_b64 v[14:15], v15, v[14:15]
	v_sub_u32_e32 v15, 29, v28
	v_and_b32_e32 v14, 7, v14
	v_cndmask_b32_e32 v15, v48, v15, vcc
	v_cndmask_b32_e32 v14, v29, v14, vcc
	v_lshlrev_b32_e32 v28, 8, v10
	v_lshlrev_b32_e32 v14, 20, v14
	v_and_b32_e32 v28, 0x80000000, v28
	v_lshl_add_u32 v15, v15, 23, v58
	v_or3_b32 v15, v28, v15, v14
.LBB4_4936:                             ;   in Loop: Header=BB4_3710 Depth=2
	s_or_b64 exec, exec, s[78:79]
.LBB4_4937:                             ;   in Loop: Header=BB4_3710 Depth=2
	s_or_b64 exec, exec, s[76:77]
.LBB4_4938:                             ;   in Loop: Header=BB4_3710 Depth=2
	s_or_b64 exec, exec, s[18:19]
	v_add_f32_e32 v14, v16, v15
	v_and_b32_e32 v15, 0x7f800000, v14
	v_mov_b32_e32 v16, v35
	v_cmp_ne_u64_e32 vcc, s[46:47], v[15:16]
                                        ; implicit-def: $vgpr48
	s_and_saveexec_b64 s[18:19], vcc
	s_xor_b64 s[76:77], exec, s[18:19]
	s_cbranch_execz .LBB4_4952
; %bb.4939:                             ;   in Loop: Header=BB4_3710 Depth=2
	v_and_b32_e32 v15, 0x7fffffff, v14
	v_mov_b32_e32 v16, v35
	v_cmp_gt_u64_e32 vcc, s[56:57], v[15:16]
	v_and_b32_sdwa v28, v14, s50 dst_sel:DWORD dst_unused:UNUSED_PAD src0_sel:BYTE_3 src1_sel:DWORD
                                        ; implicit-def: $vgpr48
	s_and_saveexec_b64 s[18:19], vcc
	s_xor_b64 s[78:79], exec, s[18:19]
	s_cbranch_execz .LBB4_4949
; %bb.4940:                             ;   in Loop: Header=BB4_3710 Depth=2
	v_mov_b32_e32 v48, 0
	v_cmp_ne_u32_e32 vcc, 0, v14
	s_and_saveexec_b64 s[88:89], vcc
	s_cbranch_execz .LBB4_4948
; %bb.4941:                             ;   in Loop: Header=BB4_3710 Depth=2
	v_bfe_u32 v29, v14, 23, 8
	v_and_b32_e32 v15, 0x7fffff, v14
	v_cmp_gt_u32_e64 s[18:19], s51, v29
	v_sub_u32_e32 v14, 0x79, v29
	v_cmp_eq_u32_e32 vcc, 0, v29
	v_cndmask_b32_e64 v14, 0, v14, s[18:19]
	v_or_b32_e32 v16, 0x800000, v15
	v_cndmask_b32_e32 v48, v14, v59, vcc
	v_cndmask_b32_e32 v14, v16, v15, vcc
	v_add_u32_e32 v16, 20, v48
	v_lshlrev_b64 v[42:43], v16, -1
	v_mov_b32_e32 v15, v35
	v_add_u32_e32 v16, 19, v48
	v_bfi_b32 v42, v42, 0, v14
	v_lshlrev_b64 v[44:45], v16, 1
	v_lshrrev_b64 v[14:15], v48, v[14:15]
	v_bfi_b32 v43, v43, 0, 0
	v_cmp_eq_u64_e64 s[18:19], v[42:43], v[44:45]
	v_mov_b32_e32 v16, v15
	v_mov_b32_e32 v15, v14
	s_and_saveexec_b64 s[90:91], s[18:19]
; %bb.4942:                             ;   in Loop: Header=BB4_3710 Depth=2
	v_bfe_u32 v15, v14, 20, 1
	v_add_co_u32_e64 v15, s[18:19], v14, v15
	v_add_co_u32_e64 v15, s[18:19], -1, v15
; %bb.4943:                             ;   in Loop: Header=BB4_3710 Depth=2
	s_or_b64 exec, exec, s[90:91]
	v_add_u32_e32 v16, 0xffffff81, v29
	v_cndmask_b32_e32 v16, v16, v60, vcc
	v_lshrrev_b32_e32 v29, 23, v14
	v_add3_u32 v48, v48, v16, v29
	v_add_u32_e32 v29, 6, v48
	v_and_b32_e32 v15, 0xfffff, v15
	v_add_u32_e32 v14, v15, v14
	v_mov_b32_e32 v15, v35
	v_cmp_ne_u32_e32 vcc, 0, v29
                                        ; implicit-def: $vgpr16
	s_and_saveexec_b64 s[18:19], vcc
	s_xor_b64 s[18:19], exec, s[18:19]
; %bb.4944:                             ;   in Loop: Header=BB4_3710 Depth=2
	v_cmp_lt_u64_e32 vcc, s[58:59], v[14:15]
	v_add_u32_e32 v16, 7, v48
	v_cndmask_b32_e32 v16, v29, v16, vcc
	v_cndmask_b32_e64 v29, 0, 1, vcc
	v_lshrrev_b64 v[14:15], v29, v[14:15]
; %bb.4945:                             ;   in Loop: Header=BB4_3710 Depth=2
	s_andn2_saveexec_b64 s[18:19], s[18:19]
; %bb.4946:                             ;   in Loop: Header=BB4_3710 Depth=2
	v_bfe_u32 v16, v14, 23, 1
; %bb.4947:                             ;   in Loop: Header=BB4_3710 Depth=2
	s_or_b64 exec, exec, s[18:19]
	v_lshrrev_b64 v[14:15], 20, v[14:15]
	v_cmp_gt_i32_e32 vcc, 16, v16
	v_cndmask_b32_e32 v15, 0, v15, vcc
	v_cndmask_b32_e32 v14, 7, v14, vcc
	v_cmp_eq_u64_e64 s[18:19], 0, v[14:15]
	v_min_i32_e32 v15, 15, v16
	v_lshlrev_b32_e32 v15, 3, v15
	v_cmp_eq_u32_e32 vcc, 0, v16
	v_and_b32_e32 v15, 0xf8, v15
	v_and_or_b32 v14, v14, 7, v15
	s_and_b64 s[18:19], vcc, s[18:19]
	v_cndmask_b32_e64 v14, v14, 0, s[18:19]
	v_or_b32_e32 v48, v14, v28
.LBB4_4948:                             ;   in Loop: Header=BB4_3710 Depth=2
	s_or_b64 exec, exec, s[88:89]
                                        ; implicit-def: $vgpr28
.LBB4_4949:                             ;   in Loop: Header=BB4_3710 Depth=2
	s_andn2_saveexec_b64 s[18:19], s[78:79]
; %bb.4950:                             ;   in Loop: Header=BB4_3710 Depth=2
	v_or_b32_e32 v48, 0x7e, v28
; %bb.4951:                             ;   in Loop: Header=BB4_3710 Depth=2
	s_or_b64 exec, exec, s[18:19]
                                        ; implicit-def: $vgpr14
.LBB4_4952:                             ;   in Loop: Header=BB4_3710 Depth=2
	s_andn2_saveexec_b64 s[18:19], s[76:77]
; %bb.4953:                             ;   in Loop: Header=BB4_3710 Depth=2
	v_or_b32_sdwa v48, v14, s39 dst_sel:DWORD dst_unused:UNUSED_PAD src0_sel:BYTE_3 src1_sel:DWORD
; %bb.4954:                             ;   in Loop: Header=BB4_3710 Depth=2
	s_or_b64 exec, exec, s[18:19]
	v_cmp_lt_u32_e32 vcc, s61, v34
	v_mov_b32_e32 v15, 0
	v_mov_b32_e32 v16, 0
	s_and_saveexec_b64 s[18:19], vcc
	s_cbranch_execz .LBB4_4960
; %bb.4955:                             ;   in Loop: Header=BB4_3710 Depth=2
	v_lshrrev_b32_e32 v14, 24, v34
	v_cmp_ne_u32_sdwa s[78:79], v34, s50 src0_sel:BYTE_3 src1_sel:DWORD
	v_bfrev_b32_e32 v16, 1
	s_and_saveexec_b64 s[76:77], s[78:79]
	s_cbranch_execz .LBB4_4959
; %bb.4956:                             ;   in Loop: Header=BB4_3710 Depth=2
	v_bfe_u32 v28, v34, 24, 7
	v_cmp_ne_u32_e32 vcc, s39, v28
	v_mov_b32_e32 v16, 0x7f800001
	s_and_saveexec_b64 s[78:79], vcc
	s_cbranch_execz .LBB4_4958
; %bb.4957:                             ;   in Loop: Header=BB4_3710 Depth=2
	v_and_b32_e32 v16, 7, v14
	v_lshrrev_b32_e32 v51, 3, v28
	v_cmp_gt_u32_e32 vcc, 8, v28
	v_ffbh_u32_e32 v28, v16
	v_min_u32_e32 v42, 32, v28
	v_subrev_u32_e32 v28, 28, v42
	v_lshlrev_b64 v[28:29], v28, v[14:15]
	v_sub_u32_e32 v14, 29, v42
	v_and_b32_e32 v28, 7, v28
	v_cndmask_b32_e32 v16, v16, v28, vcc
	v_mov_b32_e32 v28, 24
	v_cndmask_b32_e32 v14, v51, v14, vcc
	v_lshlrev_b32_sdwa v28, v28, v34 dst_sel:DWORD dst_unused:UNUSED_PAD src0_sel:DWORD src1_sel:BYTE_3
	v_lshlrev_b32_e32 v16, 20, v16
	v_and_b32_e32 v28, 0x80000000, v28
	v_lshl_add_u32 v14, v14, 23, v58
	v_or3_b32 v16, v28, v14, v16
.LBB4_4958:                             ;   in Loop: Header=BB4_3710 Depth=2
	s_or_b64 exec, exec, s[78:79]
.LBB4_4959:                             ;   in Loop: Header=BB4_3710 Depth=2
	s_or_b64 exec, exec, s[76:77]
.LBB4_4960:                             ;   in Loop: Header=BB4_3710 Depth=2
	s_or_b64 exec, exec, s[18:19]
	v_cmp_lt_u32_e32 vcc, s61, v10
	s_and_saveexec_b64 s[18:19], vcc
	s_cbranch_execz .LBB4_4966
; %bb.4961:                             ;   in Loop: Header=BB4_3710 Depth=2
	v_lshrrev_b32_e32 v14, 24, v10
	v_cmp_ne_u32_e32 vcc, s50, v14
	v_bfrev_b32_e32 v15, 1
	s_and_saveexec_b64 s[76:77], vcc
	s_cbranch_execz .LBB4_4965
; %bb.4962:                             ;   in Loop: Header=BB4_3710 Depth=2
	v_bfe_u32 v28, v10, 24, 7
	v_cmp_ne_u32_e32 vcc, s39, v28
	v_mov_b32_e32 v15, 0x7f800001
	s_and_saveexec_b64 s[78:79], vcc
	s_cbranch_execz .LBB4_4964
; %bb.4963:                             ;   in Loop: Header=BB4_3710 Depth=2
	v_and_b32_e32 v15, 7, v14
	v_lshrrev_b32_e32 v34, 3, v28
	v_cmp_gt_u32_e32 vcc, 8, v28
	v_ffbh_u32_e32 v28, v15
	v_min_u32_e32 v51, 32, v28
	v_subrev_u32_e32 v28, 28, v51
	v_lshlrev_b64 v[28:29], v28, v[14:15]
	v_sub_u32_e32 v29, 29, v51
	v_and_b32_e32 v28, 7, v28
	v_cndmask_b32_e32 v29, v34, v29, vcc
	v_cndmask_b32_e32 v15, v15, v28, vcc
	v_lshlrev_b32_e32 v14, 24, v14
	v_lshlrev_b32_e32 v15, 20, v15
	v_and_b32_e32 v14, 0x80000000, v14
	v_lshl_add_u32 v28, v29, 23, v58
	v_or3_b32 v15, v14, v28, v15
.LBB4_4964:                             ;   in Loop: Header=BB4_3710 Depth=2
	s_or_b64 exec, exec, s[78:79]
.LBB4_4965:                             ;   in Loop: Header=BB4_3710 Depth=2
	s_or_b64 exec, exec, s[76:77]
.LBB4_4966:                             ;   in Loop: Header=BB4_3710 Depth=2
	s_or_b64 exec, exec, s[18:19]
	v_add_f32_e32 v14, v16, v15
	v_and_b32_e32 v34, 0x7f800000, v14
	v_cmp_ne_u64_e32 vcc, s[46:47], v[34:35]
                                        ; implicit-def: $vgpr51
	s_and_saveexec_b64 s[18:19], vcc
	s_xor_b64 s[76:77], exec, s[18:19]
	s_cbranch_execz .LBB4_4980
; %bb.4967:                             ;   in Loop: Header=BB4_3710 Depth=2
	v_and_b32_e32 v34, 0x7fffffff, v14
	v_cmp_gt_u64_e32 vcc, s[56:57], v[34:35]
	v_and_b32_sdwa v28, v14, s50 dst_sel:DWORD dst_unused:UNUSED_PAD src0_sel:BYTE_3 src1_sel:DWORD
                                        ; implicit-def: $vgpr51
	s_and_saveexec_b64 s[18:19], vcc
	s_xor_b64 s[78:79], exec, s[18:19]
	s_cbranch_execz .LBB4_4977
; %bb.4968:                             ;   in Loop: Header=BB4_3710 Depth=2
	v_mov_b32_e32 v51, 0
	v_cmp_ne_u32_e32 vcc, 0, v14
	s_and_saveexec_b64 s[88:89], vcc
	s_cbranch_execz .LBB4_4976
; %bb.4969:                             ;   in Loop: Header=BB4_3710 Depth=2
	v_bfe_u32 v29, v14, 23, 8
	v_and_b32_e32 v15, 0x7fffff, v14
	v_cmp_gt_u32_e64 s[18:19], s51, v29
	v_sub_u32_e32 v14, 0x79, v29
	v_cmp_eq_u32_e32 vcc, 0, v29
	v_cndmask_b32_e64 v14, 0, v14, s[18:19]
	v_cndmask_b32_e32 v51, v14, v59, vcc
	v_or_b32_e32 v16, 0x800000, v15
	v_add_u32_e32 v14, 20, v51
	v_cndmask_b32_e32 v34, v16, v15, vcc
	v_lshlrev_b64 v[14:15], v14, -1
	v_add_u32_e32 v16, 19, v51
	v_lshlrev_b64 v[42:43], v16, 1
	v_bfi_b32 v15, v15, 0, 0
	v_bfi_b32 v14, v14, 0, v34
	v_cmp_eq_u64_e64 s[18:19], v[14:15], v[42:43]
	v_lshrrev_b64 v[14:15], v51, v[34:35]
	v_mov_b32_e32 v16, v15
	v_mov_b32_e32 v15, v14
	s_and_saveexec_b64 s[90:91], s[18:19]
; %bb.4970:                             ;   in Loop: Header=BB4_3710 Depth=2
	v_bfe_u32 v15, v14, 20, 1
	v_add_co_u32_e64 v15, s[18:19], v14, v15
	v_add_co_u32_e64 v15, s[18:19], -1, v15
; %bb.4971:                             ;   in Loop: Header=BB4_3710 Depth=2
	s_or_b64 exec, exec, s[90:91]
	v_add_u32_e32 v16, 0xffffff81, v29
	v_cndmask_b32_e32 v16, v16, v60, vcc
	v_lshrrev_b32_e32 v29, 23, v14
	v_add3_u32 v51, v51, v16, v29
	v_add_u32_e32 v29, 6, v51
	v_and_b32_e32 v15, 0xfffff, v15
	v_add_u32_e32 v34, v15, v14
	v_cmp_ne_u32_e32 vcc, 0, v29
                                        ; implicit-def: $vgpr14_vgpr15
                                        ; implicit-def: $vgpr16
	s_and_saveexec_b64 s[18:19], vcc
	s_xor_b64 s[18:19], exec, s[18:19]
; %bb.4972:                             ;   in Loop: Header=BB4_3710 Depth=2
	v_cmp_lt_u64_e32 vcc, s[58:59], v[34:35]
	v_add_u32_e32 v14, 7, v51
	v_cndmask_b32_e32 v16, v29, v14, vcc
	v_cndmask_b32_e64 v14, 0, 1, vcc
	v_lshrrev_b64 v[14:15], v14, v[34:35]
; %bb.4973:                             ;   in Loop: Header=BB4_3710 Depth=2
	s_andn2_saveexec_b64 s[18:19], s[18:19]
; %bb.4974:                             ;   in Loop: Header=BB4_3710 Depth=2
	v_mov_b32_e32 v14, v34
	v_bfe_u32 v16, v34, 23, 1
	v_mov_b32_e32 v15, v35
; %bb.4975:                             ;   in Loop: Header=BB4_3710 Depth=2
	s_or_b64 exec, exec, s[18:19]
	v_lshrrev_b64 v[14:15], 20, v[14:15]
	v_cmp_gt_i32_e32 vcc, 16, v16
	v_cndmask_b32_e32 v15, 0, v15, vcc
	v_cndmask_b32_e32 v14, 7, v14, vcc
	v_cmp_eq_u64_e64 s[18:19], 0, v[14:15]
	v_min_i32_e32 v15, 15, v16
	v_lshlrev_b32_e32 v15, 3, v15
	v_cmp_eq_u32_e32 vcc, 0, v16
	v_and_b32_e32 v15, 0xf8, v15
	v_and_or_b32 v14, v14, 7, v15
	s_and_b64 s[18:19], vcc, s[18:19]
	v_cndmask_b32_e64 v14, v14, 0, s[18:19]
	v_or_b32_e32 v51, v14, v28
.LBB4_4976:                             ;   in Loop: Header=BB4_3710 Depth=2
	s_or_b64 exec, exec, s[88:89]
                                        ; implicit-def: $vgpr28
.LBB4_4977:                             ;   in Loop: Header=BB4_3710 Depth=2
	s_andn2_saveexec_b64 s[18:19], s[78:79]
; %bb.4978:                             ;   in Loop: Header=BB4_3710 Depth=2
	v_or_b32_e32 v51, 0x7e, v28
; %bb.4979:                             ;   in Loop: Header=BB4_3710 Depth=2
	s_or_b64 exec, exec, s[18:19]
                                        ; implicit-def: $vgpr14
.LBB4_4980:                             ;   in Loop: Header=BB4_3710 Depth=2
	s_andn2_saveexec_b64 s[18:19], s[76:77]
; %bb.4981:                             ;   in Loop: Header=BB4_3710 Depth=2
	v_or_b32_sdwa v51, v14, s39 dst_sel:DWORD dst_unused:UNUSED_PAD src0_sel:BYTE_3 src1_sel:DWORD
; %bb.4982:                             ;   in Loop: Header=BB4_3710 Depth=2
	s_or_b64 exec, exec, s[18:19]
	v_lshl_or_b32 v24, v24, 8, v7
	v_lshlrev_b32_e32 v14, 16, v56
	v_lshlrev_b32_e32 v15, 24, v49
	v_or3_b32 v34, v14, v15, v24
	v_cmp_ne_u32_e32 vcc, 0, v7
	v_mov_b32_e32 v15, 0
	v_mov_b32_e32 v14, 0
	s_and_saveexec_b64 s[18:19], vcc
	s_cbranch_execz .LBB4_4988
; %bb.4983:                             ;   in Loop: Header=BB4_3710 Depth=2
	v_cmp_ne_u32_e32 vcc, s50, v7
	v_bfrev_b32_e32 v14, 1
	s_and_saveexec_b64 s[76:77], vcc
	s_cbranch_execz .LBB4_4987
; %bb.4984:                             ;   in Loop: Header=BB4_3710 Depth=2
	v_and_b32_e32 v16, 0x7f, v7
	v_cmp_ne_u32_e32 vcc, s39, v16
	v_mov_b32_e32 v14, 0x7f800001
	s_and_saveexec_b64 s[78:79], vcc
	s_cbranch_execz .LBB4_4986
; %bb.4985:                             ;   in Loop: Header=BB4_3710 Depth=2
	v_and_b32_e32 v7, 7, v7
	v_ffbh_u32_e32 v7, v7
	v_min_u32_e32 v7, 32, v7
	v_lshrrev_b32_e32 v14, 3, v16
	v_cmp_gt_u32_e32 vcc, 8, v16
	v_subrev_u32_e32 v16, 28, v7
	v_sub_u32_e32 v7, 29, v7
	v_cndmask_b32_e32 v7, v14, v7, vcc
	v_cndmask_b32_e32 v14, 0, v16, vcc
	v_lshlrev_b64 v[28:29], v14, v[34:35]
	v_lshlrev_b32_e32 v16, 24, v34
	v_lshlrev_b32_e32 v14, 20, v28
	v_and_b32_e32 v14, 0x700000, v14
	v_and_b32_e32 v16, 0x80000000, v16
	v_lshl_add_u32 v7, v7, 23, v58
	v_or3_b32 v14, v16, v7, v14
.LBB4_4986:                             ;   in Loop: Header=BB4_3710 Depth=2
	s_or_b64 exec, exec, s[78:79]
.LBB4_4987:                             ;   in Loop: Header=BB4_3710 Depth=2
	s_or_b64 exec, exec, s[76:77]
.LBB4_4988:                             ;   in Loop: Header=BB4_3710 Depth=2
	s_or_b64 exec, exec, s[18:19]
	v_cmp_ne_u16_sdwa s[76:77], v11, v35 src0_sel:BYTE_0 src1_sel:DWORD
	s_and_saveexec_b64 s[18:19], s[76:77]
	s_cbranch_execz .LBB4_4994
; %bb.4989:                             ;   in Loop: Header=BB4_3710 Depth=2
	v_cmp_ne_u16_sdwa s[78:79], v11, s50 src0_sel:BYTE_0 src1_sel:DWORD
	v_bfrev_b32_e32 v15, 1
	s_and_saveexec_b64 s[76:77], s[78:79]
	s_cbranch_execz .LBB4_4993
; %bb.4990:                             ;   in Loop: Header=BB4_3710 Depth=2
	v_and_b32_e32 v7, 0x7f, v11
	v_cmp_ne_u32_e32 vcc, s39, v7
	v_mov_b32_e32 v15, 0x7f800001
	s_and_saveexec_b64 s[78:79], vcc
	s_cbranch_execz .LBB4_4992
; %bb.4991:                             ;   in Loop: Header=BB4_3710 Depth=2
	v_and_b32_e32 v28, 7, v11
	v_lshrrev_b32_e32 v29, 3, v7
	v_cmp_gt_u32_e32 vcc, 8, v7
	v_ffbh_u32_e32 v7, v28
	v_min_u32_e32 v7, 32, v7
	v_subrev_u32_e32 v28, 28, v7
	v_mov_b32_e32 v15, v11
	v_mov_b32_e32 v16, v35
	v_sub_u32_e32 v7, 29, v7
	v_cndmask_b32_e32 v28, 0, v28, vcc
	v_cndmask_b32_e32 v7, v29, v7, vcc
	v_lshlrev_b64 v[28:29], v28, v[15:16]
	v_lshlrev_b32_e32 v15, 24, v15
	v_lshlrev_b32_e32 v16, 20, v28
	v_and_b32_e32 v16, 0x700000, v16
	v_and_b32_e32 v15, 0x80000000, v15
	v_lshl_add_u32 v7, v7, 23, v58
	v_or3_b32 v15, v15, v7, v16
.LBB4_4992:                             ;   in Loop: Header=BB4_3710 Depth=2
	s_or_b64 exec, exec, s[78:79]
.LBB4_4993:                             ;   in Loop: Header=BB4_3710 Depth=2
	s_or_b64 exec, exec, s[76:77]
.LBB4_4994:                             ;   in Loop: Header=BB4_3710 Depth=2
	s_or_b64 exec, exec, s[18:19]
	v_add_f32_e32 v14, v14, v15
	v_and_b32_e32 v15, 0x7f800000, v14
	v_mov_b32_e32 v16, v35
	v_cmp_ne_u64_e32 vcc, s[46:47], v[15:16]
                                        ; implicit-def: $vgpr7
	s_and_saveexec_b64 s[18:19], vcc
	s_xor_b64 s[76:77], exec, s[18:19]
	s_cbranch_execz .LBB4_5008
; %bb.4995:                             ;   in Loop: Header=BB4_3710 Depth=2
	v_and_b32_e32 v15, 0x7fffffff, v14
	v_mov_b32_e32 v16, v35
	v_cmp_gt_u64_e32 vcc, s[56:57], v[15:16]
	v_and_b32_sdwa v28, v14, s50 dst_sel:DWORD dst_unused:UNUSED_PAD src0_sel:BYTE_3 src1_sel:DWORD
                                        ; implicit-def: $vgpr7
	s_and_saveexec_b64 s[18:19], vcc
	s_xor_b64 s[78:79], exec, s[18:19]
	s_cbranch_execz .LBB4_5005
; %bb.4996:                             ;   in Loop: Header=BB4_3710 Depth=2
	v_mov_b32_e32 v7, 0
	v_cmp_ne_u32_e32 vcc, 0, v14
	s_and_saveexec_b64 s[88:89], vcc
	s_cbranch_execz .LBB4_5004
; %bb.4997:                             ;   in Loop: Header=BB4_3710 Depth=2
	v_bfe_u32 v7, v14, 23, 8
	v_and_b32_e32 v15, 0x7fffff, v14
	v_cmp_gt_u32_e64 s[18:19], s51, v7
	v_sub_u32_e32 v14, 0x79, v7
	v_cmp_eq_u32_e32 vcc, 0, v7
	v_cndmask_b32_e64 v14, 0, v14, s[18:19]
	v_or_b32_e32 v16, 0x800000, v15
	v_cndmask_b32_e32 v29, v14, v59, vcc
	v_cndmask_b32_e32 v14, v16, v15, vcc
	v_add_u32_e32 v16, 20, v29
	v_lshlrev_b64 v[42:43], v16, -1
	v_mov_b32_e32 v15, v35
	v_add_u32_e32 v16, 19, v29
	v_bfi_b32 v42, v42, 0, v14
	v_lshlrev_b64 v[44:45], v16, 1
	v_lshrrev_b64 v[14:15], v29, v[14:15]
	v_bfi_b32 v43, v43, 0, 0
	v_cmp_eq_u64_e64 s[18:19], v[42:43], v[44:45]
	v_mov_b32_e32 v16, v15
	v_mov_b32_e32 v15, v14
	s_and_saveexec_b64 s[90:91], s[18:19]
; %bb.4998:                             ;   in Loop: Header=BB4_3710 Depth=2
	v_bfe_u32 v15, v14, 20, 1
	v_add_co_u32_e64 v15, s[18:19], v14, v15
	v_add_co_u32_e64 v15, s[18:19], -1, v15
; %bb.4999:                             ;   in Loop: Header=BB4_3710 Depth=2
	s_or_b64 exec, exec, s[90:91]
	v_add_u32_e32 v7, 0xffffff81, v7
	v_cndmask_b32_e32 v7, v7, v60, vcc
	v_lshrrev_b32_e32 v16, 23, v14
	v_add3_u32 v29, v29, v7, v16
	v_add_u32_e32 v16, 6, v29
	v_and_b32_e32 v7, 0xfffff, v15
	v_add_u32_e32 v14, v7, v14
	v_mov_b32_e32 v15, v35
	v_cmp_ne_u32_e32 vcc, 0, v16
                                        ; implicit-def: $vgpr7
	s_and_saveexec_b64 s[18:19], vcc
	s_xor_b64 s[18:19], exec, s[18:19]
; %bb.5000:                             ;   in Loop: Header=BB4_3710 Depth=2
	v_cmp_lt_u64_e32 vcc, s[58:59], v[14:15]
	v_add_u32_e32 v7, 7, v29
	v_cndmask_b32_e32 v7, v16, v7, vcc
	v_cndmask_b32_e64 v16, 0, 1, vcc
	v_lshrrev_b64 v[14:15], v16, v[14:15]
; %bb.5001:                             ;   in Loop: Header=BB4_3710 Depth=2
	s_andn2_saveexec_b64 s[18:19], s[18:19]
; %bb.5002:                             ;   in Loop: Header=BB4_3710 Depth=2
	v_bfe_u32 v7, v14, 23, 1
; %bb.5003:                             ;   in Loop: Header=BB4_3710 Depth=2
	s_or_b64 exec, exec, s[18:19]
	v_lshrrev_b64 v[14:15], 20, v[14:15]
	v_cmp_gt_i32_e32 vcc, 16, v7
	v_cndmask_b32_e32 v15, 0, v15, vcc
	v_cndmask_b32_e32 v14, 7, v14, vcc
	v_cmp_eq_u32_e32 vcc, 0, v7
	v_min_i32_e32 v7, 15, v7
	v_cmp_eq_u64_e64 s[18:19], 0, v[14:15]
	v_lshlrev_b32_e32 v7, 3, v7
	v_and_b32_e32 v7, 0xf8, v7
	v_and_or_b32 v7, v14, 7, v7
	s_and_b64 s[18:19], vcc, s[18:19]
	v_cndmask_b32_e64 v7, v7, 0, s[18:19]
	v_or_b32_e32 v7, v7, v28
.LBB4_5004:                             ;   in Loop: Header=BB4_3710 Depth=2
	s_or_b64 exec, exec, s[88:89]
                                        ; implicit-def: $vgpr28
.LBB4_5005:                             ;   in Loop: Header=BB4_3710 Depth=2
	s_andn2_saveexec_b64 s[18:19], s[78:79]
; %bb.5006:                             ;   in Loop: Header=BB4_3710 Depth=2
	v_or_b32_e32 v7, 0x7e, v28
; %bb.5007:                             ;   in Loop: Header=BB4_3710 Depth=2
	s_or_b64 exec, exec, s[18:19]
                                        ; implicit-def: $vgpr14
.LBB4_5008:                             ;   in Loop: Header=BB4_3710 Depth=2
	s_andn2_saveexec_b64 s[18:19], s[76:77]
; %bb.5009:                             ;   in Loop: Header=BB4_3710 Depth=2
	v_or_b32_sdwa v7, v14, s39 dst_sel:DWORD dst_unused:UNUSED_PAD src0_sel:BYTE_3 src1_sel:DWORD
; %bb.5010:                             ;   in Loop: Header=BB4_3710 Depth=2
	s_or_b64 exec, exec, s[18:19]
	v_lshrrev_b16_e32 v14, 8, v24
	v_cmp_ne_u16_e32 vcc, 0, v14
	v_mov_b32_e32 v15, 0
	v_mov_b32_e32 v16, 0
	s_and_saveexec_b64 s[18:19], vcc
	s_cbranch_execz .LBB4_5016
; %bb.5011:                             ;   in Loop: Header=BB4_3710 Depth=2
	v_cmp_ne_u16_e32 vcc, s50, v14
	v_bfrev_b32_e32 v16, 1
	s_and_saveexec_b64 s[76:77], vcc
	s_cbranch_execz .LBB4_5015
; %bb.5012:                             ;   in Loop: Header=BB4_3710 Depth=2
	v_and_b32_e32 v28, 0x7f, v14
	v_cmp_ne_u32_e32 vcc, s39, v28
	v_mov_b32_e32 v16, 0x7f800001
	s_and_saveexec_b64 s[78:79], vcc
	s_cbranch_execz .LBB4_5014
; %bb.5013:                             ;   in Loop: Header=BB4_3710 Depth=2
	v_and_b32_e32 v16, 7, v14
	v_lshrrev_b32_e32 v49, 3, v28
	v_cmp_gt_u32_e32 vcc, 8, v28
	v_ffbh_u32_e32 v28, v16
	v_min_u32_e32 v42, 32, v28
	v_subrev_u32_e32 v28, 28, v42
	v_lshlrev_b64 v[28:29], v28, v[14:15]
	v_sub_u32_e32 v14, 29, v42
	v_and_b32_e32 v28, 7, v28
	v_cndmask_b32_e32 v14, v49, v14, vcc
	v_cndmask_b32_e32 v16, v16, v28, vcc
	v_lshlrev_b32_e32 v24, 16, v24
	v_lshlrev_b32_e32 v16, 20, v16
	v_and_b32_e32 v24, 0x80000000, v24
	v_lshl_add_u32 v14, v14, 23, v58
	v_or3_b32 v16, v24, v14, v16
.LBB4_5014:                             ;   in Loop: Header=BB4_3710 Depth=2
	s_or_b64 exec, exec, s[78:79]
.LBB4_5015:                             ;   in Loop: Header=BB4_3710 Depth=2
	s_or_b64 exec, exec, s[76:77]
.LBB4_5016:                             ;   in Loop: Header=BB4_3710 Depth=2
	s_or_b64 exec, exec, s[18:19]
	v_lshrrev_b16_e32 v14, 8, v11
	v_cmp_ne_u16_e32 vcc, 0, v14
	s_and_saveexec_b64 s[18:19], vcc
	s_cbranch_execz .LBB4_5022
; %bb.5017:                             ;   in Loop: Header=BB4_3710 Depth=2
	v_cmp_ne_u16_e32 vcc, s50, v14
	v_bfrev_b32_e32 v15, 1
	s_and_saveexec_b64 s[76:77], vcc
	s_cbranch_execz .LBB4_5021
; %bb.5018:                             ;   in Loop: Header=BB4_3710 Depth=2
	v_and_b32_e32 v24, 0x7f, v14
	v_cmp_ne_u32_e32 vcc, s39, v24
	v_mov_b32_e32 v15, 0x7f800001
	s_and_saveexec_b64 s[78:79], vcc
	s_cbranch_execz .LBB4_5020
; %bb.5019:                             ;   in Loop: Header=BB4_3710 Depth=2
	v_and_b32_e32 v28, 7, v14
	v_ffbh_u32_e32 v15, v28
	v_lshrrev_b32_e32 v29, 3, v24
	v_cmp_gt_u32_e32 vcc, 8, v24
	v_min_u32_e32 v24, 32, v15
	v_subrev_u32_e32 v15, 28, v24
	v_lshlrev_b64 v[14:15], v15, v[14:15]
	v_sub_u32_e32 v15, 29, v24
	v_and_b32_e32 v14, 7, v14
	v_cndmask_b32_e32 v15, v29, v15, vcc
	v_cndmask_b32_e32 v14, v28, v14, vcc
	v_lshlrev_b32_e32 v24, 16, v11
	v_lshlrev_b32_e32 v14, 20, v14
	v_and_b32_e32 v24, 0x80000000, v24
	v_lshl_add_u32 v15, v15, 23, v58
	v_or3_b32 v15, v24, v15, v14
.LBB4_5020:                             ;   in Loop: Header=BB4_3710 Depth=2
	s_or_b64 exec, exec, s[78:79]
.LBB4_5021:                             ;   in Loop: Header=BB4_3710 Depth=2
	s_or_b64 exec, exec, s[76:77]
.LBB4_5022:                             ;   in Loop: Header=BB4_3710 Depth=2
	s_or_b64 exec, exec, s[18:19]
	v_add_f32_e32 v14, v16, v15
	v_and_b32_e32 v15, 0x7f800000, v14
	v_mov_b32_e32 v16, v35
	v_cmp_ne_u64_e32 vcc, s[46:47], v[15:16]
                                        ; implicit-def: $vgpr24
	s_and_saveexec_b64 s[18:19], vcc
	s_xor_b64 s[76:77], exec, s[18:19]
	s_cbranch_execz .LBB4_5036
; %bb.5023:                             ;   in Loop: Header=BB4_3710 Depth=2
	v_and_b32_e32 v15, 0x7fffffff, v14
	v_mov_b32_e32 v16, v35
	v_cmp_gt_u64_e32 vcc, s[56:57], v[15:16]
	v_and_b32_sdwa v28, v14, s50 dst_sel:DWORD dst_unused:UNUSED_PAD src0_sel:BYTE_3 src1_sel:DWORD
                                        ; implicit-def: $vgpr24
	s_and_saveexec_b64 s[18:19], vcc
	s_xor_b64 s[78:79], exec, s[18:19]
	s_cbranch_execz .LBB4_5033
; %bb.5024:                             ;   in Loop: Header=BB4_3710 Depth=2
	v_mov_b32_e32 v24, 0
	v_cmp_ne_u32_e32 vcc, 0, v14
	s_and_saveexec_b64 s[88:89], vcc
	s_cbranch_execz .LBB4_5032
; %bb.5025:                             ;   in Loop: Header=BB4_3710 Depth=2
	v_bfe_u32 v24, v14, 23, 8
	v_and_b32_e32 v15, 0x7fffff, v14
	v_cmp_gt_u32_e64 s[18:19], s51, v24
	v_sub_u32_e32 v14, 0x79, v24
	v_cmp_eq_u32_e32 vcc, 0, v24
	v_cndmask_b32_e64 v14, 0, v14, s[18:19]
	v_or_b32_e32 v16, 0x800000, v15
	v_cndmask_b32_e32 v29, v14, v59, vcc
	v_cndmask_b32_e32 v14, v16, v15, vcc
	v_add_u32_e32 v16, 20, v29
	v_lshlrev_b64 v[42:43], v16, -1
	v_mov_b32_e32 v15, v35
	v_add_u32_e32 v16, 19, v29
	v_bfi_b32 v42, v42, 0, v14
	v_lshlrev_b64 v[44:45], v16, 1
	v_lshrrev_b64 v[14:15], v29, v[14:15]
	v_bfi_b32 v43, v43, 0, 0
	v_cmp_eq_u64_e64 s[18:19], v[42:43], v[44:45]
	v_mov_b32_e32 v16, v15
	v_mov_b32_e32 v15, v14
	s_and_saveexec_b64 s[90:91], s[18:19]
; %bb.5026:                             ;   in Loop: Header=BB4_3710 Depth=2
	v_bfe_u32 v15, v14, 20, 1
	v_add_co_u32_e64 v15, s[18:19], v14, v15
	v_add_co_u32_e64 v15, s[18:19], -1, v15
; %bb.5027:                             ;   in Loop: Header=BB4_3710 Depth=2
	s_or_b64 exec, exec, s[90:91]
	v_add_u32_e32 v16, 0xffffff81, v24
	v_cndmask_b32_e32 v16, v16, v60, vcc
	v_lshrrev_b32_e32 v24, 23, v14
	v_add3_u32 v29, v29, v16, v24
	v_add_u32_e32 v24, 6, v29
	v_and_b32_e32 v15, 0xfffff, v15
	v_add_u32_e32 v14, v15, v14
	v_mov_b32_e32 v15, v35
	v_cmp_ne_u32_e32 vcc, 0, v24
                                        ; implicit-def: $vgpr16
	s_and_saveexec_b64 s[18:19], vcc
	s_xor_b64 s[18:19], exec, s[18:19]
; %bb.5028:                             ;   in Loop: Header=BB4_3710 Depth=2
	v_cmp_lt_u64_e32 vcc, s[58:59], v[14:15]
	v_add_u32_e32 v16, 7, v29
	v_cndmask_b32_e32 v16, v24, v16, vcc
	v_cndmask_b32_e64 v24, 0, 1, vcc
	v_lshrrev_b64 v[14:15], v24, v[14:15]
; %bb.5029:                             ;   in Loop: Header=BB4_3710 Depth=2
	s_andn2_saveexec_b64 s[18:19], s[18:19]
; %bb.5030:                             ;   in Loop: Header=BB4_3710 Depth=2
	v_bfe_u32 v16, v14, 23, 1
; %bb.5031:                             ;   in Loop: Header=BB4_3710 Depth=2
	s_or_b64 exec, exec, s[18:19]
	v_lshrrev_b64 v[14:15], 20, v[14:15]
	v_cmp_gt_i32_e32 vcc, 16, v16
	v_cndmask_b32_e32 v15, 0, v15, vcc
	v_cndmask_b32_e32 v14, 7, v14, vcc
	v_cmp_eq_u64_e64 s[18:19], 0, v[14:15]
	v_min_i32_e32 v15, 15, v16
	v_lshlrev_b32_e32 v15, 3, v15
	v_cmp_eq_u32_e32 vcc, 0, v16
	v_and_b32_e32 v15, 0xf8, v15
	v_and_or_b32 v14, v14, 7, v15
	s_and_b64 s[18:19], vcc, s[18:19]
	v_cndmask_b32_e64 v14, v14, 0, s[18:19]
	v_or_b32_e32 v24, v14, v28
.LBB4_5032:                             ;   in Loop: Header=BB4_3710 Depth=2
	s_or_b64 exec, exec, s[88:89]
                                        ; implicit-def: $vgpr28
.LBB4_5033:                             ;   in Loop: Header=BB4_3710 Depth=2
	s_andn2_saveexec_b64 s[18:19], s[78:79]
; %bb.5034:                             ;   in Loop: Header=BB4_3710 Depth=2
	v_or_b32_e32 v24, 0x7e, v28
; %bb.5035:                             ;   in Loop: Header=BB4_3710 Depth=2
	s_or_b64 exec, exec, s[18:19]
                                        ; implicit-def: $vgpr14
.LBB4_5036:                             ;   in Loop: Header=BB4_3710 Depth=2
	s_andn2_saveexec_b64 s[18:19], s[76:77]
; %bb.5037:                             ;   in Loop: Header=BB4_3710 Depth=2
	v_or_b32_sdwa v24, v14, s39 dst_sel:DWORD dst_unused:UNUSED_PAD src0_sel:BYTE_3 src1_sel:DWORD
; %bb.5038:                             ;   in Loop: Header=BB4_3710 Depth=2
	s_or_b64 exec, exec, s[18:19]
	v_lshrrev_b32_e32 v14, 16, v34
	v_cmp_ne_u16_sdwa s[76:77], v14, v35 src0_sel:BYTE_0 src1_sel:DWORD
	v_mov_b32_e32 v15, 0
	v_mov_b32_e32 v16, 0
	s_and_saveexec_b64 s[18:19], s[76:77]
	s_cbranch_execz .LBB4_5044
; %bb.5039:                             ;   in Loop: Header=BB4_3710 Depth=2
	v_cmp_ne_u16_sdwa s[78:79], v14, s50 src0_sel:BYTE_0 src1_sel:DWORD
	v_bfrev_b32_e32 v16, 1
	s_and_saveexec_b64 s[76:77], s[78:79]
	s_cbranch_execz .LBB4_5043
; %bb.5040:                             ;   in Loop: Header=BB4_3710 Depth=2
	v_bfe_u32 v28, v34, 16, 7
	v_cmp_ne_u32_e32 vcc, s39, v28
	v_mov_b32_e32 v16, 0x7f800001
	s_and_saveexec_b64 s[78:79], vcc
	s_cbranch_execz .LBB4_5042
; %bb.5041:                             ;   in Loop: Header=BB4_3710 Depth=2
	v_and_b32_e32 v16, 7, v14
	v_lshrrev_b32_e32 v49, 3, v28
	v_cmp_gt_u32_e32 vcc, 8, v28
	v_ffbh_u32_e32 v28, v16
	v_min_u32_e32 v42, 32, v28
	v_subrev_u32_e32 v28, 28, v42
	v_lshlrev_b64 v[28:29], v28, v[14:15]
	v_sub_u32_e32 v29, 29, v42
	v_and_b32_e32 v28, 7, v28
	v_cndmask_b32_e32 v29, v49, v29, vcc
	v_cndmask_b32_e32 v16, v16, v28, vcc
	v_lshlrev_b32_e32 v14, 24, v14
	v_lshlrev_b32_e32 v16, 20, v16
	v_and_b32_e32 v14, 0x80000000, v14
	v_lshl_add_u32 v28, v29, 23, v58
	v_or3_b32 v16, v14, v28, v16
.LBB4_5042:                             ;   in Loop: Header=BB4_3710 Depth=2
	s_or_b64 exec, exec, s[78:79]
.LBB4_5043:                             ;   in Loop: Header=BB4_3710 Depth=2
	s_or_b64 exec, exec, s[76:77]
.LBB4_5044:                             ;   in Loop: Header=BB4_3710 Depth=2
	s_or_b64 exec, exec, s[18:19]
	v_lshrrev_b32_e32 v14, 16, v11
	v_cmp_ne_u16_sdwa s[76:77], v14, v35 src0_sel:BYTE_0 src1_sel:DWORD
	s_and_saveexec_b64 s[18:19], s[76:77]
	s_cbranch_execz .LBB4_5050
; %bb.5045:                             ;   in Loop: Header=BB4_3710 Depth=2
	v_cmp_ne_u16_sdwa s[78:79], v14, s50 src0_sel:BYTE_0 src1_sel:DWORD
	v_bfrev_b32_e32 v15, 1
	s_and_saveexec_b64 s[76:77], s[78:79]
	s_cbranch_execz .LBB4_5049
; %bb.5046:                             ;   in Loop: Header=BB4_3710 Depth=2
	v_bfe_u32 v28, v11, 16, 7
	v_cmp_ne_u32_e32 vcc, s39, v28
	v_mov_b32_e32 v15, 0x7f800001
	s_and_saveexec_b64 s[78:79], vcc
	s_cbranch_execz .LBB4_5048
; %bb.5047:                             ;   in Loop: Header=BB4_3710 Depth=2
	v_and_b32_e32 v29, 7, v14
	v_ffbh_u32_e32 v15, v29
	v_lshrrev_b32_e32 v49, 3, v28
	v_cmp_gt_u32_e32 vcc, 8, v28
	v_min_u32_e32 v28, 32, v15
	v_subrev_u32_e32 v15, 28, v28
	v_lshlrev_b64 v[14:15], v15, v[14:15]
	v_sub_u32_e32 v15, 29, v28
	v_and_b32_e32 v14, 7, v14
	v_cndmask_b32_e32 v15, v49, v15, vcc
	v_cndmask_b32_e32 v14, v29, v14, vcc
	v_lshlrev_b32_e32 v28, 8, v11
	v_lshlrev_b32_e32 v14, 20, v14
	v_and_b32_e32 v28, 0x80000000, v28
	v_lshl_add_u32 v15, v15, 23, v58
	v_or3_b32 v15, v28, v15, v14
.LBB4_5048:                             ;   in Loop: Header=BB4_3710 Depth=2
	s_or_b64 exec, exec, s[78:79]
.LBB4_5049:                             ;   in Loop: Header=BB4_3710 Depth=2
	s_or_b64 exec, exec, s[76:77]
.LBB4_5050:                             ;   in Loop: Header=BB4_3710 Depth=2
	s_or_b64 exec, exec, s[18:19]
	v_add_f32_e32 v14, v16, v15
	v_and_b32_e32 v15, 0x7f800000, v14
	v_mov_b32_e32 v16, v35
	v_cmp_ne_u64_e32 vcc, s[46:47], v[15:16]
                                        ; implicit-def: $vgpr16
	s_and_saveexec_b64 s[18:19], vcc
	s_xor_b64 s[76:77], exec, s[18:19]
	s_cbranch_execz .LBB4_5064
; %bb.5051:                             ;   in Loop: Header=BB4_3710 Depth=2
	v_and_b32_e32 v15, 0x7fffffff, v14
	v_mov_b32_e32 v16, v35
	v_cmp_gt_u64_e32 vcc, s[56:57], v[15:16]
	v_and_b32_sdwa v28, v14, s50 dst_sel:DWORD dst_unused:UNUSED_PAD src0_sel:BYTE_3 src1_sel:DWORD
                                        ; implicit-def: $vgpr16
	s_and_saveexec_b64 s[18:19], vcc
	s_xor_b64 s[78:79], exec, s[18:19]
	s_cbranch_execz .LBB4_5061
; %bb.5052:                             ;   in Loop: Header=BB4_3710 Depth=2
	v_mov_b32_e32 v16, 0
	v_cmp_ne_u32_e32 vcc, 0, v14
	s_and_saveexec_b64 s[88:89], vcc
	s_cbranch_execz .LBB4_5060
; %bb.5053:                             ;   in Loop: Header=BB4_3710 Depth=2
	v_bfe_u32 v29, v14, 23, 8
	v_and_b32_e32 v15, 0x7fffff, v14
	v_cmp_gt_u32_e64 s[18:19], s51, v29
	v_sub_u32_e32 v14, 0x79, v29
	v_cmp_eq_u32_e32 vcc, 0, v29
	v_cndmask_b32_e64 v14, 0, v14, s[18:19]
	v_or_b32_e32 v16, 0x800000, v15
	v_cndmask_b32_e32 v49, v14, v59, vcc
	v_cndmask_b32_e32 v14, v16, v15, vcc
	v_add_u32_e32 v16, 20, v49
	v_lshlrev_b64 v[42:43], v16, -1
	v_mov_b32_e32 v15, v35
	v_add_u32_e32 v16, 19, v49
	v_bfi_b32 v42, v42, 0, v14
	v_lshlrev_b64 v[44:45], v16, 1
	v_lshrrev_b64 v[14:15], v49, v[14:15]
	v_bfi_b32 v43, v43, 0, 0
	v_cmp_eq_u64_e64 s[18:19], v[42:43], v[44:45]
	v_mov_b32_e32 v16, v15
	v_mov_b32_e32 v15, v14
	s_and_saveexec_b64 s[90:91], s[18:19]
; %bb.5054:                             ;   in Loop: Header=BB4_3710 Depth=2
	v_bfe_u32 v15, v14, 20, 1
	v_add_co_u32_e64 v15, s[18:19], v14, v15
	v_add_co_u32_e64 v15, s[18:19], -1, v15
; %bb.5055:                             ;   in Loop: Header=BB4_3710 Depth=2
	s_or_b64 exec, exec, s[90:91]
	v_add_u32_e32 v16, 0xffffff81, v29
	v_cndmask_b32_e32 v16, v16, v60, vcc
	v_lshrrev_b32_e32 v29, 23, v14
	v_add3_u32 v49, v49, v16, v29
	v_add_u32_e32 v29, 6, v49
	v_and_b32_e32 v15, 0xfffff, v15
	v_add_u32_e32 v14, v15, v14
	v_mov_b32_e32 v15, v35
	v_cmp_ne_u32_e32 vcc, 0, v29
                                        ; implicit-def: $vgpr16
	s_and_saveexec_b64 s[18:19], vcc
	s_xor_b64 s[18:19], exec, s[18:19]
; %bb.5056:                             ;   in Loop: Header=BB4_3710 Depth=2
	v_cmp_lt_u64_e32 vcc, s[58:59], v[14:15]
	v_add_u32_e32 v16, 7, v49
	v_cndmask_b32_e32 v16, v29, v16, vcc
	v_cndmask_b32_e64 v29, 0, 1, vcc
	v_lshrrev_b64 v[14:15], v29, v[14:15]
; %bb.5057:                             ;   in Loop: Header=BB4_3710 Depth=2
	s_andn2_saveexec_b64 s[18:19], s[18:19]
; %bb.5058:                             ;   in Loop: Header=BB4_3710 Depth=2
	v_bfe_u32 v16, v14, 23, 1
; %bb.5059:                             ;   in Loop: Header=BB4_3710 Depth=2
	s_or_b64 exec, exec, s[18:19]
	v_lshrrev_b64 v[14:15], 20, v[14:15]
	v_cmp_gt_i32_e32 vcc, 16, v16
	v_cndmask_b32_e32 v15, 0, v15, vcc
	v_cndmask_b32_e32 v14, 7, v14, vcc
	v_cmp_eq_u64_e64 s[18:19], 0, v[14:15]
	v_min_i32_e32 v15, 15, v16
	v_lshlrev_b32_e32 v15, 3, v15
	v_cmp_eq_u32_e32 vcc, 0, v16
	v_and_b32_e32 v15, 0xf8, v15
	v_and_or_b32 v14, v14, 7, v15
	s_and_b64 s[18:19], vcc, s[18:19]
	v_cndmask_b32_e64 v14, v14, 0, s[18:19]
	v_or_b32_e32 v16, v14, v28
.LBB4_5060:                             ;   in Loop: Header=BB4_3710 Depth=2
	s_or_b64 exec, exec, s[88:89]
                                        ; implicit-def: $vgpr28
.LBB4_5061:                             ;   in Loop: Header=BB4_3710 Depth=2
	s_andn2_saveexec_b64 s[18:19], s[78:79]
; %bb.5062:                             ;   in Loop: Header=BB4_3710 Depth=2
	v_or_b32_e32 v16, 0x7e, v28
; %bb.5063:                             ;   in Loop: Header=BB4_3710 Depth=2
	s_or_b64 exec, exec, s[18:19]
                                        ; implicit-def: $vgpr14
.LBB4_5064:                             ;   in Loop: Header=BB4_3710 Depth=2
	s_andn2_saveexec_b64 s[18:19], s[76:77]
; %bb.5065:                             ;   in Loop: Header=BB4_3710 Depth=2
	v_or_b32_sdwa v16, v14, s39 dst_sel:DWORD dst_unused:UNUSED_PAD src0_sel:BYTE_3 src1_sel:DWORD
; %bb.5066:                             ;   in Loop: Header=BB4_3710 Depth=2
	s_or_b64 exec, exec, s[18:19]
	v_cmp_lt_u32_e32 vcc, s61, v34
	v_mov_b32_e32 v15, 0
	v_mov_b32_e32 v28, 0
	s_and_saveexec_b64 s[18:19], vcc
	s_cbranch_execz .LBB4_5072
; %bb.5067:                             ;   in Loop: Header=BB4_3710 Depth=2
	v_lshrrev_b32_e32 v14, 24, v34
	v_cmp_ne_u32_sdwa s[78:79], v34, s50 src0_sel:BYTE_3 src1_sel:DWORD
	v_bfrev_b32_e32 v28, 1
	s_and_saveexec_b64 s[76:77], s[78:79]
	s_cbranch_execz .LBB4_5071
; %bb.5068:                             ;   in Loop: Header=BB4_3710 Depth=2
	v_bfe_u32 v29, v34, 24, 7
	v_cmp_ne_u32_e32 vcc, s39, v29
	v_mov_b32_e32 v28, 0x7f800001
	s_and_saveexec_b64 s[78:79], vcc
	s_cbranch_execz .LBB4_5070
; %bb.5069:                             ;   in Loop: Header=BB4_3710 Depth=2
	v_and_b32_e32 v49, 7, v14
	v_ffbh_u32_e32 v28, v49
	v_min_u32_e32 v43, 32, v28
	v_subrev_u32_e32 v28, 28, v43
	v_lshrrev_b32_e32 v42, 3, v29
	v_cmp_gt_u32_e32 vcc, 8, v29
	v_lshlrev_b64 v[28:29], v28, v[14:15]
	v_sub_u32_e32 v14, 29, v43
	v_and_b32_e32 v28, 7, v28
	v_mov_b32_e32 v29, 24
	v_cndmask_b32_e32 v14, v42, v14, vcc
	v_cndmask_b32_e32 v28, v49, v28, vcc
	v_lshlrev_b32_sdwa v29, v29, v34 dst_sel:DWORD dst_unused:UNUSED_PAD src0_sel:DWORD src1_sel:BYTE_3
	v_lshlrev_b32_e32 v28, 20, v28
	v_and_b32_e32 v29, 0x80000000, v29
	v_lshl_add_u32 v14, v14, 23, v58
	v_or3_b32 v28, v29, v14, v28
.LBB4_5070:                             ;   in Loop: Header=BB4_3710 Depth=2
	s_or_b64 exec, exec, s[78:79]
.LBB4_5071:                             ;   in Loop: Header=BB4_3710 Depth=2
	s_or_b64 exec, exec, s[76:77]
.LBB4_5072:                             ;   in Loop: Header=BB4_3710 Depth=2
	s_or_b64 exec, exec, s[18:19]
	v_cmp_lt_u64_e32 vcc, s[60:61], v[10:11]
	s_and_saveexec_b64 s[18:19], vcc
	s_cbranch_execz .LBB4_5078
; %bb.5073:                             ;   in Loop: Header=BB4_3710 Depth=2
	v_lshrrev_b32_e32 v10, 24, v11
	v_cmp_ne_u32_e32 vcc, s50, v10
	v_bfrev_b32_e32 v15, 1
	s_and_saveexec_b64 s[76:77], vcc
	s_cbranch_execz .LBB4_5077
; %bb.5074:                             ;   in Loop: Header=BB4_3710 Depth=2
	v_bfe_u32 v11, v11, 24, 7
	v_cmp_ne_u32_e32 vcc, s39, v11
	v_mov_b32_e32 v15, 0x7f800001
	s_and_saveexec_b64 s[78:79], vcc
	s_cbranch_execz .LBB4_5076
; %bb.5075:                             ;   in Loop: Header=BB4_3710 Depth=2
	v_and_b32_e32 v29, 7, v10
	v_lshrrev_b32_e32 v34, 3, v11
	v_cmp_gt_u32_e32 vcc, 8, v11
	v_ffbh_u32_e32 v11, v29
	v_min_u32_e32 v11, 32, v11
	v_subrev_u32_e32 v14, 28, v11
	v_lshlrev_b64 v[14:15], v14, v[10:11]
	v_sub_u32_e32 v11, 29, v11
	v_and_b32_e32 v14, 7, v14
	v_cndmask_b32_e32 v11, v34, v11, vcc
	v_cndmask_b32_e32 v14, v29, v14, vcc
	v_lshlrev_b32_e32 v10, 24, v10
	v_lshlrev_b32_e32 v14, 20, v14
	v_and_b32_e32 v10, 0x80000000, v10
	v_lshl_add_u32 v11, v11, 23, v58
	v_or3_b32 v15, v10, v11, v14
.LBB4_5076:                             ;   in Loop: Header=BB4_3710 Depth=2
	s_or_b64 exec, exec, s[78:79]
.LBB4_5077:                             ;   in Loop: Header=BB4_3710 Depth=2
	s_or_b64 exec, exec, s[76:77]
.LBB4_5078:                             ;   in Loop: Header=BB4_3710 Depth=2
	s_or_b64 exec, exec, s[18:19]
	v_add_f32_e32 v10, v28, v15
	v_and_b32_e32 v34, 0x7f800000, v10
	v_cmp_ne_u64_e32 vcc, s[46:47], v[34:35]
                                        ; implicit-def: $vgpr49
	s_and_saveexec_b64 s[18:19], vcc
	s_xor_b64 s[76:77], exec, s[18:19]
	s_cbranch_execz .LBB4_5092
; %bb.5079:                             ;   in Loop: Header=BB4_3710 Depth=2
	v_and_b32_e32 v34, 0x7fffffff, v10
	v_cmp_gt_u64_e32 vcc, s[56:57], v[34:35]
	v_and_b32_sdwa v28, v10, s50 dst_sel:DWORD dst_unused:UNUSED_PAD src0_sel:BYTE_3 src1_sel:DWORD
                                        ; implicit-def: $vgpr49
	s_and_saveexec_b64 s[18:19], vcc
	s_xor_b64 s[78:79], exec, s[18:19]
	s_cbranch_execz .LBB4_5089
; %bb.5080:                             ;   in Loop: Header=BB4_3710 Depth=2
	v_mov_b32_e32 v49, 0
	v_cmp_ne_u32_e32 vcc, 0, v10
	s_and_saveexec_b64 s[88:89], vcc
	s_cbranch_execz .LBB4_5088
; %bb.5081:                             ;   in Loop: Header=BB4_3710 Depth=2
	v_bfe_u32 v29, v10, 23, 8
	v_and_b32_e32 v11, 0x7fffff, v10
	v_cmp_gt_u32_e64 s[18:19], s51, v29
	v_sub_u32_e32 v10, 0x79, v29
	v_cmp_eq_u32_e32 vcc, 0, v29
	v_cndmask_b32_e64 v10, 0, v10, s[18:19]
	v_cndmask_b32_e32 v49, v10, v59, vcc
	v_or_b32_e32 v14, 0x800000, v11
	v_add_u32_e32 v10, 20, v49
	v_cndmask_b32_e32 v34, v14, v11, vcc
	v_lshlrev_b64 v[10:11], v10, -1
	v_add_u32_e32 v14, 19, v49
	v_lshlrev_b64 v[14:15], v14, 1
	v_bfi_b32 v11, v11, 0, 0
	v_bfi_b32 v10, v10, 0, v34
	v_cmp_eq_u64_e64 s[18:19], v[10:11], v[14:15]
	v_lshrrev_b64 v[10:11], v49, v[34:35]
	v_mov_b32_e32 v15, v11
	v_mov_b32_e32 v14, v10
	s_and_saveexec_b64 s[90:91], s[18:19]
; %bb.5082:                             ;   in Loop: Header=BB4_3710 Depth=2
	v_bfe_u32 v11, v10, 20, 1
	v_add_co_u32_e64 v11, s[18:19], v10, v11
	v_add_co_u32_e64 v14, s[18:19], -1, v11
; %bb.5083:                             ;   in Loop: Header=BB4_3710 Depth=2
	s_or_b64 exec, exec, s[90:91]
	v_add_u32_e32 v11, 0xffffff81, v29
	v_cndmask_b32_e32 v11, v11, v60, vcc
	v_lshrrev_b32_e32 v15, 23, v10
	v_add3_u32 v29, v49, v11, v15
	v_add_u32_e32 v15, 6, v29
	v_and_b32_e32 v11, 0xfffff, v14
	v_add_u32_e32 v34, v11, v10
	v_cmp_ne_u32_e32 vcc, 0, v15
                                        ; implicit-def: $vgpr10_vgpr11
                                        ; implicit-def: $vgpr14
	s_and_saveexec_b64 s[18:19], vcc
	s_xor_b64 s[18:19], exec, s[18:19]
; %bb.5084:                             ;   in Loop: Header=BB4_3710 Depth=2
	v_cmp_lt_u64_e32 vcc, s[58:59], v[34:35]
	v_add_u32_e32 v10, 7, v29
	v_cndmask_b32_e32 v14, v15, v10, vcc
	v_cndmask_b32_e64 v10, 0, 1, vcc
	v_lshrrev_b64 v[10:11], v10, v[34:35]
; %bb.5085:                             ;   in Loop: Header=BB4_3710 Depth=2
	s_andn2_saveexec_b64 s[18:19], s[18:19]
; %bb.5086:                             ;   in Loop: Header=BB4_3710 Depth=2
	v_mov_b32_e32 v10, v34
	v_bfe_u32 v14, v34, 23, 1
	v_mov_b32_e32 v11, v35
; %bb.5087:                             ;   in Loop: Header=BB4_3710 Depth=2
	s_or_b64 exec, exec, s[18:19]
	v_lshrrev_b64 v[10:11], 20, v[10:11]
	v_cmp_gt_i32_e32 vcc, 16, v14
	v_cndmask_b32_e32 v11, 0, v11, vcc
	v_cndmask_b32_e32 v10, 7, v10, vcc
	v_cmp_eq_u64_e64 s[18:19], 0, v[10:11]
	v_min_i32_e32 v11, 15, v14
	v_lshlrev_b32_e32 v11, 3, v11
	v_cmp_eq_u32_e32 vcc, 0, v14
	v_and_b32_e32 v11, 0xf8, v11
	v_and_or_b32 v10, v10, 7, v11
	s_and_b64 s[18:19], vcc, s[18:19]
	v_cndmask_b32_e64 v10, v10, 0, s[18:19]
	v_or_b32_e32 v49, v10, v28
.LBB4_5088:                             ;   in Loop: Header=BB4_3710 Depth=2
	s_or_b64 exec, exec, s[88:89]
                                        ; implicit-def: $vgpr28
.LBB4_5089:                             ;   in Loop: Header=BB4_3710 Depth=2
	s_andn2_saveexec_b64 s[18:19], s[78:79]
; %bb.5090:                             ;   in Loop: Header=BB4_3710 Depth=2
	v_or_b32_e32 v49, 0x7e, v28
; %bb.5091:                             ;   in Loop: Header=BB4_3710 Depth=2
	s_or_b64 exec, exec, s[18:19]
                                        ; implicit-def: $vgpr10
.LBB4_5092:                             ;   in Loop: Header=BB4_3710 Depth=2
	s_andn2_saveexec_b64 s[18:19], s[76:77]
; %bb.5093:                             ;   in Loop: Header=BB4_3710 Depth=2
	v_or_b32_sdwa v49, v10, s39 dst_sel:DWORD dst_unused:UNUSED_PAD src0_sel:BYTE_3 src1_sel:DWORD
; %bb.5094:                             ;   in Loop: Header=BB4_3710 Depth=2
	s_or_b64 exec, exec, s[18:19]
	v_lshl_or_b32 v9, v9, 8, v5
	v_lshlrev_b32_e32 v10, 16, v25
	v_lshlrev_b32_e32 v11, 24, v21
	v_or3_b32 v34, v10, v11, v9
	v_cmp_ne_u32_e32 vcc, 0, v5
	v_mov_b32_e32 v10, 0
	v_mov_b32_e32 v11, 0
	s_and_saveexec_b64 s[18:19], vcc
	s_cbranch_execz .LBB4_5100
; %bb.5095:                             ;   in Loop: Header=BB4_3710 Depth=2
	v_cmp_ne_u32_e32 vcc, s50, v5
	v_bfrev_b32_e32 v11, 1
	s_and_saveexec_b64 s[76:77], vcc
	s_cbranch_execz .LBB4_5099
; %bb.5096:                             ;   in Loop: Header=BB4_3710 Depth=2
	v_and_b32_e32 v14, 0x7f, v5
	v_cmp_ne_u32_e32 vcc, s39, v14
	v_mov_b32_e32 v11, 0x7f800001
	s_and_saveexec_b64 s[78:79], vcc
	s_cbranch_execz .LBB4_5098
; %bb.5097:                             ;   in Loop: Header=BB4_3710 Depth=2
	v_and_b32_e32 v5, 7, v5
	v_ffbh_u32_e32 v5, v5
	v_min_u32_e32 v5, 32, v5
	v_lshrrev_b32_e32 v11, 3, v14
	v_cmp_gt_u32_e32 vcc, 8, v14
	v_subrev_u32_e32 v14, 28, v5
	v_sub_u32_e32 v5, 29, v5
	v_cndmask_b32_e32 v5, v11, v5, vcc
	v_cndmask_b32_e32 v11, 0, v14, vcc
	v_lshlrev_b64 v[14:15], v11, v[34:35]
	v_lshl_add_u32 v5, v5, 23, v58
	v_lshlrev_b32_e32 v11, 20, v14
	v_lshlrev_b32_e32 v14, 24, v34
	v_and_b32_e32 v11, 0x700000, v11
	v_and_b32_e32 v14, 0x80000000, v14
	v_or3_b32 v11, v14, v5, v11
.LBB4_5098:                             ;   in Loop: Header=BB4_3710 Depth=2
	s_or_b64 exec, exec, s[78:79]
.LBB4_5099:                             ;   in Loop: Header=BB4_3710 Depth=2
	s_or_b64 exec, exec, s[76:77]
.LBB4_5100:                             ;   in Loop: Header=BB4_3710 Depth=2
	s_or_b64 exec, exec, s[18:19]
	v_cmp_ne_u16_sdwa s[76:77], v12, v35 src0_sel:BYTE_0 src1_sel:DWORD
	s_and_saveexec_b64 s[18:19], s[76:77]
	s_cbranch_execz .LBB4_5106
; %bb.5101:                             ;   in Loop: Header=BB4_3710 Depth=2
	v_cmp_ne_u16_sdwa s[78:79], v12, s50 src0_sel:BYTE_0 src1_sel:DWORD
	v_bfrev_b32_e32 v10, 1
	s_and_saveexec_b64 s[76:77], s[78:79]
	s_cbranch_execz .LBB4_5105
; %bb.5102:                             ;   in Loop: Header=BB4_3710 Depth=2
	v_and_b32_e32 v5, 0x7f, v12
	v_cmp_ne_u32_e32 vcc, s39, v5
	v_mov_b32_e32 v10, 0x7f800001
	s_and_saveexec_b64 s[78:79], vcc
	s_cbranch_execz .LBB4_5104
; %bb.5103:                             ;   in Loop: Header=BB4_3710 Depth=2
	v_and_b32_e32 v10, 7, v12
	v_lshrrev_b32_e32 v14, 3, v5
	v_cmp_gt_u32_e32 vcc, 8, v5
	v_ffbh_u32_e32 v5, v10
	v_min_u32_e32 v5, 32, v5
	v_subrev_u32_e32 v10, 28, v5
	v_sub_u32_e32 v5, 29, v5
	v_cndmask_b32_e32 v10, 0, v10, vcc
	v_cndmask_b32_e32 v5, v14, v5, vcc
	v_lshlrev_b64 v[14:15], v10, v[12:13]
	v_lshl_add_u32 v5, v5, 23, v58
	v_lshlrev_b32_e32 v10, 20, v14
	v_lshlrev_b32_e32 v14, 24, v12
	v_and_b32_e32 v10, 0x700000, v10
	v_and_b32_e32 v14, 0x80000000, v14
	v_or3_b32 v10, v14, v5, v10
.LBB4_5104:                             ;   in Loop: Header=BB4_3710 Depth=2
	s_or_b64 exec, exec, s[78:79]
.LBB4_5105:                             ;   in Loop: Header=BB4_3710 Depth=2
	s_or_b64 exec, exec, s[76:77]
.LBB4_5106:                             ;   in Loop: Header=BB4_3710 Depth=2
	s_or_b64 exec, exec, s[18:19]
	v_add_f32_e32 v10, v11, v10
	v_and_b32_e32 v14, 0x7f800000, v10
	v_mov_b32_e32 v15, v35
	v_cmp_ne_u64_e32 vcc, s[46:47], v[14:15]
                                        ; implicit-def: $vgpr5
	s_and_saveexec_b64 s[18:19], vcc
	s_xor_b64 s[76:77], exec, s[18:19]
	s_cbranch_execz .LBB4_5120
; %bb.5107:                             ;   in Loop: Header=BB4_3710 Depth=2
	v_and_b32_e32 v14, 0x7fffffff, v10
	v_mov_b32_e32 v15, v35
	v_cmp_gt_u64_e32 vcc, s[56:57], v[14:15]
	v_and_b32_sdwa v21, v10, s50 dst_sel:DWORD dst_unused:UNUSED_PAD src0_sel:BYTE_3 src1_sel:DWORD
                                        ; implicit-def: $vgpr5
	s_and_saveexec_b64 s[18:19], vcc
	s_xor_b64 s[78:79], exec, s[18:19]
	s_cbranch_execz .LBB4_5117
; %bb.5108:                             ;   in Loop: Header=BB4_3710 Depth=2
	v_mov_b32_e32 v5, 0
	v_cmp_ne_u32_e32 vcc, 0, v10
	s_and_saveexec_b64 s[88:89], vcc
	s_cbranch_execz .LBB4_5116
; %bb.5109:                             ;   in Loop: Header=BB4_3710 Depth=2
	v_bfe_u32 v5, v10, 23, 8
	v_and_b32_e32 v11, 0x7fffff, v10
	v_cmp_gt_u32_e64 s[18:19], s51, v5
	v_sub_u32_e32 v10, 0x79, v5
	v_cmp_eq_u32_e32 vcc, 0, v5
	v_cndmask_b32_e64 v10, 0, v10, s[18:19]
	v_or_b32_e32 v14, 0x800000, v11
	v_cndmask_b32_e32 v25, v10, v59, vcc
	v_cndmask_b32_e32 v10, v14, v11, vcc
	v_add_u32_e32 v14, 20, v25
	v_lshlrev_b64 v[14:15], v14, -1
	v_mov_b32_e32 v11, v35
	v_add_u32_e32 v28, 19, v25
	v_bfi_b32 v14, v14, 0, v10
	v_lshlrev_b64 v[28:29], v28, 1
	v_lshrrev_b64 v[10:11], v25, v[10:11]
	v_bfi_b32 v15, v15, 0, 0
	v_cmp_eq_u64_e64 s[18:19], v[14:15], v[28:29]
	v_mov_b32_e32 v15, v11
	v_mov_b32_e32 v14, v10
	s_and_saveexec_b64 s[90:91], s[18:19]
; %bb.5110:                             ;   in Loop: Header=BB4_3710 Depth=2
	v_bfe_u32 v11, v10, 20, 1
	v_add_co_u32_e64 v11, s[18:19], v10, v11
	v_add_co_u32_e64 v14, s[18:19], -1, v11
; %bb.5111:                             ;   in Loop: Header=BB4_3710 Depth=2
	s_or_b64 exec, exec, s[90:91]
	v_add_u32_e32 v5, 0xffffff81, v5
	v_cndmask_b32_e32 v5, v5, v60, vcc
	v_lshrrev_b32_e32 v11, 23, v10
	v_add3_u32 v25, v25, v5, v11
	v_add_u32_e32 v15, 6, v25
	v_and_b32_e32 v5, 0xfffff, v14
	v_add_u32_e32 v10, v5, v10
	v_mov_b32_e32 v11, v35
	v_cmp_ne_u32_e32 vcc, 0, v15
                                        ; implicit-def: $vgpr5
	s_and_saveexec_b64 s[18:19], vcc
	s_xor_b64 s[18:19], exec, s[18:19]
; %bb.5112:                             ;   in Loop: Header=BB4_3710 Depth=2
	v_cmp_lt_u64_e32 vcc, s[58:59], v[10:11]
	v_add_u32_e32 v5, 7, v25
	v_cndmask_b32_e64 v14, 0, 1, vcc
	v_lshrrev_b64 v[10:11], v14, v[10:11]
	v_cndmask_b32_e32 v5, v15, v5, vcc
; %bb.5113:                             ;   in Loop: Header=BB4_3710 Depth=2
	s_andn2_saveexec_b64 s[18:19], s[18:19]
; %bb.5114:                             ;   in Loop: Header=BB4_3710 Depth=2
	v_bfe_u32 v5, v10, 23, 1
; %bb.5115:                             ;   in Loop: Header=BB4_3710 Depth=2
	s_or_b64 exec, exec, s[18:19]
	v_lshrrev_b64 v[10:11], 20, v[10:11]
	v_cmp_gt_i32_e32 vcc, 16, v5
	v_cndmask_b32_e32 v11, 0, v11, vcc
	v_cndmask_b32_e32 v10, 7, v10, vcc
	v_cmp_eq_u32_e32 vcc, 0, v5
	v_min_i32_e32 v5, 15, v5
	v_cmp_eq_u64_e64 s[18:19], 0, v[10:11]
	v_lshlrev_b32_e32 v5, 3, v5
	v_and_b32_e32 v5, 0xf8, v5
	v_and_or_b32 v5, v10, 7, v5
	s_and_b64 s[18:19], vcc, s[18:19]
	v_cndmask_b32_e64 v5, v5, 0, s[18:19]
	v_or_b32_e32 v5, v5, v21
.LBB4_5116:                             ;   in Loop: Header=BB4_3710 Depth=2
	s_or_b64 exec, exec, s[88:89]
                                        ; implicit-def: $vgpr21
.LBB4_5117:                             ;   in Loop: Header=BB4_3710 Depth=2
	s_andn2_saveexec_b64 s[18:19], s[78:79]
; %bb.5118:                             ;   in Loop: Header=BB4_3710 Depth=2
	v_or_b32_e32 v5, 0x7e, v21
; %bb.5119:                             ;   in Loop: Header=BB4_3710 Depth=2
	s_or_b64 exec, exec, s[18:19]
                                        ; implicit-def: $vgpr10
.LBB4_5120:                             ;   in Loop: Header=BB4_3710 Depth=2
	s_andn2_saveexec_b64 s[18:19], s[76:77]
; %bb.5121:                             ;   in Loop: Header=BB4_3710 Depth=2
	v_or_b32_sdwa v5, v10, s39 dst_sel:DWORD dst_unused:UNUSED_PAD src0_sel:BYTE_3 src1_sel:DWORD
; %bb.5122:                             ;   in Loop: Header=BB4_3710 Depth=2
	s_or_b64 exec, exec, s[18:19]
	v_lshrrev_b16_e32 v10, 8, v9
	v_cmp_ne_u16_e32 vcc, 0, v10
	v_mov_b32_e32 v11, 0
	v_mov_b32_e32 v14, 0
	s_and_saveexec_b64 s[18:19], vcc
	s_cbranch_execz .LBB4_5128
; %bb.5123:                             ;   in Loop: Header=BB4_3710 Depth=2
	v_cmp_ne_u16_e32 vcc, s50, v10
	v_bfrev_b32_e32 v14, 1
	s_and_saveexec_b64 s[76:77], vcc
	s_cbranch_execz .LBB4_5127
; %bb.5124:                             ;   in Loop: Header=BB4_3710 Depth=2
	v_and_b32_e32 v15, 0x7f, v10
	v_cmp_ne_u32_e32 vcc, s39, v15
	v_mov_b32_e32 v14, 0x7f800001
	s_and_saveexec_b64 s[78:79], vcc
	s_cbranch_execz .LBB4_5126
; %bb.5125:                             ;   in Loop: Header=BB4_3710 Depth=2
	v_and_b32_e32 v21, 7, v10
	v_ffbh_u32_e32 v14, v21
	v_min_u32_e32 v28, 32, v14
	v_subrev_u32_e32 v14, 28, v28
	v_lshrrev_b32_e32 v25, 3, v15
	v_cmp_gt_u32_e32 vcc, 8, v15
	v_lshlrev_b64 v[14:15], v14, v[10:11]
	v_sub_u32_e32 v10, 29, v28
	v_and_b32_e32 v14, 7, v14
	v_cndmask_b32_e32 v10, v25, v10, vcc
	v_cndmask_b32_e32 v14, v21, v14, vcc
	v_lshlrev_b32_e32 v9, 16, v9
	v_lshlrev_b32_e32 v14, 20, v14
	v_and_b32_e32 v9, 0x80000000, v9
	v_lshl_add_u32 v10, v10, 23, v58
	v_or3_b32 v14, v9, v10, v14
.LBB4_5126:                             ;   in Loop: Header=BB4_3710 Depth=2
	s_or_b64 exec, exec, s[78:79]
.LBB4_5127:                             ;   in Loop: Header=BB4_3710 Depth=2
	s_or_b64 exec, exec, s[76:77]
.LBB4_5128:                             ;   in Loop: Header=BB4_3710 Depth=2
	s_or_b64 exec, exec, s[18:19]
	v_lshrrev_b16_e32 v10, 8, v12
	v_cmp_ne_u16_e32 vcc, 0, v10
	s_and_saveexec_b64 s[18:19], vcc
	s_cbranch_execz .LBB4_5134
; %bb.5129:                             ;   in Loop: Header=BB4_3710 Depth=2
	v_cmp_ne_u16_e32 vcc, s50, v10
	v_bfrev_b32_e32 v11, 1
	s_and_saveexec_b64 s[76:77], vcc
	s_cbranch_execz .LBB4_5133
; %bb.5130:                             ;   in Loop: Header=BB4_3710 Depth=2
	v_and_b32_e32 v9, 0x7f, v10
	v_cmp_ne_u32_e32 vcc, s39, v9
	v_mov_b32_e32 v11, 0x7f800001
	s_and_saveexec_b64 s[78:79], vcc
	s_cbranch_execz .LBB4_5132
; %bb.5131:                             ;   in Loop: Header=BB4_3710 Depth=2
	v_and_b32_e32 v11, 7, v10
	v_lshrrev_b32_e32 v15, 3, v9
	v_cmp_gt_u32_e32 vcc, 8, v9
	v_ffbh_u32_e32 v9, v11
	v_min_u32_e32 v21, 32, v9
	v_subrev_u32_e32 v9, 28, v21
	v_lshlrev_b64 v[9:10], v9, v[10:11]
	v_sub_u32_e32 v10, 29, v21
	v_and_b32_e32 v9, 7, v9
	v_cndmask_b32_e32 v10, v15, v10, vcc
	v_cndmask_b32_e32 v9, v11, v9, vcc
	v_lshlrev_b32_e32 v11, 16, v12
	v_lshlrev_b32_e32 v9, 20, v9
	v_and_b32_e32 v11, 0x80000000, v11
	v_lshl_add_u32 v10, v10, 23, v58
	v_or3_b32 v11, v11, v10, v9
.LBB4_5132:                             ;   in Loop: Header=BB4_3710 Depth=2
	s_or_b64 exec, exec, s[78:79]
.LBB4_5133:                             ;   in Loop: Header=BB4_3710 Depth=2
	s_or_b64 exec, exec, s[76:77]
.LBB4_5134:                             ;   in Loop: Header=BB4_3710 Depth=2
	s_or_b64 exec, exec, s[18:19]
	v_add_f32_e32 v10, v14, v11
	v_and_b32_e32 v14, 0x7f800000, v10
	v_mov_b32_e32 v15, v35
	v_cmp_ne_u64_e32 vcc, s[46:47], v[14:15]
                                        ; implicit-def: $vgpr9
	s_and_saveexec_b64 s[18:19], vcc
	s_xor_b64 s[76:77], exec, s[18:19]
	s_cbranch_execz .LBB4_5148
; %bb.5135:                             ;   in Loop: Header=BB4_3710 Depth=2
	v_and_b32_e32 v14, 0x7fffffff, v10
	v_mov_b32_e32 v15, v35
	v_cmp_gt_u64_e32 vcc, s[56:57], v[14:15]
	v_and_b32_sdwa v21, v10, s50 dst_sel:DWORD dst_unused:UNUSED_PAD src0_sel:BYTE_3 src1_sel:DWORD
                                        ; implicit-def: $vgpr9
	s_and_saveexec_b64 s[18:19], vcc
	s_xor_b64 s[78:79], exec, s[18:19]
	s_cbranch_execz .LBB4_5145
; %bb.5136:                             ;   in Loop: Header=BB4_3710 Depth=2
	v_mov_b32_e32 v9, 0
	v_cmp_ne_u32_e32 vcc, 0, v10
	s_and_saveexec_b64 s[88:89], vcc
	s_cbranch_execz .LBB4_5144
; %bb.5137:                             ;   in Loop: Header=BB4_3710 Depth=2
	v_bfe_u32 v9, v10, 23, 8
	v_and_b32_e32 v11, 0x7fffff, v10
	v_cmp_gt_u32_e64 s[18:19], s51, v9
	v_sub_u32_e32 v10, 0x79, v9
	v_cmp_eq_u32_e32 vcc, 0, v9
	v_cndmask_b32_e64 v10, 0, v10, s[18:19]
	v_or_b32_e32 v14, 0x800000, v11
	v_cndmask_b32_e32 v25, v10, v59, vcc
	v_cndmask_b32_e32 v10, v14, v11, vcc
	v_add_u32_e32 v14, 20, v25
	v_lshlrev_b64 v[14:15], v14, -1
	v_mov_b32_e32 v11, v35
	v_add_u32_e32 v28, 19, v25
	v_bfi_b32 v14, v14, 0, v10
	v_lshlrev_b64 v[28:29], v28, 1
	v_lshrrev_b64 v[10:11], v25, v[10:11]
	v_bfi_b32 v15, v15, 0, 0
	v_cmp_eq_u64_e64 s[18:19], v[14:15], v[28:29]
	v_mov_b32_e32 v15, v11
	v_mov_b32_e32 v14, v10
	s_and_saveexec_b64 s[90:91], s[18:19]
; %bb.5138:                             ;   in Loop: Header=BB4_3710 Depth=2
	v_bfe_u32 v11, v10, 20, 1
	v_add_co_u32_e64 v11, s[18:19], v10, v11
	v_add_co_u32_e64 v14, s[18:19], -1, v11
; %bb.5139:                             ;   in Loop: Header=BB4_3710 Depth=2
	s_or_b64 exec, exec, s[90:91]
	v_add_u32_e32 v9, 0xffffff81, v9
	v_cndmask_b32_e32 v9, v9, v60, vcc
	v_lshrrev_b32_e32 v11, 23, v10
	v_add3_u32 v25, v25, v9, v11
	v_add_u32_e32 v15, 6, v25
	v_and_b32_e32 v9, 0xfffff, v14
	v_add_u32_e32 v10, v9, v10
	v_mov_b32_e32 v11, v35
	v_cmp_ne_u32_e32 vcc, 0, v15
                                        ; implicit-def: $vgpr9
	s_and_saveexec_b64 s[18:19], vcc
	s_xor_b64 s[18:19], exec, s[18:19]
; %bb.5140:                             ;   in Loop: Header=BB4_3710 Depth=2
	v_cmp_lt_u64_e32 vcc, s[58:59], v[10:11]
	v_add_u32_e32 v9, 7, v25
	v_cndmask_b32_e64 v14, 0, 1, vcc
	v_lshrrev_b64 v[10:11], v14, v[10:11]
	v_cndmask_b32_e32 v9, v15, v9, vcc
; %bb.5141:                             ;   in Loop: Header=BB4_3710 Depth=2
	s_andn2_saveexec_b64 s[18:19], s[18:19]
; %bb.5142:                             ;   in Loop: Header=BB4_3710 Depth=2
	v_bfe_u32 v9, v10, 23, 1
; %bb.5143:                             ;   in Loop: Header=BB4_3710 Depth=2
	s_or_b64 exec, exec, s[18:19]
	v_lshrrev_b64 v[10:11], 20, v[10:11]
	v_cmp_gt_i32_e32 vcc, 16, v9
	v_cndmask_b32_e32 v11, 0, v11, vcc
	v_cndmask_b32_e32 v10, 7, v10, vcc
	v_cmp_eq_u32_e32 vcc, 0, v9
	v_min_i32_e32 v9, 15, v9
	v_cmp_eq_u64_e64 s[18:19], 0, v[10:11]
	v_lshlrev_b32_e32 v9, 3, v9
	v_and_b32_e32 v9, 0xf8, v9
	v_and_or_b32 v9, v10, 7, v9
	s_and_b64 s[18:19], vcc, s[18:19]
	v_cndmask_b32_e64 v9, v9, 0, s[18:19]
	v_or_b32_e32 v9, v9, v21
.LBB4_5144:                             ;   in Loop: Header=BB4_3710 Depth=2
	s_or_b64 exec, exec, s[88:89]
                                        ; implicit-def: $vgpr21
.LBB4_5145:                             ;   in Loop: Header=BB4_3710 Depth=2
	s_andn2_saveexec_b64 s[18:19], s[78:79]
; %bb.5146:                             ;   in Loop: Header=BB4_3710 Depth=2
	v_or_b32_e32 v9, 0x7e, v21
; %bb.5147:                             ;   in Loop: Header=BB4_3710 Depth=2
	s_or_b64 exec, exec, s[18:19]
                                        ; implicit-def: $vgpr10
.LBB4_5148:                             ;   in Loop: Header=BB4_3710 Depth=2
	s_andn2_saveexec_b64 s[18:19], s[76:77]
; %bb.5149:                             ;   in Loop: Header=BB4_3710 Depth=2
	v_or_b32_sdwa v9, v10, s39 dst_sel:DWORD dst_unused:UNUSED_PAD src0_sel:BYTE_3 src1_sel:DWORD
; %bb.5150:                             ;   in Loop: Header=BB4_3710 Depth=2
	s_or_b64 exec, exec, s[18:19]
	v_lshrrev_b32_e32 v10, 16, v34
	v_cmp_ne_u16_sdwa s[76:77], v10, v35 src0_sel:BYTE_0 src1_sel:DWORD
	v_mov_b32_e32 v11, 0
	v_mov_b32_e32 v14, 0
	s_and_saveexec_b64 s[18:19], s[76:77]
	s_cbranch_execz .LBB4_5156
; %bb.5151:                             ;   in Loop: Header=BB4_3710 Depth=2
	v_cmp_ne_u16_sdwa s[78:79], v10, s50 src0_sel:BYTE_0 src1_sel:DWORD
	v_bfrev_b32_e32 v14, 1
	s_and_saveexec_b64 s[76:77], s[78:79]
	s_cbranch_execz .LBB4_5155
; %bb.5152:                             ;   in Loop: Header=BB4_3710 Depth=2
	v_bfe_u32 v15, v34, 16, 7
	v_cmp_ne_u32_e32 vcc, s39, v15
	v_mov_b32_e32 v14, 0x7f800001
	s_and_saveexec_b64 s[78:79], vcc
	s_cbranch_execz .LBB4_5154
; %bb.5153:                             ;   in Loop: Header=BB4_3710 Depth=2
	v_and_b32_e32 v21, 7, v10
	v_ffbh_u32_e32 v14, v21
	v_min_u32_e32 v28, 32, v14
	v_subrev_u32_e32 v14, 28, v28
	v_lshrrev_b32_e32 v25, 3, v15
	v_cmp_gt_u32_e32 vcc, 8, v15
	v_lshlrev_b64 v[14:15], v14, v[10:11]
	v_sub_u32_e32 v15, 29, v28
	v_and_b32_e32 v14, 7, v14
	v_cndmask_b32_e32 v15, v25, v15, vcc
	v_cndmask_b32_e32 v14, v21, v14, vcc
	v_lshlrev_b32_e32 v10, 24, v10
	v_lshlrev_b32_e32 v14, 20, v14
	v_and_b32_e32 v10, 0x80000000, v10
	v_lshl_add_u32 v15, v15, 23, v58
	v_or3_b32 v14, v10, v15, v14
.LBB4_5154:                             ;   in Loop: Header=BB4_3710 Depth=2
	s_or_b64 exec, exec, s[78:79]
.LBB4_5155:                             ;   in Loop: Header=BB4_3710 Depth=2
	s_or_b64 exec, exec, s[76:77]
.LBB4_5156:                             ;   in Loop: Header=BB4_3710 Depth=2
	s_or_b64 exec, exec, s[18:19]
	v_lshrrev_b32_e32 v10, 16, v12
	v_cmp_ne_u16_sdwa s[76:77], v10, v35 src0_sel:BYTE_0 src1_sel:DWORD
	s_and_saveexec_b64 s[18:19], s[76:77]
	s_cbranch_execz .LBB4_5162
; %bb.5157:                             ;   in Loop: Header=BB4_3710 Depth=2
	v_cmp_ne_u16_sdwa s[78:79], v10, s50 src0_sel:BYTE_0 src1_sel:DWORD
	v_bfrev_b32_e32 v11, 1
	s_and_saveexec_b64 s[76:77], s[78:79]
	s_cbranch_execz .LBB4_5161
; %bb.5158:                             ;   in Loop: Header=BB4_3710 Depth=2
	v_bfe_u32 v15, v12, 16, 7
	v_cmp_ne_u32_e32 vcc, s39, v15
	v_mov_b32_e32 v11, 0x7f800001
	s_and_saveexec_b64 s[78:79], vcc
	s_cbranch_execz .LBB4_5160
; %bb.5159:                             ;   in Loop: Header=BB4_3710 Depth=2
	v_and_b32_e32 v21, 7, v10
	v_ffbh_u32_e32 v11, v21
	v_lshrrev_b32_e32 v25, 3, v15
	v_cmp_gt_u32_e32 vcc, 8, v15
	v_min_u32_e32 v15, 32, v11
	v_subrev_u32_e32 v11, 28, v15
	v_lshlrev_b64 v[10:11], v11, v[10:11]
	v_sub_u32_e32 v11, 29, v15
	v_and_b32_e32 v10, 7, v10
	v_cndmask_b32_e32 v11, v25, v11, vcc
	v_cndmask_b32_e32 v10, v21, v10, vcc
	v_lshlrev_b32_e32 v15, 8, v12
	v_lshlrev_b32_e32 v10, 20, v10
	v_and_b32_e32 v15, 0x80000000, v15
	v_lshl_add_u32 v11, v11, 23, v58
	v_or3_b32 v11, v15, v11, v10
.LBB4_5160:                             ;   in Loop: Header=BB4_3710 Depth=2
	s_or_b64 exec, exec, s[78:79]
.LBB4_5161:                             ;   in Loop: Header=BB4_3710 Depth=2
	s_or_b64 exec, exec, s[76:77]
.LBB4_5162:                             ;   in Loop: Header=BB4_3710 Depth=2
	s_or_b64 exec, exec, s[18:19]
	v_add_f32_e32 v10, v14, v11
	v_and_b32_e32 v14, 0x7f800000, v10
	v_mov_b32_e32 v15, v35
	v_cmp_ne_u64_e32 vcc, s[46:47], v[14:15]
                                        ; implicit-def: $vgpr21
	s_and_saveexec_b64 s[18:19], vcc
	s_xor_b64 s[76:77], exec, s[18:19]
	s_cbranch_execz .LBB4_5176
; %bb.5163:                             ;   in Loop: Header=BB4_3710 Depth=2
	v_and_b32_e32 v14, 0x7fffffff, v10
	v_mov_b32_e32 v15, v35
	v_cmp_gt_u64_e32 vcc, s[56:57], v[14:15]
	v_and_b32_sdwa v25, v10, s50 dst_sel:DWORD dst_unused:UNUSED_PAD src0_sel:BYTE_3 src1_sel:DWORD
                                        ; implicit-def: $vgpr21
	s_and_saveexec_b64 s[18:19], vcc
	s_xor_b64 s[78:79], exec, s[18:19]
	s_cbranch_execz .LBB4_5173
; %bb.5164:                             ;   in Loop: Header=BB4_3710 Depth=2
	v_mov_b32_e32 v21, 0
	v_cmp_ne_u32_e32 vcc, 0, v10
	s_and_saveexec_b64 s[88:89], vcc
	s_cbranch_execz .LBB4_5172
; %bb.5165:                             ;   in Loop: Header=BB4_3710 Depth=2
	v_bfe_u32 v21, v10, 23, 8
	v_and_b32_e32 v11, 0x7fffff, v10
	v_cmp_gt_u32_e64 s[18:19], s51, v21
	v_sub_u32_e32 v10, 0x79, v21
	v_cmp_eq_u32_e32 vcc, 0, v21
	v_cndmask_b32_e64 v10, 0, v10, s[18:19]
	v_or_b32_e32 v14, 0x800000, v11
	v_cndmask_b32_e32 v28, v10, v59, vcc
	v_cndmask_b32_e32 v10, v14, v11, vcc
	v_add_u32_e32 v14, 20, v28
	v_lshlrev_b64 v[14:15], v14, -1
	v_mov_b32_e32 v11, v35
	v_add_u32_e32 v29, 19, v28
	v_bfi_b32 v14, v14, 0, v10
	v_lshlrev_b64 v[42:43], v29, 1
	v_lshrrev_b64 v[10:11], v28, v[10:11]
	v_bfi_b32 v15, v15, 0, 0
	v_cmp_eq_u64_e64 s[18:19], v[14:15], v[42:43]
	v_mov_b32_e32 v15, v11
	v_mov_b32_e32 v14, v10
	s_and_saveexec_b64 s[90:91], s[18:19]
; %bb.5166:                             ;   in Loop: Header=BB4_3710 Depth=2
	v_bfe_u32 v11, v10, 20, 1
	v_add_co_u32_e64 v11, s[18:19], v10, v11
	v_add_co_u32_e64 v14, s[18:19], -1, v11
; %bb.5167:                             ;   in Loop: Header=BB4_3710 Depth=2
	s_or_b64 exec, exec, s[90:91]
	v_add_u32_e32 v11, 0xffffff81, v21
	v_cndmask_b32_e32 v11, v11, v60, vcc
	v_lshrrev_b32_e32 v15, 23, v10
	v_add3_u32 v21, v28, v11, v15
	v_add_u32_e32 v15, 6, v21
	v_and_b32_e32 v11, 0xfffff, v14
	v_add_u32_e32 v10, v11, v10
	v_mov_b32_e32 v11, v35
	v_cmp_ne_u32_e32 vcc, 0, v15
                                        ; implicit-def: $vgpr14
	s_and_saveexec_b64 s[18:19], vcc
	s_xor_b64 s[18:19], exec, s[18:19]
; %bb.5168:                             ;   in Loop: Header=BB4_3710 Depth=2
	v_cmp_lt_u64_e32 vcc, s[58:59], v[10:11]
	v_add_u32_e32 v14, 7, v21
	v_cndmask_b32_e32 v14, v15, v14, vcc
	v_cndmask_b32_e64 v15, 0, 1, vcc
	v_lshrrev_b64 v[10:11], v15, v[10:11]
; %bb.5169:                             ;   in Loop: Header=BB4_3710 Depth=2
	s_andn2_saveexec_b64 s[18:19], s[18:19]
; %bb.5170:                             ;   in Loop: Header=BB4_3710 Depth=2
	v_bfe_u32 v14, v10, 23, 1
; %bb.5171:                             ;   in Loop: Header=BB4_3710 Depth=2
	s_or_b64 exec, exec, s[18:19]
	v_lshrrev_b64 v[10:11], 20, v[10:11]
	v_cmp_gt_i32_e32 vcc, 16, v14
	v_cndmask_b32_e32 v11, 0, v11, vcc
	v_cndmask_b32_e32 v10, 7, v10, vcc
	v_cmp_eq_u64_e64 s[18:19], 0, v[10:11]
	v_min_i32_e32 v11, 15, v14
	v_lshlrev_b32_e32 v11, 3, v11
	v_cmp_eq_u32_e32 vcc, 0, v14
	v_and_b32_e32 v11, 0xf8, v11
	v_and_or_b32 v10, v10, 7, v11
	s_and_b64 s[18:19], vcc, s[18:19]
	v_cndmask_b32_e64 v10, v10, 0, s[18:19]
	v_or_b32_e32 v21, v10, v25
.LBB4_5172:                             ;   in Loop: Header=BB4_3710 Depth=2
	s_or_b64 exec, exec, s[88:89]
                                        ; implicit-def: $vgpr25
.LBB4_5173:                             ;   in Loop: Header=BB4_3710 Depth=2
	s_andn2_saveexec_b64 s[18:19], s[78:79]
; %bb.5174:                             ;   in Loop: Header=BB4_3710 Depth=2
	v_or_b32_e32 v21, 0x7e, v25
; %bb.5175:                             ;   in Loop: Header=BB4_3710 Depth=2
	s_or_b64 exec, exec, s[18:19]
                                        ; implicit-def: $vgpr10
.LBB4_5176:                             ;   in Loop: Header=BB4_3710 Depth=2
	s_andn2_saveexec_b64 s[18:19], s[76:77]
; %bb.5177:                             ;   in Loop: Header=BB4_3710 Depth=2
	v_or_b32_sdwa v21, v10, s39 dst_sel:DWORD dst_unused:UNUSED_PAD src0_sel:BYTE_3 src1_sel:DWORD
; %bb.5178:                             ;   in Loop: Header=BB4_3710 Depth=2
	s_or_b64 exec, exec, s[18:19]
	v_cmp_lt_u32_e32 vcc, s61, v34
	v_mov_b32_e32 v11, 0
	v_mov_b32_e32 v14, 0
	s_and_saveexec_b64 s[18:19], vcc
	s_cbranch_execz .LBB4_5184
; %bb.5179:                             ;   in Loop: Header=BB4_3710 Depth=2
	v_lshrrev_b32_e32 v10, 24, v34
	v_cmp_ne_u32_sdwa s[78:79], v34, s50 src0_sel:BYTE_3 src1_sel:DWORD
	v_bfrev_b32_e32 v14, 1
	s_and_saveexec_b64 s[76:77], s[78:79]
	s_cbranch_execz .LBB4_5183
; %bb.5180:                             ;   in Loop: Header=BB4_3710 Depth=2
	v_bfe_u32 v15, v34, 24, 7
	v_cmp_ne_u32_e32 vcc, s39, v15
	v_mov_b32_e32 v14, 0x7f800001
	s_and_saveexec_b64 s[78:79], vcc
	s_cbranch_execz .LBB4_5182
; %bb.5181:                             ;   in Loop: Header=BB4_3710 Depth=2
	v_and_b32_e32 v25, 7, v10
	v_ffbh_u32_e32 v14, v25
	v_min_u32_e32 v29, 32, v14
	v_subrev_u32_e32 v14, 28, v29
	v_lshrrev_b32_e32 v28, 3, v15
	v_cmp_gt_u32_e32 vcc, 8, v15
	v_lshlrev_b64 v[14:15], v14, v[10:11]
	v_sub_u32_e32 v10, 29, v29
	v_and_b32_e32 v14, 7, v14
	v_mov_b32_e32 v15, 24
	v_cndmask_b32_e32 v10, v28, v10, vcc
	v_cndmask_b32_e32 v14, v25, v14, vcc
	v_lshlrev_b32_sdwa v15, v15, v34 dst_sel:DWORD dst_unused:UNUSED_PAD src0_sel:DWORD src1_sel:BYTE_3
	v_lshlrev_b32_e32 v14, 20, v14
	v_and_b32_e32 v15, 0x80000000, v15
	v_lshl_add_u32 v10, v10, 23, v58
	v_or3_b32 v14, v15, v10, v14
.LBB4_5182:                             ;   in Loop: Header=BB4_3710 Depth=2
	s_or_b64 exec, exec, s[78:79]
.LBB4_5183:                             ;   in Loop: Header=BB4_3710 Depth=2
	s_or_b64 exec, exec, s[76:77]
.LBB4_5184:                             ;   in Loop: Header=BB4_3710 Depth=2
	s_or_b64 exec, exec, s[18:19]
	v_cmp_lt_u32_e32 vcc, s61, v12
	s_and_saveexec_b64 s[18:19], vcc
	s_cbranch_execz .LBB4_5190
; %bb.5185:                             ;   in Loop: Header=BB4_3710 Depth=2
	v_lshrrev_b32_e32 v10, 24, v12
	v_cmp_ne_u32_e32 vcc, s50, v10
	v_bfrev_b32_e32 v11, 1
	s_and_saveexec_b64 s[76:77], vcc
	s_cbranch_execz .LBB4_5189
; %bb.5186:                             ;   in Loop: Header=BB4_3710 Depth=2
	v_bfe_u32 v15, v12, 24, 7
	v_cmp_ne_u32_e32 vcc, s39, v15
	v_mov_b32_e32 v11, 0x7f800001
	s_and_saveexec_b64 s[78:79], vcc
	s_cbranch_execz .LBB4_5188
; %bb.5187:                             ;   in Loop: Header=BB4_3710 Depth=2
	v_and_b32_e32 v11, 7, v10
	v_lshrrev_b32_e32 v25, 3, v15
	v_cmp_gt_u32_e32 vcc, 8, v15
	v_ffbh_u32_e32 v15, v11
	v_min_u32_e32 v15, 32, v15
	v_subrev_u32_e32 v28, 28, v15
	v_lshlrev_b64 v[28:29], v28, v[10:11]
	v_sub_u32_e32 v15, 29, v15
	v_and_b32_e32 v28, 7, v28
	v_cndmask_b32_e32 v15, v25, v15, vcc
	v_cndmask_b32_e32 v11, v11, v28, vcc
	v_lshlrev_b32_e32 v10, 24, v10
	v_lshlrev_b32_e32 v11, 20, v11
	v_and_b32_e32 v10, 0x80000000, v10
	v_lshl_add_u32 v15, v15, 23, v58
	v_or3_b32 v11, v10, v15, v11
.LBB4_5188:                             ;   in Loop: Header=BB4_3710 Depth=2
	s_or_b64 exec, exec, s[78:79]
.LBB4_5189:                             ;   in Loop: Header=BB4_3710 Depth=2
	s_or_b64 exec, exec, s[76:77]
.LBB4_5190:                             ;   in Loop: Header=BB4_3710 Depth=2
	s_or_b64 exec, exec, s[18:19]
	v_add_f32_e32 v10, v14, v11
	v_and_b32_e32 v34, 0x7f800000, v10
	v_cmp_ne_u64_e32 vcc, s[46:47], v[34:35]
                                        ; implicit-def: $vgpr25
	s_and_saveexec_b64 s[18:19], vcc
	s_xor_b64 s[76:77], exec, s[18:19]
	s_cbranch_execz .LBB4_5204
; %bb.5191:                             ;   in Loop: Header=BB4_3710 Depth=2
	v_and_b32_e32 v34, 0x7fffffff, v10
	v_cmp_gt_u64_e32 vcc, s[56:57], v[34:35]
	v_and_b32_sdwa v28, v10, s50 dst_sel:DWORD dst_unused:UNUSED_PAD src0_sel:BYTE_3 src1_sel:DWORD
                                        ; implicit-def: $vgpr25
	s_and_saveexec_b64 s[18:19], vcc
	s_xor_b64 s[78:79], exec, s[18:19]
	s_cbranch_execz .LBB4_5201
; %bb.5192:                             ;   in Loop: Header=BB4_3710 Depth=2
	v_mov_b32_e32 v25, 0
	v_cmp_ne_u32_e32 vcc, 0, v10
	s_and_saveexec_b64 s[88:89], vcc
	s_cbranch_execz .LBB4_5200
; %bb.5193:                             ;   in Loop: Header=BB4_3710 Depth=2
	v_bfe_u32 v25, v10, 23, 8
	v_and_b32_e32 v11, 0x7fffff, v10
	v_cmp_gt_u32_e64 s[18:19], s51, v25
	v_sub_u32_e32 v10, 0x79, v25
	v_cmp_eq_u32_e32 vcc, 0, v25
	v_cndmask_b32_e64 v10, 0, v10, s[18:19]
	v_cndmask_b32_e32 v29, v10, v59, vcc
	v_or_b32_e32 v14, 0x800000, v11
	v_add_u32_e32 v10, 20, v29
	v_cndmask_b32_e32 v34, v14, v11, vcc
	v_lshlrev_b64 v[10:11], v10, -1
	v_add_u32_e32 v14, 19, v29
	v_lshlrev_b64 v[14:15], v14, 1
	v_bfi_b32 v11, v11, 0, 0
	v_bfi_b32 v10, v10, 0, v34
	v_cmp_eq_u64_e64 s[18:19], v[10:11], v[14:15]
	v_lshrrev_b64 v[10:11], v29, v[34:35]
	v_mov_b32_e32 v15, v11
	v_mov_b32_e32 v14, v10
	s_and_saveexec_b64 s[90:91], s[18:19]
; %bb.5194:                             ;   in Loop: Header=BB4_3710 Depth=2
	v_bfe_u32 v11, v10, 20, 1
	v_add_co_u32_e64 v11, s[18:19], v10, v11
	v_add_co_u32_e64 v14, s[18:19], -1, v11
; %bb.5195:                             ;   in Loop: Header=BB4_3710 Depth=2
	s_or_b64 exec, exec, s[90:91]
	v_add_u32_e32 v11, 0xffffff81, v25
	v_cndmask_b32_e32 v11, v11, v60, vcc
	v_lshrrev_b32_e32 v15, 23, v10
	v_add3_u32 v25, v29, v11, v15
	v_add_u32_e32 v15, 6, v25
	v_and_b32_e32 v11, 0xfffff, v14
	v_add_u32_e32 v34, v11, v10
	v_cmp_ne_u32_e32 vcc, 0, v15
                                        ; implicit-def: $vgpr10_vgpr11
                                        ; implicit-def: $vgpr14
	s_and_saveexec_b64 s[18:19], vcc
	s_xor_b64 s[18:19], exec, s[18:19]
; %bb.5196:                             ;   in Loop: Header=BB4_3710 Depth=2
	v_cmp_lt_u64_e32 vcc, s[58:59], v[34:35]
	v_add_u32_e32 v10, 7, v25
	v_cndmask_b32_e32 v14, v15, v10, vcc
	v_cndmask_b32_e64 v10, 0, 1, vcc
	v_lshrrev_b64 v[10:11], v10, v[34:35]
; %bb.5197:                             ;   in Loop: Header=BB4_3710 Depth=2
	s_andn2_saveexec_b64 s[18:19], s[18:19]
; %bb.5198:                             ;   in Loop: Header=BB4_3710 Depth=2
	v_mov_b32_e32 v10, v34
	v_bfe_u32 v14, v34, 23, 1
	v_mov_b32_e32 v11, v35
; %bb.5199:                             ;   in Loop: Header=BB4_3710 Depth=2
	s_or_b64 exec, exec, s[18:19]
	v_lshrrev_b64 v[10:11], 20, v[10:11]
	v_cmp_gt_i32_e32 vcc, 16, v14
	v_cndmask_b32_e32 v11, 0, v11, vcc
	v_cndmask_b32_e32 v10, 7, v10, vcc
	v_cmp_eq_u64_e64 s[18:19], 0, v[10:11]
	v_min_i32_e32 v11, 15, v14
	v_lshlrev_b32_e32 v11, 3, v11
	v_cmp_eq_u32_e32 vcc, 0, v14
	v_and_b32_e32 v11, 0xf8, v11
	v_and_or_b32 v10, v10, 7, v11
	s_and_b64 s[18:19], vcc, s[18:19]
	v_cndmask_b32_e64 v10, v10, 0, s[18:19]
	v_or_b32_e32 v25, v10, v28
.LBB4_5200:                             ;   in Loop: Header=BB4_3710 Depth=2
	s_or_b64 exec, exec, s[88:89]
                                        ; implicit-def: $vgpr28
.LBB4_5201:                             ;   in Loop: Header=BB4_3710 Depth=2
	s_andn2_saveexec_b64 s[18:19], s[78:79]
; %bb.5202:                             ;   in Loop: Header=BB4_3710 Depth=2
	v_or_b32_e32 v25, 0x7e, v28
; %bb.5203:                             ;   in Loop: Header=BB4_3710 Depth=2
	s_or_b64 exec, exec, s[18:19]
                                        ; implicit-def: $vgpr10
.LBB4_5204:                             ;   in Loop: Header=BB4_3710 Depth=2
	s_andn2_saveexec_b64 s[18:19], s[76:77]
; %bb.5205:                             ;   in Loop: Header=BB4_3710 Depth=2
	v_or_b32_sdwa v25, v10, s39 dst_sel:DWORD dst_unused:UNUSED_PAD src0_sel:BYTE_3 src1_sel:DWORD
; %bb.5206:                             ;   in Loop: Header=BB4_3710 Depth=2
	s_or_b64 exec, exec, s[18:19]
	v_lshlrev_b32_e32 v10, 24, v26
	v_lshlrev_b32_e32 v11, 16, v18
	v_lshl_or_b32 v6, v6, 8, v1
	v_or3_b32 v34, v11, v10, v6
	v_cmp_ne_u32_e32 vcc, 0, v1
	v_mov_b32_e32 v11, 0
	v_mov_b32_e32 v10, 0
	s_and_saveexec_b64 s[18:19], vcc
	s_cbranch_execz .LBB4_5212
; %bb.5207:                             ;   in Loop: Header=BB4_3710 Depth=2
	v_cmp_ne_u32_e32 vcc, s50, v1
	v_bfrev_b32_e32 v10, 1
	s_and_saveexec_b64 s[76:77], vcc
	s_cbranch_execz .LBB4_5211
; %bb.5208:                             ;   in Loop: Header=BB4_3710 Depth=2
	v_and_b32_e32 v14, 0x7f, v1
	v_cmp_ne_u32_e32 vcc, s39, v14
	v_mov_b32_e32 v10, 0x7f800001
	s_and_saveexec_b64 s[78:79], vcc
	s_cbranch_execz .LBB4_5210
; %bb.5209:                             ;   in Loop: Header=BB4_3710 Depth=2
	v_and_b32_e32 v1, 7, v1
	v_ffbh_u32_e32 v1, v1
	v_min_u32_e32 v1, 32, v1
	v_lshrrev_b32_e32 v10, 3, v14
	v_cmp_gt_u32_e32 vcc, 8, v14
	v_subrev_u32_e32 v14, 28, v1
	v_sub_u32_e32 v1, 29, v1
	v_cndmask_b32_e32 v1, v10, v1, vcc
	v_cndmask_b32_e32 v10, 0, v14, vcc
	v_lshlrev_b64 v[14:15], v10, v[34:35]
	v_lshl_add_u32 v1, v1, 23, v58
	v_lshlrev_b32_e32 v10, 20, v14
	v_lshlrev_b32_e32 v14, 24, v34
	v_and_b32_e32 v10, 0x700000, v10
	v_and_b32_e32 v14, 0x80000000, v14
	v_or3_b32 v10, v14, v1, v10
.LBB4_5210:                             ;   in Loop: Header=BB4_3710 Depth=2
	s_or_b64 exec, exec, s[78:79]
.LBB4_5211:                             ;   in Loop: Header=BB4_3710 Depth=2
	s_or_b64 exec, exec, s[76:77]
.LBB4_5212:                             ;   in Loop: Header=BB4_3710 Depth=2
	s_or_b64 exec, exec, s[18:19]
	v_cmp_ne_u16_sdwa s[76:77], v13, v35 src0_sel:BYTE_0 src1_sel:DWORD
	s_and_saveexec_b64 s[18:19], s[76:77]
	s_cbranch_execz .LBB4_5218
; %bb.5213:                             ;   in Loop: Header=BB4_3710 Depth=2
	v_cmp_ne_u16_sdwa s[78:79], v13, s50 src0_sel:BYTE_0 src1_sel:DWORD
	v_bfrev_b32_e32 v11, 1
	s_and_saveexec_b64 s[76:77], s[78:79]
	s_cbranch_execz .LBB4_5217
; %bb.5214:                             ;   in Loop: Header=BB4_3710 Depth=2
	v_and_b32_e32 v1, 0x7f, v13
	v_cmp_ne_u32_e32 vcc, s39, v1
	v_mov_b32_e32 v11, 0x7f800001
	s_and_saveexec_b64 s[78:79], vcc
	s_cbranch_execz .LBB4_5216
; %bb.5215:                             ;   in Loop: Header=BB4_3710 Depth=2
	v_and_b32_e32 v11, 7, v13
	v_lshrrev_b32_e32 v18, 3, v1
	v_cmp_gt_u32_e32 vcc, 8, v1
	v_ffbh_u32_e32 v1, v11
	v_min_u32_e32 v1, 32, v1
	v_subrev_u32_e32 v11, 28, v1
	v_mov_b32_e32 v14, v13
	v_mov_b32_e32 v15, v35
	v_cndmask_b32_e32 v11, 0, v11, vcc
	v_lshlrev_b64 v[28:29], v11, v[14:15]
	v_sub_u32_e32 v1, 29, v1
	v_cndmask_b32_e32 v1, v18, v1, vcc
	v_lshlrev_b32_e32 v11, 20, v28
	v_lshlrev_b32_e32 v14, 24, v14
	v_and_b32_e32 v11, 0x700000, v11
	v_and_b32_e32 v14, 0x80000000, v14
	v_lshl_add_u32 v1, v1, 23, v58
	v_or3_b32 v11, v14, v1, v11
.LBB4_5216:                             ;   in Loop: Header=BB4_3710 Depth=2
	s_or_b64 exec, exec, s[78:79]
.LBB4_5217:                             ;   in Loop: Header=BB4_3710 Depth=2
	s_or_b64 exec, exec, s[76:77]
.LBB4_5218:                             ;   in Loop: Header=BB4_3710 Depth=2
	s_or_b64 exec, exec, s[18:19]
	v_add_f32_e32 v10, v10, v11
	v_and_b32_e32 v14, 0x7f800000, v10
	v_mov_b32_e32 v15, v35
	v_cmp_ne_u64_e32 vcc, s[46:47], v[14:15]
                                        ; implicit-def: $vgpr1
	s_and_saveexec_b64 s[18:19], vcc
	s_xor_b64 s[76:77], exec, s[18:19]
	s_cbranch_execz .LBB4_5232
; %bb.5219:                             ;   in Loop: Header=BB4_3710 Depth=2
	v_and_b32_e32 v14, 0x7fffffff, v10
	v_mov_b32_e32 v15, v35
	v_cmp_gt_u64_e32 vcc, s[56:57], v[14:15]
	v_and_b32_sdwa v18, v10, s50 dst_sel:DWORD dst_unused:UNUSED_PAD src0_sel:BYTE_3 src1_sel:DWORD
                                        ; implicit-def: $vgpr1
	s_and_saveexec_b64 s[18:19], vcc
	s_xor_b64 s[78:79], exec, s[18:19]
	s_cbranch_execz .LBB4_5229
; %bb.5220:                             ;   in Loop: Header=BB4_3710 Depth=2
	v_mov_b32_e32 v1, 0
	v_cmp_ne_u32_e32 vcc, 0, v10
	s_and_saveexec_b64 s[88:89], vcc
	s_cbranch_execz .LBB4_5228
; %bb.5221:                             ;   in Loop: Header=BB4_3710 Depth=2
	v_bfe_u32 v1, v10, 23, 8
	v_and_b32_e32 v11, 0x7fffff, v10
	v_cmp_gt_u32_e64 s[18:19], s51, v1
	v_sub_u32_e32 v10, 0x79, v1
	v_cmp_eq_u32_e32 vcc, 0, v1
	v_cndmask_b32_e64 v10, 0, v10, s[18:19]
	v_or_b32_e32 v14, 0x800000, v11
	v_cndmask_b32_e32 v26, v10, v59, vcc
	v_cndmask_b32_e32 v10, v14, v11, vcc
	v_add_u32_e32 v14, 20, v26
	v_lshlrev_b64 v[14:15], v14, -1
	v_mov_b32_e32 v11, v35
	v_add_u32_e32 v28, 19, v26
	v_bfi_b32 v14, v14, 0, v10
	v_lshlrev_b64 v[28:29], v28, 1
	v_lshrrev_b64 v[10:11], v26, v[10:11]
	v_bfi_b32 v15, v15, 0, 0
	v_cmp_eq_u64_e64 s[18:19], v[14:15], v[28:29]
	v_mov_b32_e32 v15, v11
	v_mov_b32_e32 v14, v10
	s_and_saveexec_b64 s[90:91], s[18:19]
; %bb.5222:                             ;   in Loop: Header=BB4_3710 Depth=2
	v_bfe_u32 v11, v10, 20, 1
	v_add_co_u32_e64 v11, s[18:19], v10, v11
	v_add_co_u32_e64 v14, s[18:19], -1, v11
; %bb.5223:                             ;   in Loop: Header=BB4_3710 Depth=2
	s_or_b64 exec, exec, s[90:91]
	v_add_u32_e32 v1, 0xffffff81, v1
	v_cndmask_b32_e32 v1, v1, v60, vcc
	v_lshrrev_b32_e32 v11, 23, v10
	v_add3_u32 v26, v26, v1, v11
	v_add_u32_e32 v15, 6, v26
	v_and_b32_e32 v1, 0xfffff, v14
	v_add_u32_e32 v10, v1, v10
	v_mov_b32_e32 v11, v35
	v_cmp_ne_u32_e32 vcc, 0, v15
                                        ; implicit-def: $vgpr1
	s_and_saveexec_b64 s[18:19], vcc
	s_xor_b64 s[18:19], exec, s[18:19]
; %bb.5224:                             ;   in Loop: Header=BB4_3710 Depth=2
	v_cmp_lt_u64_e32 vcc, s[58:59], v[10:11]
	v_add_u32_e32 v1, 7, v26
	v_cndmask_b32_e64 v14, 0, 1, vcc
	v_lshrrev_b64 v[10:11], v14, v[10:11]
	v_cndmask_b32_e32 v1, v15, v1, vcc
; %bb.5225:                             ;   in Loop: Header=BB4_3710 Depth=2
	s_andn2_saveexec_b64 s[18:19], s[18:19]
; %bb.5226:                             ;   in Loop: Header=BB4_3710 Depth=2
	v_bfe_u32 v1, v10, 23, 1
; %bb.5227:                             ;   in Loop: Header=BB4_3710 Depth=2
	s_or_b64 exec, exec, s[18:19]
	v_lshrrev_b64 v[10:11], 20, v[10:11]
	v_cmp_gt_i32_e32 vcc, 16, v1
	v_cndmask_b32_e32 v11, 0, v11, vcc
	v_cndmask_b32_e32 v10, 7, v10, vcc
	v_cmp_eq_u32_e32 vcc, 0, v1
	v_min_i32_e32 v1, 15, v1
	v_cmp_eq_u64_e64 s[18:19], 0, v[10:11]
	v_lshlrev_b32_e32 v1, 3, v1
	v_and_b32_e32 v1, 0xf8, v1
	v_and_or_b32 v1, v10, 7, v1
	s_and_b64 s[18:19], vcc, s[18:19]
	v_cndmask_b32_e64 v1, v1, 0, s[18:19]
	v_or_b32_e32 v1, v1, v18
.LBB4_5228:                             ;   in Loop: Header=BB4_3710 Depth=2
	s_or_b64 exec, exec, s[88:89]
                                        ; implicit-def: $vgpr18
.LBB4_5229:                             ;   in Loop: Header=BB4_3710 Depth=2
	s_andn2_saveexec_b64 s[18:19], s[78:79]
; %bb.5230:                             ;   in Loop: Header=BB4_3710 Depth=2
	v_or_b32_e32 v1, 0x7e, v18
; %bb.5231:                             ;   in Loop: Header=BB4_3710 Depth=2
	s_or_b64 exec, exec, s[18:19]
                                        ; implicit-def: $vgpr10
.LBB4_5232:                             ;   in Loop: Header=BB4_3710 Depth=2
	s_andn2_saveexec_b64 s[18:19], s[76:77]
; %bb.5233:                             ;   in Loop: Header=BB4_3710 Depth=2
	v_or_b32_sdwa v1, v10, s39 dst_sel:DWORD dst_unused:UNUSED_PAD src0_sel:BYTE_3 src1_sel:DWORD
; %bb.5234:                             ;   in Loop: Header=BB4_3710 Depth=2
	s_or_b64 exec, exec, s[18:19]
	v_lshrrev_b16_e32 v10, 8, v6
	v_cmp_ne_u16_e32 vcc, 0, v10
	v_mov_b32_e32 v11, 0
	v_mov_b32_e32 v14, 0
	s_and_saveexec_b64 s[18:19], vcc
	s_cbranch_execz .LBB4_5240
; %bb.5235:                             ;   in Loop: Header=BB4_3710 Depth=2
	v_cmp_ne_u16_e32 vcc, s50, v10
	v_bfrev_b32_e32 v14, 1
	s_and_saveexec_b64 s[76:77], vcc
	s_cbranch_execz .LBB4_5239
; %bb.5236:                             ;   in Loop: Header=BB4_3710 Depth=2
	v_and_b32_e32 v15, 0x7f, v10
	v_cmp_ne_u32_e32 vcc, s39, v15
	v_mov_b32_e32 v14, 0x7f800001
	s_and_saveexec_b64 s[78:79], vcc
	s_cbranch_execz .LBB4_5238
; %bb.5237:                             ;   in Loop: Header=BB4_3710 Depth=2
	v_and_b32_e32 v18, 7, v10
	v_ffbh_u32_e32 v14, v18
	v_min_u32_e32 v28, 32, v14
	v_subrev_u32_e32 v14, 28, v28
	v_lshrrev_b32_e32 v26, 3, v15
	v_cmp_gt_u32_e32 vcc, 8, v15
	v_lshlrev_b64 v[14:15], v14, v[10:11]
	v_sub_u32_e32 v10, 29, v28
	v_and_b32_e32 v14, 7, v14
	v_cndmask_b32_e32 v10, v26, v10, vcc
	v_cndmask_b32_e32 v14, v18, v14, vcc
	v_lshlrev_b32_e32 v6, 16, v6
	v_lshlrev_b32_e32 v14, 20, v14
	v_and_b32_e32 v6, 0x80000000, v6
	v_lshl_add_u32 v10, v10, 23, v58
	v_or3_b32 v14, v6, v10, v14
.LBB4_5238:                             ;   in Loop: Header=BB4_3710 Depth=2
	s_or_b64 exec, exec, s[78:79]
.LBB4_5239:                             ;   in Loop: Header=BB4_3710 Depth=2
	s_or_b64 exec, exec, s[76:77]
.LBB4_5240:                             ;   in Loop: Header=BB4_3710 Depth=2
	s_or_b64 exec, exec, s[18:19]
	v_lshrrev_b16_e32 v10, 8, v13
	v_cmp_ne_u16_e32 vcc, 0, v10
	s_and_saveexec_b64 s[18:19], vcc
	s_cbranch_execz .LBB4_5246
; %bb.5241:                             ;   in Loop: Header=BB4_3710 Depth=2
	v_cmp_ne_u16_e32 vcc, s50, v10
	v_bfrev_b32_e32 v11, 1
	s_and_saveexec_b64 s[76:77], vcc
	s_cbranch_execz .LBB4_5245
; %bb.5242:                             ;   in Loop: Header=BB4_3710 Depth=2
	v_and_b32_e32 v6, 0x7f, v10
	v_cmp_ne_u32_e32 vcc, s39, v6
	v_mov_b32_e32 v11, 0x7f800001
	s_and_saveexec_b64 s[78:79], vcc
	s_cbranch_execz .LBB4_5244
; %bb.5243:                             ;   in Loop: Header=BB4_3710 Depth=2
	v_and_b32_e32 v15, 7, v10
	v_lshrrev_b32_e32 v18, 3, v6
	v_cmp_gt_u32_e32 vcc, 8, v6
	v_ffbh_u32_e32 v6, v15
	v_min_u32_e32 v6, 32, v6
	v_subrev_u32_e32 v11, 28, v6
	v_lshlrev_b64 v[10:11], v11, v[10:11]
	v_sub_u32_e32 v6, 29, v6
	v_and_b32_e32 v10, 7, v10
	v_cndmask_b32_e32 v6, v18, v6, vcc
	v_cndmask_b32_e32 v10, v15, v10, vcc
	v_lshlrev_b32_e32 v11, 16, v13
	v_lshlrev_b32_e32 v10, 20, v10
	v_and_b32_e32 v11, 0x80000000, v11
	v_lshl_add_u32 v6, v6, 23, v58
	v_or3_b32 v11, v11, v6, v10
.LBB4_5244:                             ;   in Loop: Header=BB4_3710 Depth=2
	s_or_b64 exec, exec, s[78:79]
.LBB4_5245:                             ;   in Loop: Header=BB4_3710 Depth=2
	s_or_b64 exec, exec, s[76:77]
.LBB4_5246:                             ;   in Loop: Header=BB4_3710 Depth=2
	s_or_b64 exec, exec, s[18:19]
	v_add_f32_e32 v10, v14, v11
	v_and_b32_e32 v14, 0x7f800000, v10
	v_mov_b32_e32 v15, v35
	v_cmp_ne_u64_e32 vcc, s[46:47], v[14:15]
                                        ; implicit-def: $vgpr6
	s_and_saveexec_b64 s[18:19], vcc
	s_xor_b64 s[76:77], exec, s[18:19]
	s_cbranch_execz .LBB4_5260
; %bb.5247:                             ;   in Loop: Header=BB4_3710 Depth=2
	v_and_b32_e32 v14, 0x7fffffff, v10
	v_mov_b32_e32 v15, v35
	v_cmp_gt_u64_e32 vcc, s[56:57], v[14:15]
	v_and_b32_sdwa v18, v10, s50 dst_sel:DWORD dst_unused:UNUSED_PAD src0_sel:BYTE_3 src1_sel:DWORD
                                        ; implicit-def: $vgpr6
	s_and_saveexec_b64 s[18:19], vcc
	s_xor_b64 s[78:79], exec, s[18:19]
	s_cbranch_execz .LBB4_5257
; %bb.5248:                             ;   in Loop: Header=BB4_3710 Depth=2
	v_mov_b32_e32 v6, 0
	v_cmp_ne_u32_e32 vcc, 0, v10
	s_and_saveexec_b64 s[88:89], vcc
	s_cbranch_execz .LBB4_5256
; %bb.5249:                             ;   in Loop: Header=BB4_3710 Depth=2
	v_bfe_u32 v6, v10, 23, 8
	v_and_b32_e32 v11, 0x7fffff, v10
	v_cmp_gt_u32_e64 s[18:19], s51, v6
	v_sub_u32_e32 v10, 0x79, v6
	v_cmp_eq_u32_e32 vcc, 0, v6
	v_cndmask_b32_e64 v10, 0, v10, s[18:19]
	v_or_b32_e32 v14, 0x800000, v11
	v_cndmask_b32_e32 v26, v10, v59, vcc
	v_cndmask_b32_e32 v10, v14, v11, vcc
	v_add_u32_e32 v14, 20, v26
	v_lshlrev_b64 v[14:15], v14, -1
	v_mov_b32_e32 v11, v35
	v_add_u32_e32 v28, 19, v26
	v_bfi_b32 v14, v14, 0, v10
	v_lshlrev_b64 v[28:29], v28, 1
	v_lshrrev_b64 v[10:11], v26, v[10:11]
	v_bfi_b32 v15, v15, 0, 0
	v_cmp_eq_u64_e64 s[18:19], v[14:15], v[28:29]
	v_mov_b32_e32 v15, v11
	v_mov_b32_e32 v14, v10
	s_and_saveexec_b64 s[90:91], s[18:19]
; %bb.5250:                             ;   in Loop: Header=BB4_3710 Depth=2
	v_bfe_u32 v11, v10, 20, 1
	v_add_co_u32_e64 v11, s[18:19], v10, v11
	v_add_co_u32_e64 v14, s[18:19], -1, v11
; %bb.5251:                             ;   in Loop: Header=BB4_3710 Depth=2
	s_or_b64 exec, exec, s[90:91]
	v_add_u32_e32 v6, 0xffffff81, v6
	v_cndmask_b32_e32 v6, v6, v60, vcc
	v_lshrrev_b32_e32 v11, 23, v10
	v_add3_u32 v26, v26, v6, v11
	v_add_u32_e32 v15, 6, v26
	v_and_b32_e32 v6, 0xfffff, v14
	v_add_u32_e32 v10, v6, v10
	v_mov_b32_e32 v11, v35
	v_cmp_ne_u32_e32 vcc, 0, v15
                                        ; implicit-def: $vgpr6
	s_and_saveexec_b64 s[18:19], vcc
	s_xor_b64 s[18:19], exec, s[18:19]
; %bb.5252:                             ;   in Loop: Header=BB4_3710 Depth=2
	v_cmp_lt_u64_e32 vcc, s[58:59], v[10:11]
	v_add_u32_e32 v6, 7, v26
	v_cndmask_b32_e64 v14, 0, 1, vcc
	v_lshrrev_b64 v[10:11], v14, v[10:11]
	v_cndmask_b32_e32 v6, v15, v6, vcc
; %bb.5253:                             ;   in Loop: Header=BB4_3710 Depth=2
	s_andn2_saveexec_b64 s[18:19], s[18:19]
; %bb.5254:                             ;   in Loop: Header=BB4_3710 Depth=2
	v_bfe_u32 v6, v10, 23, 1
; %bb.5255:                             ;   in Loop: Header=BB4_3710 Depth=2
	s_or_b64 exec, exec, s[18:19]
	v_lshrrev_b64 v[10:11], 20, v[10:11]
	v_cmp_gt_i32_e32 vcc, 16, v6
	v_cndmask_b32_e32 v11, 0, v11, vcc
	v_cndmask_b32_e32 v10, 7, v10, vcc
	v_cmp_eq_u32_e32 vcc, 0, v6
	v_min_i32_e32 v6, 15, v6
	v_cmp_eq_u64_e64 s[18:19], 0, v[10:11]
	v_lshlrev_b32_e32 v6, 3, v6
	v_and_b32_e32 v6, 0xf8, v6
	v_and_or_b32 v6, v10, 7, v6
	s_and_b64 s[18:19], vcc, s[18:19]
	v_cndmask_b32_e64 v6, v6, 0, s[18:19]
	v_or_b32_e32 v6, v6, v18
.LBB4_5256:                             ;   in Loop: Header=BB4_3710 Depth=2
	s_or_b64 exec, exec, s[88:89]
                                        ; implicit-def: $vgpr18
.LBB4_5257:                             ;   in Loop: Header=BB4_3710 Depth=2
	s_andn2_saveexec_b64 s[18:19], s[78:79]
; %bb.5258:                             ;   in Loop: Header=BB4_3710 Depth=2
	v_or_b32_e32 v6, 0x7e, v18
; %bb.5259:                             ;   in Loop: Header=BB4_3710 Depth=2
	s_or_b64 exec, exec, s[18:19]
                                        ; implicit-def: $vgpr10
.LBB4_5260:                             ;   in Loop: Header=BB4_3710 Depth=2
	s_andn2_saveexec_b64 s[18:19], s[76:77]
; %bb.5261:                             ;   in Loop: Header=BB4_3710 Depth=2
	v_or_b32_sdwa v6, v10, s39 dst_sel:DWORD dst_unused:UNUSED_PAD src0_sel:BYTE_3 src1_sel:DWORD
; %bb.5262:                             ;   in Loop: Header=BB4_3710 Depth=2
	s_or_b64 exec, exec, s[18:19]
	v_lshrrev_b32_e32 v10, 16, v34
	v_cmp_ne_u16_sdwa s[76:77], v10, v35 src0_sel:BYTE_0 src1_sel:DWORD
	v_mov_b32_e32 v11, 0
	v_mov_b32_e32 v14, 0
	s_and_saveexec_b64 s[18:19], s[76:77]
	s_cbranch_execz .LBB4_5268
; %bb.5263:                             ;   in Loop: Header=BB4_3710 Depth=2
	v_cmp_ne_u16_sdwa s[78:79], v10, s50 src0_sel:BYTE_0 src1_sel:DWORD
	v_bfrev_b32_e32 v14, 1
	s_and_saveexec_b64 s[76:77], s[78:79]
	s_cbranch_execz .LBB4_5267
; %bb.5264:                             ;   in Loop: Header=BB4_3710 Depth=2
	v_bfe_u32 v15, v34, 16, 7
	v_cmp_ne_u32_e32 vcc, s39, v15
	v_mov_b32_e32 v14, 0x7f800001
	s_and_saveexec_b64 s[78:79], vcc
	s_cbranch_execz .LBB4_5266
; %bb.5265:                             ;   in Loop: Header=BB4_3710 Depth=2
	v_and_b32_e32 v18, 7, v10
	v_ffbh_u32_e32 v14, v18
	v_min_u32_e32 v28, 32, v14
	v_subrev_u32_e32 v14, 28, v28
	v_lshrrev_b32_e32 v26, 3, v15
	v_cmp_gt_u32_e32 vcc, 8, v15
	v_lshlrev_b64 v[14:15], v14, v[10:11]
	v_sub_u32_e32 v15, 29, v28
	v_and_b32_e32 v14, 7, v14
	v_cndmask_b32_e32 v15, v26, v15, vcc
	v_cndmask_b32_e32 v14, v18, v14, vcc
	v_lshlrev_b32_e32 v10, 24, v10
	v_lshlrev_b32_e32 v14, 20, v14
	v_and_b32_e32 v10, 0x80000000, v10
	v_lshl_add_u32 v15, v15, 23, v58
	v_or3_b32 v14, v10, v15, v14
.LBB4_5266:                             ;   in Loop: Header=BB4_3710 Depth=2
	s_or_b64 exec, exec, s[78:79]
.LBB4_5267:                             ;   in Loop: Header=BB4_3710 Depth=2
	s_or_b64 exec, exec, s[76:77]
.LBB4_5268:                             ;   in Loop: Header=BB4_3710 Depth=2
	s_or_b64 exec, exec, s[18:19]
	v_lshrrev_b32_e32 v10, 16, v13
	v_cmp_ne_u16_sdwa s[76:77], v10, v35 src0_sel:BYTE_0 src1_sel:DWORD
	s_and_saveexec_b64 s[18:19], s[76:77]
	s_cbranch_execz .LBB4_5274
; %bb.5269:                             ;   in Loop: Header=BB4_3710 Depth=2
	v_cmp_ne_u16_sdwa s[78:79], v10, s50 src0_sel:BYTE_0 src1_sel:DWORD
	v_bfrev_b32_e32 v11, 1
	s_and_saveexec_b64 s[76:77], s[78:79]
	s_cbranch_execz .LBB4_5273
; %bb.5270:                             ;   in Loop: Header=BB4_3710 Depth=2
	v_bfe_u32 v15, v13, 16, 7
	v_cmp_ne_u32_e32 vcc, s39, v15
	v_mov_b32_e32 v11, 0x7f800001
	s_and_saveexec_b64 s[78:79], vcc
	s_cbranch_execz .LBB4_5272
; %bb.5271:                             ;   in Loop: Header=BB4_3710 Depth=2
	v_and_b32_e32 v18, 7, v10
	v_ffbh_u32_e32 v11, v18
	v_lshrrev_b32_e32 v26, 3, v15
	v_cmp_gt_u32_e32 vcc, 8, v15
	v_min_u32_e32 v15, 32, v11
	v_subrev_u32_e32 v11, 28, v15
	v_lshlrev_b64 v[10:11], v11, v[10:11]
	v_sub_u32_e32 v11, 29, v15
	v_and_b32_e32 v10, 7, v10
	v_cndmask_b32_e32 v11, v26, v11, vcc
	v_cndmask_b32_e32 v10, v18, v10, vcc
	v_lshlrev_b32_e32 v15, 8, v13
	v_lshlrev_b32_e32 v10, 20, v10
	v_and_b32_e32 v15, 0x80000000, v15
	v_lshl_add_u32 v11, v11, 23, v58
	v_or3_b32 v11, v15, v11, v10
.LBB4_5272:                             ;   in Loop: Header=BB4_3710 Depth=2
	s_or_b64 exec, exec, s[78:79]
.LBB4_5273:                             ;   in Loop: Header=BB4_3710 Depth=2
	s_or_b64 exec, exec, s[76:77]
.LBB4_5274:                             ;   in Loop: Header=BB4_3710 Depth=2
	s_or_b64 exec, exec, s[18:19]
	v_add_f32_e32 v10, v14, v11
	v_and_b32_e32 v14, 0x7f800000, v10
	v_mov_b32_e32 v15, v35
	v_cmp_ne_u64_e32 vcc, s[46:47], v[14:15]
                                        ; implicit-def: $vgpr14
	s_and_saveexec_b64 s[18:19], vcc
	s_xor_b64 s[76:77], exec, s[18:19]
	s_cbranch_execz .LBB4_5288
; %bb.5275:                             ;   in Loop: Header=BB4_3710 Depth=2
	v_and_b32_e32 v14, 0x7fffffff, v10
	v_mov_b32_e32 v15, v35
	v_cmp_gt_u64_e32 vcc, s[56:57], v[14:15]
	v_and_b32_sdwa v18, v10, s50 dst_sel:DWORD dst_unused:UNUSED_PAD src0_sel:BYTE_3 src1_sel:DWORD
                                        ; implicit-def: $vgpr14
	s_and_saveexec_b64 s[18:19], vcc
	s_xor_b64 s[78:79], exec, s[18:19]
	s_cbranch_execz .LBB4_5285
; %bb.5276:                             ;   in Loop: Header=BB4_3710 Depth=2
	v_mov_b32_e32 v14, 0
	v_cmp_ne_u32_e32 vcc, 0, v10
	s_and_saveexec_b64 s[88:89], vcc
	s_cbranch_execz .LBB4_5284
; %bb.5277:                             ;   in Loop: Header=BB4_3710 Depth=2
	v_bfe_u32 v26, v10, 23, 8
	v_and_b32_e32 v11, 0x7fffff, v10
	v_cmp_gt_u32_e64 s[18:19], s51, v26
	v_sub_u32_e32 v10, 0x79, v26
	v_cmp_eq_u32_e32 vcc, 0, v26
	v_cndmask_b32_e64 v10, 0, v10, s[18:19]
	v_or_b32_e32 v14, 0x800000, v11
	v_cndmask_b32_e32 v28, v10, v59, vcc
	v_cndmask_b32_e32 v10, v14, v11, vcc
	v_add_u32_e32 v14, 20, v28
	v_lshlrev_b64 v[14:15], v14, -1
	v_mov_b32_e32 v11, v35
	v_add_u32_e32 v29, 19, v28
	v_bfi_b32 v14, v14, 0, v10
	v_lshlrev_b64 v[42:43], v29, 1
	v_lshrrev_b64 v[10:11], v28, v[10:11]
	v_bfi_b32 v15, v15, 0, 0
	v_cmp_eq_u64_e64 s[18:19], v[14:15], v[42:43]
	v_mov_b32_e32 v15, v11
	v_mov_b32_e32 v14, v10
	s_and_saveexec_b64 s[90:91], s[18:19]
; %bb.5278:                             ;   in Loop: Header=BB4_3710 Depth=2
	v_bfe_u32 v11, v10, 20, 1
	v_add_co_u32_e64 v11, s[18:19], v10, v11
	v_add_co_u32_e64 v14, s[18:19], -1, v11
; %bb.5279:                             ;   in Loop: Header=BB4_3710 Depth=2
	s_or_b64 exec, exec, s[90:91]
	v_add_u32_e32 v11, 0xffffff81, v26
	v_cndmask_b32_e32 v11, v11, v60, vcc
	v_lshrrev_b32_e32 v15, 23, v10
	v_add3_u32 v26, v28, v11, v15
	v_add_u32_e32 v15, 6, v26
	v_and_b32_e32 v11, 0xfffff, v14
	v_add_u32_e32 v10, v11, v10
	v_mov_b32_e32 v11, v35
	v_cmp_ne_u32_e32 vcc, 0, v15
                                        ; implicit-def: $vgpr14
	s_and_saveexec_b64 s[18:19], vcc
	s_xor_b64 s[18:19], exec, s[18:19]
; %bb.5280:                             ;   in Loop: Header=BB4_3710 Depth=2
	v_cmp_lt_u64_e32 vcc, s[58:59], v[10:11]
	v_add_u32_e32 v14, 7, v26
	v_cndmask_b32_e32 v14, v15, v14, vcc
	v_cndmask_b32_e64 v15, 0, 1, vcc
	v_lshrrev_b64 v[10:11], v15, v[10:11]
; %bb.5281:                             ;   in Loop: Header=BB4_3710 Depth=2
	s_andn2_saveexec_b64 s[18:19], s[18:19]
; %bb.5282:                             ;   in Loop: Header=BB4_3710 Depth=2
	v_bfe_u32 v14, v10, 23, 1
; %bb.5283:                             ;   in Loop: Header=BB4_3710 Depth=2
	s_or_b64 exec, exec, s[18:19]
	v_lshrrev_b64 v[10:11], 20, v[10:11]
	v_cmp_gt_i32_e32 vcc, 16, v14
	v_cndmask_b32_e32 v11, 0, v11, vcc
	v_cndmask_b32_e32 v10, 7, v10, vcc
	v_cmp_eq_u64_e64 s[18:19], 0, v[10:11]
	v_min_i32_e32 v11, 15, v14
	v_lshlrev_b32_e32 v11, 3, v11
	v_cmp_eq_u32_e32 vcc, 0, v14
	v_and_b32_e32 v11, 0xf8, v11
	v_and_or_b32 v10, v10, 7, v11
	s_and_b64 s[18:19], vcc, s[18:19]
	v_cndmask_b32_e64 v10, v10, 0, s[18:19]
	v_or_b32_e32 v14, v10, v18
.LBB4_5284:                             ;   in Loop: Header=BB4_3710 Depth=2
	s_or_b64 exec, exec, s[88:89]
                                        ; implicit-def: $vgpr18
.LBB4_5285:                             ;   in Loop: Header=BB4_3710 Depth=2
	s_andn2_saveexec_b64 s[18:19], s[78:79]
; %bb.5286:                             ;   in Loop: Header=BB4_3710 Depth=2
	v_or_b32_e32 v14, 0x7e, v18
; %bb.5287:                             ;   in Loop: Header=BB4_3710 Depth=2
	s_or_b64 exec, exec, s[18:19]
                                        ; implicit-def: $vgpr10
.LBB4_5288:                             ;   in Loop: Header=BB4_3710 Depth=2
	s_andn2_saveexec_b64 s[18:19], s[76:77]
; %bb.5289:                             ;   in Loop: Header=BB4_3710 Depth=2
	v_or_b32_sdwa v14, v10, s39 dst_sel:DWORD dst_unused:UNUSED_PAD src0_sel:BYTE_3 src1_sel:DWORD
; %bb.5290:                             ;   in Loop: Header=BB4_3710 Depth=2
	s_or_b64 exec, exec, s[18:19]
	v_cmp_lt_u32_e32 vcc, s61, v34
	v_mov_b32_e32 v11, 0
	v_mov_b32_e32 v15, 0
	s_and_saveexec_b64 s[18:19], vcc
	s_cbranch_execz .LBB4_5296
; %bb.5291:                             ;   in Loop: Header=BB4_3710 Depth=2
	v_lshrrev_b32_e32 v10, 24, v34
	v_cmp_ne_u32_sdwa s[78:79], v34, s50 src0_sel:BYTE_3 src1_sel:DWORD
	v_bfrev_b32_e32 v15, 1
	s_and_saveexec_b64 s[76:77], s[78:79]
	s_cbranch_execz .LBB4_5295
; %bb.5292:                             ;   in Loop: Header=BB4_3710 Depth=2
	v_bfe_u32 v18, v34, 24, 7
	v_cmp_ne_u32_e32 vcc, s39, v18
	v_mov_b32_e32 v15, 0x7f800001
	s_and_saveexec_b64 s[78:79], vcc
	s_cbranch_execz .LBB4_5294
; %bb.5293:                             ;   in Loop: Header=BB4_3710 Depth=2
	v_and_b32_e32 v15, 7, v10
	v_lshrrev_b32_e32 v26, 3, v18
	v_cmp_gt_u32_e32 vcc, 8, v18
	v_ffbh_u32_e32 v18, v15
	v_min_u32_e32 v18, 32, v18
	v_subrev_u32_e32 v28, 28, v18
	v_lshlrev_b64 v[28:29], v28, v[10:11]
	v_sub_u32_e32 v10, 29, v18
	v_and_b32_e32 v18, 7, v28
	v_cndmask_b32_e32 v15, v15, v18, vcc
	v_mov_b32_e32 v18, 24
	v_cndmask_b32_e32 v10, v26, v10, vcc
	v_lshlrev_b32_sdwa v18, v18, v34 dst_sel:DWORD dst_unused:UNUSED_PAD src0_sel:DWORD src1_sel:BYTE_3
	v_lshlrev_b32_e32 v15, 20, v15
	v_and_b32_e32 v18, 0x80000000, v18
	v_lshl_add_u32 v10, v10, 23, v58
	v_or3_b32 v15, v18, v10, v15
.LBB4_5294:                             ;   in Loop: Header=BB4_3710 Depth=2
	s_or_b64 exec, exec, s[78:79]
.LBB4_5295:                             ;   in Loop: Header=BB4_3710 Depth=2
	s_or_b64 exec, exec, s[76:77]
.LBB4_5296:                             ;   in Loop: Header=BB4_3710 Depth=2
	s_or_b64 exec, exec, s[18:19]
	v_cmp_lt_u64_e32 vcc, s[60:61], v[12:13]
	s_and_saveexec_b64 s[18:19], vcc
	s_cbranch_execz .LBB4_5302
; %bb.5297:                             ;   in Loop: Header=BB4_3710 Depth=2
	v_lshrrev_b32_e32 v10, 24, v13
	v_cmp_ne_u32_e32 vcc, s50, v10
	v_bfrev_b32_e32 v11, 1
	s_and_saveexec_b64 s[76:77], vcc
	s_cbranch_execz .LBB4_5301
; %bb.5298:                             ;   in Loop: Header=BB4_3710 Depth=2
	v_bfe_u32 v12, v13, 24, 7
	v_cmp_ne_u32_e32 vcc, s39, v12
	v_mov_b32_e32 v11, 0x7f800001
	s_and_saveexec_b64 s[78:79], vcc
	s_cbranch_execz .LBB4_5300
; %bb.5299:                             ;   in Loop: Header=BB4_3710 Depth=2
	v_and_b32_e32 v13, 7, v10
	v_ffbh_u32_e32 v11, v13
	v_min_u32_e32 v26, 32, v11
	v_subrev_u32_e32 v11, 28, v26
	v_lshrrev_b32_e32 v18, 3, v12
	v_cmp_gt_u32_e32 vcc, 8, v12
	v_lshlrev_b64 v[11:12], v11, v[10:11]
	v_sub_u32_e32 v12, 29, v26
	v_and_b32_e32 v11, 7, v11
	v_cndmask_b32_e32 v12, v18, v12, vcc
	v_cndmask_b32_e32 v11, v13, v11, vcc
	v_lshlrev_b32_e32 v10, 24, v10
	v_lshlrev_b32_e32 v11, 20, v11
	v_and_b32_e32 v10, 0x80000000, v10
	v_lshl_add_u32 v12, v12, 23, v58
	v_or3_b32 v11, v10, v12, v11
.LBB4_5300:                             ;   in Loop: Header=BB4_3710 Depth=2
	s_or_b64 exec, exec, s[78:79]
.LBB4_5301:                             ;   in Loop: Header=BB4_3710 Depth=2
	s_or_b64 exec, exec, s[76:77]
.LBB4_5302:                             ;   in Loop: Header=BB4_3710 Depth=2
	s_or_b64 exec, exec, s[18:19]
	v_add_f32_e32 v11, v15, v11
	v_and_b32_e32 v34, 0x7f800000, v11
	v_cmp_ne_u64_e32 vcc, s[46:47], v[34:35]
                                        ; implicit-def: $vgpr10
	s_and_saveexec_b64 s[18:19], vcc
	s_xor_b64 s[76:77], exec, s[18:19]
	s_cbranch_execz .LBB4_5316
; %bb.5303:                             ;   in Loop: Header=BB4_3710 Depth=2
	v_and_b32_e32 v34, 0x7fffffff, v11
	v_cmp_gt_u64_e32 vcc, s[56:57], v[34:35]
	v_and_b32_sdwa v13, v11, s50 dst_sel:DWORD dst_unused:UNUSED_PAD src0_sel:BYTE_3 src1_sel:DWORD
                                        ; implicit-def: $vgpr10
	s_and_saveexec_b64 s[18:19], vcc
	s_xor_b64 s[78:79], exec, s[18:19]
	s_cbranch_execz .LBB4_5313
; %bb.5304:                             ;   in Loop: Header=BB4_3710 Depth=2
	v_mov_b32_e32 v10, 0
	v_cmp_ne_u32_e32 vcc, 0, v11
	s_and_saveexec_b64 s[88:89], vcc
	s_cbranch_execz .LBB4_5312
; %bb.5305:                             ;   in Loop: Header=BB4_3710 Depth=2
	v_bfe_u32 v15, v11, 23, 8
	v_and_b32_e32 v10, 0x7fffff, v11
	v_cmp_gt_u32_e64 s[18:19], s51, v15
	v_sub_u32_e32 v11, 0x79, v15
	v_cmp_eq_u32_e32 vcc, 0, v15
	v_cndmask_b32_e64 v11, 0, v11, s[18:19]
	v_or_b32_e32 v12, 0x800000, v10
	v_cndmask_b32_e32 v18, v11, v59, vcc
	v_cndmask_b32_e32 v34, v12, v10, vcc
	v_add_u32_e32 v10, 20, v18
	v_lshlrev_b64 v[10:11], v10, -1
	v_add_u32_e32 v12, 19, v18
	v_lshlrev_b64 v[28:29], v12, 1
	v_bfi_b32 v11, v11, 0, 0
	v_bfi_b32 v10, v10, 0, v34
	v_cmp_eq_u64_e64 s[18:19], v[10:11], v[28:29]
	v_lshrrev_b64 v[10:11], v18, v[34:35]
	v_mov_b32_e32 v12, v11
	v_mov_b32_e32 v11, v10
	s_and_saveexec_b64 s[90:91], s[18:19]
; %bb.5306:                             ;   in Loop: Header=BB4_3710 Depth=2
	v_bfe_u32 v11, v10, 20, 1
	v_add_co_u32_e64 v11, s[18:19], v10, v11
	v_add_co_u32_e64 v11, s[18:19], -1, v11
; %bb.5307:                             ;   in Loop: Header=BB4_3710 Depth=2
	s_or_b64 exec, exec, s[90:91]
	v_add_u32_e32 v12, 0xffffff81, v15
	v_cndmask_b32_e32 v12, v12, v60, vcc
	v_lshrrev_b32_e32 v15, 23, v10
	v_add3_u32 v18, v18, v12, v15
	v_add_u32_e32 v15, 6, v18
	v_and_b32_e32 v11, 0xfffff, v11
	v_add_u32_e32 v34, v11, v10
	v_cmp_ne_u32_e32 vcc, 0, v15
                                        ; implicit-def: $vgpr10_vgpr11
                                        ; implicit-def: $vgpr12
	s_and_saveexec_b64 s[18:19], vcc
	s_xor_b64 s[18:19], exec, s[18:19]
; %bb.5308:                             ;   in Loop: Header=BB4_3710 Depth=2
	v_cmp_lt_u64_e32 vcc, s[58:59], v[34:35]
	v_add_u32_e32 v10, 7, v18
	v_cndmask_b32_e32 v12, v15, v10, vcc
	v_cndmask_b32_e64 v10, 0, 1, vcc
	v_lshrrev_b64 v[10:11], v10, v[34:35]
; %bb.5309:                             ;   in Loop: Header=BB4_3710 Depth=2
	s_andn2_saveexec_b64 s[18:19], s[18:19]
; %bb.5310:                             ;   in Loop: Header=BB4_3710 Depth=2
	v_mov_b32_e32 v10, v34
	v_bfe_u32 v12, v34, 23, 1
	v_mov_b32_e32 v11, v35
; %bb.5311:                             ;   in Loop: Header=BB4_3710 Depth=2
	s_or_b64 exec, exec, s[18:19]
	v_lshrrev_b64 v[10:11], 20, v[10:11]
	v_cmp_gt_i32_e32 vcc, 16, v12
	v_cndmask_b32_e32 v11, 0, v11, vcc
	v_cndmask_b32_e32 v10, 7, v10, vcc
	v_cmp_eq_u64_e64 s[18:19], 0, v[10:11]
	v_min_i32_e32 v11, 15, v12
	v_lshlrev_b32_e32 v11, 3, v11
	v_cmp_eq_u32_e32 vcc, 0, v12
	v_and_b32_e32 v11, 0xf8, v11
	v_and_or_b32 v10, v10, 7, v11
	s_and_b64 s[18:19], vcc, s[18:19]
	v_cndmask_b32_e64 v10, v10, 0, s[18:19]
	v_or_b32_e32 v10, v10, v13
.LBB4_5312:                             ;   in Loop: Header=BB4_3710 Depth=2
	s_or_b64 exec, exec, s[88:89]
                                        ; implicit-def: $vgpr13
.LBB4_5313:                             ;   in Loop: Header=BB4_3710 Depth=2
	s_andn2_saveexec_b64 s[18:19], s[78:79]
; %bb.5314:                             ;   in Loop: Header=BB4_3710 Depth=2
	v_or_b32_e32 v10, 0x7e, v13
; %bb.5315:                             ;   in Loop: Header=BB4_3710 Depth=2
	s_or_b64 exec, exec, s[18:19]
                                        ; implicit-def: $vgpr11
.LBB4_5316:                             ;   in Loop: Header=BB4_3710 Depth=2
	s_andn2_saveexec_b64 s[18:19], s[76:77]
	s_cbranch_execz .LBB4_3709
; %bb.5317:                             ;   in Loop: Header=BB4_3710 Depth=2
	v_or_b32_sdwa v10, v11, s39 dst_sel:DWORD dst_unused:UNUSED_PAD src0_sel:BYTE_3 src1_sel:DWORD
	s_branch .LBB4_3709
.LBB4_5318:                             ;   in Loop: Header=BB4_3637 Depth=1
	s_mov_b64 s[18:19], 0
	s_and_saveexec_b64 s[20:21], s[10:11]
	s_cbranch_execnz .LBB4_7141
	s_branch .LBB4_7159
.LBB4_5319:                             ;   in Loop: Header=BB4_3637 Depth=1
	s_or_b64 exec, exec, s[74:75]
	buffer_load_dword v18, off, s[0:3], s33 offset:160 ; 4-byte Folded Reload
	buffer_load_dword v19, off, s[0:3], s33 offset:164 ; 4-byte Folded Reload
	;; [unrolled: 1-line block ×4, first 2 shown]
.LBB4_5320:                             ;   in Loop: Header=BB4_3637 Depth=1
	s_or_b64 exec, exec, s[20:21]
	buffer_load_dword v0, off, s[0:3], s33 offset:140 ; 4-byte Folded Reload
	v_bfrev_b32_e32 v43, 1
	s_mov_b64 s[18:19], 0
                                        ; implicit-def: $vgpr1
                                        ; implicit-def: $vgpr3
	s_waitcnt vmcnt(0)
	v_and_b32_e32 v2, 0x3ffff800, v0
	v_cmp_ne_u32_e32 vcc, v0, v2
	v_mov_b32_e32 v0, 0
	s_and_saveexec_b64 s[74:75], vcc
	s_cbranch_execz .LBB4_6134
; %bb.5321:                             ;   in Loop: Header=BB4_3637 Depth=1
	buffer_load_dword v7, off, s[0:3], s33 offset:140 ; 4-byte Folded Reload
	buffer_load_dword v3, off, s[0:3], s33 offset:176 ; 4-byte Folded Reload
	v_lshlrev_b32_e32 v1, 6, v57
	s_waitcnt vmcnt(1)
	v_bfe_u32 v6, v7, 10, 1
	s_waitcnt vmcnt(0)
	v_sub_u32_e32 v1, v3, v1
	v_ashrrev_i32_e32 v3, 31, v1
	v_lshrrev_b32_e32 v3, 26, v3
	v_add_u32_e32 v3, v1, v3
	v_ashrrev_i32_e32 v4, 6, v3
	v_and_b32_e32 v3, 0xffffffc0, v3
	v_sub_u32_e32 v3, v1, v3
	v_lshlrev_b32_e32 v1, 4, v3
	v_lshl_add_u32 v5, v4, 10, v1
	v_and_b32_e32 v1, 0x3ff, v7
	v_cmp_lt_u32_e64 s[18:19], 15, v1
	v_and_b32_e32 v0, 0x7ff, v7
	v_addc_co_u32_e64 v6, vcc, 0, v6, s[18:19]
	v_sub_u32_e32 v0, v0, v5
	v_sub_u32_e32 v4, v6, v4
	v_cmp_lt_i32_e32 vcc, 15, v0
	s_mov_b64 s[76:77], exec
	buffer_load_dword v50, off, s[0:3], s33 offset:120 ; 4-byte Folded Reload
	s_and_b64 s[20:21], s[76:77], vcc
	s_mov_b64 exec, s[20:21]
	s_cbranch_execz .LBB4_6133
; %bb.5322:                             ;   in Loop: Header=BB4_3637 Depth=1
	s_trap 2
	buffer_load_dword v51, off, s[0:3], s33 offset:148 ; 4-byte Folded Reload
	v_add_u32_e32 v2, v5, v2
	ds_read_b64 v[5:6], v0
	v_ashrrev_i32_e32 v7, 31, v2
	v_add_co_u32_e32 v14, vcc, v2, v10
	v_addc_co_u32_e32 v15, vcc, v7, v11, vcc
	s_waitcnt lgkmcnt(0)
	v_readfirstlane_b32 s20, v5
	s_and_b32 s21, s20, 7
	s_flbit_i32_b32 s21, s21
	s_min_u32 s21, s21, 32
	s_and_b32 s78, s20, 0x7f
	s_bfe_u32 s79, s20, 0x40003
	s_sub_i32 s88, s21, 28
	s_sub_i32 s21, 29, s21
	s_cmp_lt_u32 s78, 8
	v_add_co_u32_e32 v16, vcc, v5, v2
	s_cselect_b32 s88, s88, 0
	s_cselect_b32 s21, s21, s79
	v_addc_co_u32_e32 v17, vcc, v6, v7, vcc
	v_lshlrev_b64 v[5:6], s88, v[5:6]
	s_lshl_b32 s79, s20, 24
	s_lshl_b32 s21, s21, 23
	s_and_b32 s79, s79, 0x80000000
	s_add_i32 s21, s21, 0x3c000000
	v_add_co_u32_e32 v52, vcc, v2, v18
	v_lshlrev_b32_e32 v2, 20, v5
	s_or_b32 s21, s79, s21
	v_addc_co_u32_e32 v53, vcc, v7, v19, vcc
	v_and_b32_e32 v2, 0x700000, v2
	s_cmpk_lg_i32 s78, 0x7f
	v_mov_b32_e32 v47, v11
	v_mov_b32_e32 v45, v19
	v_or_b32_e32 v2, s21, v2
	s_cselect_b64 vcc, -1, 0
	v_mov_b32_e32 v42, 0x7f800001
	v_mov_b32_e32 v46, v10
	;; [unrolled: 1-line block ×3, first 2 shown]
	v_cndmask_b32_e32 v5, v42, v2, vcc
	s_mov_b64 s[78:79], 0
	s_and_b32 s30, s20, 0xff
	s_branch .LBB4_5324
.LBB4_5323:                             ;   in Loop: Header=BB4_5324 Depth=2
	s_or_b64 exec, exec, s[20:21]
	v_lshl_or_b32 v11, v25, 8, v20
	v_lshlrev_b32_e32 v12, 16, v27
	v_lshlrev_b32_e32 v13, 24, v30
	v_or3_b32 v28, v11, v12, v13
	v_lshl_or_b32 v2, v7, 8, v2
	v_lshlrev_b32_e32 v7, 16, v18
	v_lshlrev_b32_e32 v11, 24, v23
	v_add_co_u32_e32 v14, vcc, v14, v51
	v_or3_b32 v27, v2, v7, v11
	v_lshl_or_b32 v2, v21, 8, v8
	v_lshlrev_b32_e32 v7, 16, v24
	v_lshlrev_b32_e32 v8, 24, v26
	v_addc_co_u32_e32 v15, vcc, 0, v15, vcc
	v_or3_b32 v29, v2, v7, v8
	v_lshlrev_b32_e32 v2, 24, v10
	v_lshlrev_b32_e32 v7, 16, v19
	v_lshl_or_b32 v6, v9, 8, v6
	v_add_co_u32_e32 v16, vcc, v16, v51
	v_or3_b32 v30, v6, v7, v2
	v_addc_co_u32_e32 v17, vcc, 0, v17, vcc
	global_store_dwordx4 v[52:53], v[27:30], off glc slc
	v_add_co_u32_e32 v52, vcc, v52, v51
	v_addc_co_u32_e32 v53, vcc, 0, v53, vcc
	v_sub_u32_e32 v0, v0, v51
	v_cmp_gt_i32_e32 vcc, 16, v0
	s_or_b64 s[78:79], vcc, s[78:79]
	v_sub_u32_e32 v4, v4, v50
	s_andn2_b64 exec, exec, s[78:79]
	s_cbranch_execz .LBB4_6132
.LBB4_5324:                             ;   Parent Loop BB4_3637 Depth=1
                                        ; =>  This Inner Loop Header: Depth=2
	s_cmpk_lt_i32 s30, 0x80
	s_cbranch_scc1 .LBB4_5328
; %bb.5325:                             ;   in Loop: Header=BB4_5324 Depth=2
	s_and_b32 s20, 0xffff, s30
	s_cmpk_eq_i32 s20, 0x80
	s_mov_b64 s[20:21], -1
	s_cbranch_scc0 .LBB4_5327
; %bb.5326:                             ;   in Loop: Header=BB4_5324 Depth=2
	s_mov_b64 s[20:21], 0
.LBB4_5327:                             ;   in Loop: Header=BB4_5324 Depth=2
	s_brev_b32 s90, 1
	s_branch .LBB4_5330
.LBB4_5328:                             ;   in Loop: Header=BB4_5324 Depth=2
	s_mov_b64 s[20:21], 0
	s_brev_b32 s90, 1
	s_cbranch_execz .LBB4_5330
; %bb.5329:                             ;   in Loop: Header=BB4_5324 Depth=2
	s_and_b32 s20, 0xffff, s30
	s_cmp_lg_u32 s20, 0
	s_mov_b32 s90, 0
	s_cselect_b64 s[20:21], -1, 0
.LBB4_5330:                             ;   in Loop: Header=BB4_5324 Depth=2
	s_andn2_b64 vcc, exec, s[20:21]
	v_mov_b32_e32 v7, s90
	s_cbranch_vccnz .LBB4_5332
; %bb.5331:                             ;   in Loop: Header=BB4_5324 Depth=2
	v_mov_b32_e32 v7, v5
.LBB4_5332:                             ;   in Loop: Header=BB4_5324 Depth=2
	global_load_dwordx4 v[10:13], v[14:15], off glc slc
	v_mov_b32_e32 v2, 0
	s_waitcnt vmcnt(0)
	v_cmp_ne_u16_sdwa s[88:89], v10, v35 src0_sel:BYTE_0 src1_sel:DWORD
	s_and_saveexec_b64 s[20:21], s[88:89]
	s_cbranch_execz .LBB4_5338
; %bb.5333:                             ;   in Loop: Header=BB4_5324 Depth=2
	v_cmp_ne_u16_sdwa s[90:91], v10, s50 src0_sel:BYTE_0 src1_sel:DWORD
	v_bfrev_b32_e32 v2, 1
	s_and_saveexec_b64 s[88:89], s[90:91]
	s_cbranch_execz .LBB4_5337
; %bb.5334:                             ;   in Loop: Header=BB4_5324 Depth=2
	v_and_b32_e32 v6, 0x7f, v10
	v_cmp_ne_u32_e32 vcc, s39, v6
	v_mov_b32_e32 v2, 0x7f800001
	s_and_saveexec_b64 s[90:91], vcc
	s_cbranch_execz .LBB4_5336
; %bb.5335:                             ;   in Loop: Header=BB4_5324 Depth=2
	v_and_b32_e32 v2, 7, v10
	v_ffbh_u32_e32 v2, v2
	v_min_u32_e32 v2, 32, v2
	v_lshrrev_b32_e32 v8, 3, v6
	v_cmp_gt_u32_e32 vcc, 8, v6
	v_subrev_u32_e32 v6, 28, v2
	v_sub_u32_e32 v2, 29, v2
	v_cndmask_b32_e32 v6, 0, v6, vcc
	v_cndmask_b32_e32 v2, v8, v2, vcc
	v_lshlrev_b64 v[8:9], v6, v[10:11]
	v_lshl_add_u32 v2, v2, 23, v58
	v_lshlrev_b32_e32 v6, 20, v8
	v_lshlrev_b32_e32 v8, 24, v10
	v_and_b32_e32 v6, 0x700000, v6
	v_and_b32_e32 v8, 0x80000000, v8
	v_or3_b32 v2, v8, v2, v6
.LBB4_5336:                             ;   in Loop: Header=BB4_5324 Depth=2
	s_or_b64 exec, exec, s[90:91]
.LBB4_5337:                             ;   in Loop: Header=BB4_5324 Depth=2
	s_or_b64 exec, exec, s[88:89]
.LBB4_5338:                             ;   in Loop: Header=BB4_5324 Depth=2
	s_or_b64 exec, exec, s[20:21]
	v_mul_f32_e32 v8, v7, v2
	v_and_b32_e32 v34, 0x7f800000, v8
	v_cmp_ne_u64_e32 vcc, s[46:47], v[34:35]
                                        ; implicit-def: $vgpr2
	s_and_saveexec_b64 s[20:21], vcc
	s_xor_b64 s[88:89], exec, s[20:21]
	s_cbranch_execz .LBB4_5352
; %bb.5339:                             ;   in Loop: Header=BB4_5324 Depth=2
	v_and_b32_e32 v34, 0x7fffffff, v8
	v_cmp_gt_u64_e32 vcc, s[56:57], v[34:35]
	v_and_b32_sdwa v6, v8, s50 dst_sel:DWORD dst_unused:UNUSED_PAD src0_sel:BYTE_3 src1_sel:DWORD
                                        ; implicit-def: $vgpr2
	s_and_saveexec_b64 s[20:21], vcc
	s_xor_b64 s[90:91], exec, s[20:21]
	s_cbranch_execz .LBB4_5349
; %bb.5340:                             ;   in Loop: Header=BB4_5324 Depth=2
	v_mov_b32_e32 v2, 0
	v_cmp_ne_u32_e32 vcc, 0, v8
	s_and_saveexec_b64 s[92:93], vcc
	s_cbranch_execz .LBB4_5348
; %bb.5341:                             ;   in Loop: Header=BB4_5324 Depth=2
	v_bfe_u32 v2, v8, 23, 8
	v_and_b32_e32 v9, 0x7fffff, v8
	v_cmp_gt_u32_e64 s[20:21], s51, v2
	v_sub_u32_e32 v8, 0x79, v2
	v_cmp_eq_u32_e32 vcc, 0, v2
	v_cndmask_b32_e64 v8, 0, v8, s[20:21]
	v_or_b32_e32 v18, 0x800000, v9
	v_cndmask_b32_e32 v8, v8, v59, vcc
	v_cndmask_b32_e32 v34, v18, v9, vcc
	v_add_u32_e32 v9, 20, v8
	v_lshlrev_b64 v[18:19], v9, -1
	v_add_u32_e32 v9, 19, v8
	v_lshlrev_b64 v[20:21], v9, 1
	v_bfi_b32 v19, v19, 0, 0
	v_bfi_b32 v18, v18, 0, v34
	v_lshrrev_b64 v[54:55], v8, v[34:35]
	v_cmp_eq_u64_e64 s[20:21], v[18:19], v[20:21]
	v_mov_b32_e32 v39, v54
	v_mov_b32_e32 v40, v55
	s_and_saveexec_b64 s[94:95], s[20:21]
; %bb.5342:                             ;   in Loop: Header=BB4_5324 Depth=2
	v_bfe_u32 v9, v54, 20, 1
	v_add_co_u32_e64 v9, s[20:21], v54, v9
	v_add_co_u32_e64 v39, s[20:21], -1, v9
; %bb.5343:                             ;   in Loop: Header=BB4_5324 Depth=2
	s_or_b64 exec, exec, s[94:95]
	v_add_u32_e32 v2, 0xffffff81, v2
	v_cndmask_b32_e32 v2, v2, v60, vcc
	v_lshrrev_b32_e32 v9, 23, v54
	v_add3_u32 v9, v8, v2, v9
	v_add_u32_e32 v8, 6, v9
	v_and_b32_e32 v2, 0xfffff, v39
	v_add_u32_e32 v34, v2, v54
	v_cmp_ne_u32_e32 vcc, 0, v8
                                        ; implicit-def: $vgpr54_vgpr55
                                        ; implicit-def: $vgpr2
	s_and_saveexec_b64 s[20:21], vcc
	s_xor_b64 s[20:21], exec, s[20:21]
; %bb.5344:                             ;   in Loop: Header=BB4_5324 Depth=2
	v_cmp_lt_u64_e32 vcc, s[58:59], v[34:35]
	v_add_u32_e32 v2, 7, v9
	v_cndmask_b32_e32 v2, v8, v2, vcc
	v_cndmask_b32_e64 v8, 0, 1, vcc
	v_lshrrev_b64 v[54:55], v8, v[34:35]
; %bb.5345:                             ;   in Loop: Header=BB4_5324 Depth=2
	s_andn2_saveexec_b64 s[20:21], s[20:21]
; %bb.5346:                             ;   in Loop: Header=BB4_5324 Depth=2
	v_mov_b32_e32 v55, v35
	v_bfe_u32 v2, v34, 23, 1
	v_mov_b32_e32 v54, v34
; %bb.5347:                             ;   in Loop: Header=BB4_5324 Depth=2
	s_or_b64 exec, exec, s[20:21]
	v_lshrrev_b64 v[8:9], 20, v[54:55]
	v_cmp_gt_i32_e32 vcc, 16, v2
	v_cndmask_b32_e32 v9, 0, v9, vcc
	v_cndmask_b32_e32 v8, 7, v8, vcc
	v_cmp_eq_u32_e32 vcc, 0, v2
	v_min_i32_e32 v2, 15, v2
	v_cmp_eq_u64_e64 s[20:21], 0, v[8:9]
	v_lshlrev_b32_e32 v2, 3, v2
	v_and_b32_e32 v2, 0xf8, v2
	v_and_or_b32 v2, v8, 7, v2
	s_and_b64 s[20:21], vcc, s[20:21]
	v_cndmask_b32_e64 v2, v2, 0, s[20:21]
	v_or_b32_e32 v2, v2, v6
.LBB4_5348:                             ;   in Loop: Header=BB4_5324 Depth=2
	s_or_b64 exec, exec, s[92:93]
                                        ; implicit-def: $vgpr6
.LBB4_5349:                             ;   in Loop: Header=BB4_5324 Depth=2
	s_andn2_saveexec_b64 s[20:21], s[90:91]
; %bb.5350:                             ;   in Loop: Header=BB4_5324 Depth=2
	v_or_b32_e32 v2, 0x7e, v6
; %bb.5351:                             ;   in Loop: Header=BB4_5324 Depth=2
	s_or_b64 exec, exec, s[20:21]
                                        ; implicit-def: $vgpr8
.LBB4_5352:                             ;   in Loop: Header=BB4_5324 Depth=2
	s_andn2_saveexec_b64 s[20:21], s[88:89]
; %bb.5353:                             ;   in Loop: Header=BB4_5324 Depth=2
	v_or_b32_sdwa v2, v8, s39 dst_sel:DWORD dst_unused:UNUSED_PAD src0_sel:BYTE_3 src1_sel:DWORD
; %bb.5354:                             ;   in Loop: Header=BB4_5324 Depth=2
	s_or_b64 exec, exec, s[20:21]
	v_lshrrev_b16_e32 v30, 8, v10
	v_cmp_ne_u16_e32 vcc, 0, v30
	v_mov_b32_e32 v6, 0
	s_and_saveexec_b64 s[20:21], vcc
	s_cbranch_execz .LBB4_5360
; %bb.5355:                             ;   in Loop: Header=BB4_5324 Depth=2
	v_cmp_ne_u16_e32 vcc, s50, v30
	v_bfrev_b32_e32 v6, 1
	s_and_saveexec_b64 s[88:89], vcc
	s_cbranch_execz .LBB4_5359
; %bb.5356:                             ;   in Loop: Header=BB4_5324 Depth=2
	v_and_b32_e32 v8, 0x7f, v30
	v_cmp_ne_u32_e32 vcc, s39, v8
	v_mov_b32_e32 v6, 0x7f800001
	s_and_saveexec_b64 s[90:91], vcc
	s_cbranch_execz .LBB4_5358
; %bb.5357:                             ;   in Loop: Header=BB4_5324 Depth=2
	v_and_b32_e32 v6, 7, v30
	v_lshrrev_b32_e32 v18, 3, v8
	v_cmp_gt_u32_e32 vcc, 8, v8
	v_ffbh_u32_e32 v8, v6
	v_min_u32_e32 v19, 32, v8
	v_subrev_u32_e32 v8, 28, v19
	v_lshlrev_b64 v[8:9], v8, v[30:31]
	v_sub_u32_e32 v9, 29, v19
	v_and_b32_e32 v8, 7, v8
	v_cndmask_b32_e32 v9, v18, v9, vcc
	v_cndmask_b32_e32 v6, v6, v8, vcc
	v_lshlrev_b32_e32 v8, 16, v10
	v_lshlrev_b32_e32 v6, 20, v6
	v_and_b32_e32 v8, 0x80000000, v8
	v_lshl_add_u32 v9, v9, 23, v58
	v_or3_b32 v6, v8, v9, v6
.LBB4_5358:                             ;   in Loop: Header=BB4_5324 Depth=2
	s_or_b64 exec, exec, s[90:91]
.LBB4_5359:                             ;   in Loop: Header=BB4_5324 Depth=2
	s_or_b64 exec, exec, s[88:89]
.LBB4_5360:                             ;   in Loop: Header=BB4_5324 Depth=2
	s_or_b64 exec, exec, s[20:21]
	v_mul_f32_e32 v8, v7, v6
	v_and_b32_e32 v34, 0x7f800000, v8
	v_cmp_ne_u64_e32 vcc, s[46:47], v[34:35]
                                        ; implicit-def: $vgpr18
	s_and_saveexec_b64 s[20:21], vcc
	s_xor_b64 s[88:89], exec, s[20:21]
	s_cbranch_execz .LBB4_5374
; %bb.5361:                             ;   in Loop: Header=BB4_5324 Depth=2
	v_and_b32_e32 v34, 0x7fffffff, v8
	v_cmp_gt_u64_e32 vcc, s[56:57], v[34:35]
	v_and_b32_sdwa v6, v8, s50 dst_sel:DWORD dst_unused:UNUSED_PAD src0_sel:BYTE_3 src1_sel:DWORD
                                        ; implicit-def: $vgpr18
	s_and_saveexec_b64 s[20:21], vcc
	s_xor_b64 s[90:91], exec, s[20:21]
	s_cbranch_execz .LBB4_5371
; %bb.5362:                             ;   in Loop: Header=BB4_5324 Depth=2
	v_mov_b32_e32 v18, 0
	v_cmp_ne_u32_e32 vcc, 0, v8
	s_and_saveexec_b64 s[92:93], vcc
	s_cbranch_execz .LBB4_5370
; %bb.5363:                             ;   in Loop: Header=BB4_5324 Depth=2
	v_and_b32_e32 v18, 0x7fffff, v8
	v_bfe_u32 v8, v8, 23, 8
	v_cmp_gt_u32_e64 s[20:21], s51, v8
	v_sub_u32_e32 v9, 0x79, v8
	v_cmp_eq_u32_e32 vcc, 0, v8
	v_cndmask_b32_e64 v9, 0, v9, s[20:21]
	v_or_b32_e32 v19, 0x800000, v18
	v_cndmask_b32_e32 v9, v9, v59, vcc
	v_cndmask_b32_e32 v34, v19, v18, vcc
	v_add_u32_e32 v18, 20, v9
	v_lshlrev_b64 v[18:19], v18, -1
	v_add_u32_e32 v20, 19, v9
	v_lshlrev_b64 v[20:21], v20, 1
	v_bfi_b32 v19, v19, 0, 0
	v_bfi_b32 v18, v18, 0, v34
	v_lshrrev_b64 v[54:55], v9, v[34:35]
	v_cmp_eq_u64_e64 s[20:21], v[18:19], v[20:21]
	v_mov_b32_e32 v39, v54
	v_mov_b32_e32 v40, v55
	s_and_saveexec_b64 s[94:95], s[20:21]
; %bb.5364:                             ;   in Loop: Header=BB4_5324 Depth=2
	v_bfe_u32 v18, v54, 20, 1
	v_add_co_u32_e64 v18, s[20:21], v54, v18
	v_add_co_u32_e64 v39, s[20:21], -1, v18
; %bb.5365:                             ;   in Loop: Header=BB4_5324 Depth=2
	s_or_b64 exec, exec, s[94:95]
	v_add_u32_e32 v8, 0xffffff81, v8
	v_cndmask_b32_e32 v8, v8, v60, vcc
	v_lshrrev_b32_e32 v18, 23, v54
	v_add3_u32 v18, v9, v8, v18
	v_add_u32_e32 v9, 6, v18
	v_and_b32_e32 v8, 0xfffff, v39
	v_add_u32_e32 v34, v8, v54
	v_cmp_ne_u32_e32 vcc, 0, v9
                                        ; implicit-def: $vgpr54_vgpr55
                                        ; implicit-def: $vgpr8
	s_and_saveexec_b64 s[20:21], vcc
	s_xor_b64 s[20:21], exec, s[20:21]
; %bb.5366:                             ;   in Loop: Header=BB4_5324 Depth=2
	v_cmp_lt_u64_e32 vcc, s[58:59], v[34:35]
	v_add_u32_e32 v8, 7, v18
	v_cndmask_b32_e32 v8, v9, v8, vcc
	v_cndmask_b32_e64 v9, 0, 1, vcc
	v_lshrrev_b64 v[54:55], v9, v[34:35]
; %bb.5367:                             ;   in Loop: Header=BB4_5324 Depth=2
	s_andn2_saveexec_b64 s[20:21], s[20:21]
; %bb.5368:                             ;   in Loop: Header=BB4_5324 Depth=2
	v_mov_b32_e32 v55, v35
	v_bfe_u32 v8, v34, 23, 1
	v_mov_b32_e32 v54, v34
; %bb.5369:                             ;   in Loop: Header=BB4_5324 Depth=2
	s_or_b64 exec, exec, s[20:21]
	v_lshrrev_b64 v[18:19], 20, v[54:55]
	v_cmp_gt_i32_e32 vcc, 16, v8
	v_cndmask_b32_e32 v19, 0, v19, vcc
	v_cndmask_b32_e32 v18, 7, v18, vcc
	v_cmp_eq_u32_e32 vcc, 0, v8
	v_min_i32_e32 v8, 15, v8
	v_cmp_eq_u64_e64 s[20:21], 0, v[18:19]
	v_lshlrev_b32_e32 v8, 3, v8
	v_and_b32_e32 v8, 0xf8, v8
	v_and_or_b32 v8, v18, 7, v8
	s_and_b64 s[20:21], vcc, s[20:21]
	v_cndmask_b32_e64 v8, v8, 0, s[20:21]
	v_or_b32_e32 v18, v8, v6
.LBB4_5370:                             ;   in Loop: Header=BB4_5324 Depth=2
	s_or_b64 exec, exec, s[92:93]
                                        ; implicit-def: $vgpr6
.LBB4_5371:                             ;   in Loop: Header=BB4_5324 Depth=2
	s_andn2_saveexec_b64 s[20:21], s[90:91]
; %bb.5372:                             ;   in Loop: Header=BB4_5324 Depth=2
	v_or_b32_e32 v18, 0x7e, v6
; %bb.5373:                             ;   in Loop: Header=BB4_5324 Depth=2
	s_or_b64 exec, exec, s[20:21]
                                        ; implicit-def: $vgpr8
.LBB4_5374:                             ;   in Loop: Header=BB4_5324 Depth=2
	s_andn2_saveexec_b64 s[20:21], s[88:89]
; %bb.5375:                             ;   in Loop: Header=BB4_5324 Depth=2
	v_or_b32_sdwa v18, v8, s39 dst_sel:DWORD dst_unused:UNUSED_PAD src0_sel:BYTE_3 src1_sel:DWORD
; %bb.5376:                             ;   in Loop: Header=BB4_5324 Depth=2
	s_or_b64 exec, exec, s[20:21]
	v_lshrrev_b32_e32 v30, 16, v10
	v_cmp_ne_u16_sdwa s[88:89], v30, v35 src0_sel:BYTE_0 src1_sel:DWORD
	v_mov_b32_e32 v6, 0
	s_and_saveexec_b64 s[20:21], s[88:89]
	s_cbranch_execz .LBB4_5382
; %bb.5377:                             ;   in Loop: Header=BB4_5324 Depth=2
	v_cmp_ne_u16_sdwa s[90:91], v30, s50 src0_sel:BYTE_0 src1_sel:DWORD
	v_bfrev_b32_e32 v6, 1
	s_and_saveexec_b64 s[88:89], s[90:91]
	s_cbranch_execz .LBB4_5381
; %bb.5378:                             ;   in Loop: Header=BB4_5324 Depth=2
	v_bfe_u32 v8, v10, 16, 7
	v_cmp_ne_u32_e32 vcc, s39, v8
	v_mov_b32_e32 v6, 0x7f800001
	s_and_saveexec_b64 s[90:91], vcc
	s_cbranch_execz .LBB4_5380
; %bb.5379:                             ;   in Loop: Header=BB4_5324 Depth=2
	v_and_b32_e32 v6, 7, v30
	v_lshrrev_b32_e32 v19, 3, v8
	v_cmp_gt_u32_e32 vcc, 8, v8
	v_ffbh_u32_e32 v8, v6
	v_min_u32_e32 v20, 32, v8
	v_subrev_u32_e32 v8, 28, v20
	v_lshlrev_b64 v[8:9], v8, v[30:31]
	v_sub_u32_e32 v9, 29, v20
	v_and_b32_e32 v8, 7, v8
	v_cndmask_b32_e32 v9, v19, v9, vcc
	v_cndmask_b32_e32 v6, v6, v8, vcc
	v_lshlrev_b32_e32 v8, 24, v30
	v_lshlrev_b32_e32 v6, 20, v6
	v_and_b32_e32 v8, 0x80000000, v8
	v_lshl_add_u32 v9, v9, 23, v58
	v_or3_b32 v6, v8, v9, v6
.LBB4_5380:                             ;   in Loop: Header=BB4_5324 Depth=2
	s_or_b64 exec, exec, s[90:91]
.LBB4_5381:                             ;   in Loop: Header=BB4_5324 Depth=2
	s_or_b64 exec, exec, s[88:89]
.LBB4_5382:                             ;   in Loop: Header=BB4_5324 Depth=2
	s_or_b64 exec, exec, s[20:21]
	v_mul_f32_e32 v8, v7, v6
	v_and_b32_e32 v34, 0x7f800000, v8
	v_cmp_ne_u64_e32 vcc, s[46:47], v[34:35]
                                        ; implicit-def: $vgpr23
	s_and_saveexec_b64 s[20:21], vcc
	s_xor_b64 s[88:89], exec, s[20:21]
	s_cbranch_execz .LBB4_5396
; %bb.5383:                             ;   in Loop: Header=BB4_5324 Depth=2
	v_and_b32_e32 v34, 0x7fffffff, v8
	v_cmp_gt_u64_e32 vcc, s[56:57], v[34:35]
	v_and_b32_sdwa v6, v8, s50 dst_sel:DWORD dst_unused:UNUSED_PAD src0_sel:BYTE_3 src1_sel:DWORD
                                        ; implicit-def: $vgpr23
	s_and_saveexec_b64 s[20:21], vcc
	s_xor_b64 s[90:91], exec, s[20:21]
	s_cbranch_execz .LBB4_5393
; %bb.5384:                             ;   in Loop: Header=BB4_5324 Depth=2
	v_mov_b32_e32 v23, 0
	v_cmp_ne_u32_e32 vcc, 0, v8
	s_and_saveexec_b64 s[92:93], vcc
	s_cbranch_execz .LBB4_5392
; %bb.5385:                             ;   in Loop: Header=BB4_5324 Depth=2
	v_and_b32_e32 v19, 0x7fffff, v8
	v_bfe_u32 v8, v8, 23, 8
	v_cmp_gt_u32_e64 s[20:21], s51, v8
	v_sub_u32_e32 v9, 0x79, v8
	v_cmp_eq_u32_e32 vcc, 0, v8
	v_cndmask_b32_e64 v9, 0, v9, s[20:21]
	v_or_b32_e32 v20, 0x800000, v19
	v_cndmask_b32_e32 v9, v9, v59, vcc
	v_cndmask_b32_e32 v34, v20, v19, vcc
	v_add_u32_e32 v19, 20, v9
	v_lshlrev_b64 v[19:20], v19, -1
	v_add_u32_e32 v21, 19, v9
	v_lshlrev_b64 v[21:22], v21, 1
	v_bfi_b32 v20, v20, 0, 0
	v_bfi_b32 v19, v19, 0, v34
	v_lshrrev_b64 v[54:55], v9, v[34:35]
	v_cmp_eq_u64_e64 s[20:21], v[19:20], v[21:22]
	v_mov_b32_e32 v39, v54
	v_mov_b32_e32 v40, v55
	s_and_saveexec_b64 s[94:95], s[20:21]
; %bb.5386:                             ;   in Loop: Header=BB4_5324 Depth=2
	v_bfe_u32 v19, v54, 20, 1
	v_add_co_u32_e64 v19, s[20:21], v54, v19
	v_add_co_u32_e64 v39, s[20:21], -1, v19
; %bb.5387:                             ;   in Loop: Header=BB4_5324 Depth=2
	s_or_b64 exec, exec, s[94:95]
	v_add_u32_e32 v8, 0xffffff81, v8
	v_cndmask_b32_e32 v8, v8, v60, vcc
	v_lshrrev_b32_e32 v19, 23, v54
	v_add3_u32 v19, v9, v8, v19
	v_add_u32_e32 v9, 6, v19
	v_and_b32_e32 v8, 0xfffff, v39
	v_add_u32_e32 v34, v8, v54
	v_cmp_ne_u32_e32 vcc, 0, v9
                                        ; implicit-def: $vgpr54_vgpr55
                                        ; implicit-def: $vgpr8
	s_and_saveexec_b64 s[20:21], vcc
	s_xor_b64 s[20:21], exec, s[20:21]
; %bb.5388:                             ;   in Loop: Header=BB4_5324 Depth=2
	v_cmp_lt_u64_e32 vcc, s[58:59], v[34:35]
	v_add_u32_e32 v8, 7, v19
	v_cndmask_b32_e32 v8, v9, v8, vcc
	v_cndmask_b32_e64 v9, 0, 1, vcc
	v_lshrrev_b64 v[54:55], v9, v[34:35]
; %bb.5389:                             ;   in Loop: Header=BB4_5324 Depth=2
	s_andn2_saveexec_b64 s[20:21], s[20:21]
; %bb.5390:                             ;   in Loop: Header=BB4_5324 Depth=2
	v_mov_b32_e32 v55, v35
	v_bfe_u32 v8, v34, 23, 1
	v_mov_b32_e32 v54, v34
; %bb.5391:                             ;   in Loop: Header=BB4_5324 Depth=2
	s_or_b64 exec, exec, s[20:21]
	v_lshrrev_b64 v[19:20], 20, v[54:55]
	v_cmp_gt_i32_e32 vcc, 16, v8
	v_cndmask_b32_e32 v20, 0, v20, vcc
	v_cndmask_b32_e32 v19, 7, v19, vcc
	v_cmp_eq_u32_e32 vcc, 0, v8
	v_min_i32_e32 v8, 15, v8
	v_cmp_eq_u64_e64 s[20:21], 0, v[19:20]
	v_lshlrev_b32_e32 v8, 3, v8
	v_and_b32_e32 v8, 0xf8, v8
	v_and_or_b32 v8, v19, 7, v8
	s_and_b64 s[20:21], vcc, s[20:21]
	v_cndmask_b32_e64 v8, v8, 0, s[20:21]
	v_or_b32_e32 v23, v8, v6
.LBB4_5392:                             ;   in Loop: Header=BB4_5324 Depth=2
	s_or_b64 exec, exec, s[92:93]
                                        ; implicit-def: $vgpr6
.LBB4_5393:                             ;   in Loop: Header=BB4_5324 Depth=2
	s_andn2_saveexec_b64 s[20:21], s[90:91]
; %bb.5394:                             ;   in Loop: Header=BB4_5324 Depth=2
	v_or_b32_e32 v23, 0x7e, v6
; %bb.5395:                             ;   in Loop: Header=BB4_5324 Depth=2
	s_or_b64 exec, exec, s[20:21]
                                        ; implicit-def: $vgpr8
.LBB4_5396:                             ;   in Loop: Header=BB4_5324 Depth=2
	s_andn2_saveexec_b64 s[20:21], s[88:89]
; %bb.5397:                             ;   in Loop: Header=BB4_5324 Depth=2
	v_or_b32_sdwa v23, v8, s39 dst_sel:DWORD dst_unused:UNUSED_PAD src0_sel:BYTE_3 src1_sel:DWORD
; %bb.5398:                             ;   in Loop: Header=BB4_5324 Depth=2
	s_or_b64 exec, exec, s[20:21]
	v_cmp_lt_u32_e32 vcc, s61, v10
	v_mov_b32_e32 v6, 0
	s_and_saveexec_b64 s[20:21], vcc
	s_cbranch_execz .LBB4_5404
; %bb.5399:                             ;   in Loop: Header=BB4_5324 Depth=2
	v_lshrrev_b32_e32 v30, 24, v10
	v_cmp_ne_u32_e32 vcc, s50, v30
	v_bfrev_b32_e32 v6, 1
	s_and_saveexec_b64 s[88:89], vcc
	s_cbranch_execz .LBB4_5403
; %bb.5400:                             ;   in Loop: Header=BB4_5324 Depth=2
	v_bfe_u32 v8, v10, 24, 7
	v_cmp_ne_u32_e32 vcc, s39, v8
	v_mov_b32_e32 v6, 0x7f800001
	s_and_saveexec_b64 s[90:91], vcc
	s_cbranch_execz .LBB4_5402
; %bb.5401:                             ;   in Loop: Header=BB4_5324 Depth=2
	v_and_b32_e32 v6, 7, v30
	v_lshrrev_b32_e32 v19, 3, v8
	v_cmp_gt_u32_e32 vcc, 8, v8
	v_ffbh_u32_e32 v8, v6
	v_min_u32_e32 v20, 32, v8
	v_subrev_u32_e32 v8, 28, v20
	v_lshlrev_b64 v[8:9], v8, v[30:31]
	v_sub_u32_e32 v9, 29, v20
	v_and_b32_e32 v8, 7, v8
	v_cndmask_b32_e32 v9, v19, v9, vcc
	v_cndmask_b32_e32 v6, v6, v8, vcc
	v_lshlrev_b32_e32 v8, 24, v30
	v_lshlrev_b32_e32 v6, 20, v6
	v_and_b32_e32 v8, 0x80000000, v8
	v_lshl_add_u32 v9, v9, 23, v58
	v_or3_b32 v6, v8, v9, v6
.LBB4_5402:                             ;   in Loop: Header=BB4_5324 Depth=2
	s_or_b64 exec, exec, s[90:91]
.LBB4_5403:                             ;   in Loop: Header=BB4_5324 Depth=2
	s_or_b64 exec, exec, s[88:89]
.LBB4_5404:                             ;   in Loop: Header=BB4_5324 Depth=2
	s_or_b64 exec, exec, s[20:21]
	v_mul_f32_e32 v8, v7, v6
	v_and_b32_e32 v34, 0x7f800000, v8
	v_cmp_ne_u64_e32 vcc, s[46:47], v[34:35]
                                        ; implicit-def: $vgpr32
	s_and_saveexec_b64 s[20:21], vcc
	s_xor_b64 s[88:89], exec, s[20:21]
	s_cbranch_execz .LBB4_5418
; %bb.5405:                             ;   in Loop: Header=BB4_5324 Depth=2
	v_and_b32_e32 v34, 0x7fffffff, v8
	v_cmp_gt_u64_e32 vcc, s[56:57], v[34:35]
	v_and_b32_sdwa v6, v8, s50 dst_sel:DWORD dst_unused:UNUSED_PAD src0_sel:BYTE_3 src1_sel:DWORD
                                        ; implicit-def: $vgpr32
	s_and_saveexec_b64 s[20:21], vcc
	s_xor_b64 s[90:91], exec, s[20:21]
	s_cbranch_execz .LBB4_5415
; %bb.5406:                             ;   in Loop: Header=BB4_5324 Depth=2
	v_mov_b32_e32 v32, 0
	v_cmp_ne_u32_e32 vcc, 0, v8
	s_and_saveexec_b64 s[92:93], vcc
	s_cbranch_execz .LBB4_5414
; %bb.5407:                             ;   in Loop: Header=BB4_5324 Depth=2
	v_and_b32_e32 v19, 0x7fffff, v8
	v_bfe_u32 v8, v8, 23, 8
	v_cmp_gt_u32_e64 s[20:21], s51, v8
	v_sub_u32_e32 v9, 0x79, v8
	v_cmp_eq_u32_e32 vcc, 0, v8
	v_cndmask_b32_e64 v9, 0, v9, s[20:21]
	v_or_b32_e32 v20, 0x800000, v19
	v_cndmask_b32_e32 v9, v9, v59, vcc
	v_cndmask_b32_e32 v34, v20, v19, vcc
	v_add_u32_e32 v19, 20, v9
	v_lshlrev_b64 v[19:20], v19, -1
	v_add_u32_e32 v21, 19, v9
	v_lshlrev_b64 v[21:22], v21, 1
	v_bfi_b32 v20, v20, 0, 0
	v_bfi_b32 v19, v19, 0, v34
	v_lshrrev_b64 v[54:55], v9, v[34:35]
	v_cmp_eq_u64_e64 s[20:21], v[19:20], v[21:22]
	v_mov_b32_e32 v39, v54
	v_mov_b32_e32 v40, v55
	s_and_saveexec_b64 s[94:95], s[20:21]
; %bb.5408:                             ;   in Loop: Header=BB4_5324 Depth=2
	v_bfe_u32 v19, v54, 20, 1
	v_add_co_u32_e64 v19, s[20:21], v54, v19
	v_add_co_u32_e64 v39, s[20:21], -1, v19
; %bb.5409:                             ;   in Loop: Header=BB4_5324 Depth=2
	s_or_b64 exec, exec, s[94:95]
	v_add_u32_e32 v8, 0xffffff81, v8
	v_cndmask_b32_e32 v8, v8, v60, vcc
	v_lshrrev_b32_e32 v19, 23, v54
	v_add3_u32 v19, v9, v8, v19
	v_add_u32_e32 v9, 6, v19
	v_and_b32_e32 v8, 0xfffff, v39
	v_add_u32_e32 v34, v8, v54
	v_cmp_ne_u32_e32 vcc, 0, v9
                                        ; implicit-def: $vgpr54_vgpr55
                                        ; implicit-def: $vgpr8
	s_and_saveexec_b64 s[20:21], vcc
	s_xor_b64 s[20:21], exec, s[20:21]
; %bb.5410:                             ;   in Loop: Header=BB4_5324 Depth=2
	v_cmp_lt_u64_e32 vcc, s[58:59], v[34:35]
	v_add_u32_e32 v8, 7, v19
	v_cndmask_b32_e32 v8, v9, v8, vcc
	v_cndmask_b32_e64 v9, 0, 1, vcc
	v_lshrrev_b64 v[54:55], v9, v[34:35]
; %bb.5411:                             ;   in Loop: Header=BB4_5324 Depth=2
	s_andn2_saveexec_b64 s[20:21], s[20:21]
; %bb.5412:                             ;   in Loop: Header=BB4_5324 Depth=2
	v_mov_b32_e32 v55, v35
	v_bfe_u32 v8, v34, 23, 1
	v_mov_b32_e32 v54, v34
; %bb.5413:                             ;   in Loop: Header=BB4_5324 Depth=2
	s_or_b64 exec, exec, s[20:21]
	v_lshrrev_b64 v[19:20], 20, v[54:55]
	v_cmp_gt_i32_e32 vcc, 16, v8
	v_cndmask_b32_e32 v20, 0, v20, vcc
	v_cndmask_b32_e32 v19, 7, v19, vcc
	v_cmp_eq_u32_e32 vcc, 0, v8
	v_min_i32_e32 v8, 15, v8
	v_cmp_eq_u64_e64 s[20:21], 0, v[19:20]
	v_lshlrev_b32_e32 v8, 3, v8
	v_and_b32_e32 v8, 0xf8, v8
	v_and_or_b32 v8, v19, 7, v8
	s_and_b64 s[20:21], vcc, s[20:21]
	v_cndmask_b32_e64 v8, v8, 0, s[20:21]
	v_or_b32_e32 v32, v8, v6
.LBB4_5414:                             ;   in Loop: Header=BB4_5324 Depth=2
	s_or_b64 exec, exec, s[92:93]
                                        ; implicit-def: $vgpr6
.LBB4_5415:                             ;   in Loop: Header=BB4_5324 Depth=2
	s_andn2_saveexec_b64 s[20:21], s[90:91]
; %bb.5416:                             ;   in Loop: Header=BB4_5324 Depth=2
	v_or_b32_e32 v32, 0x7e, v6
; %bb.5417:                             ;   in Loop: Header=BB4_5324 Depth=2
	s_or_b64 exec, exec, s[20:21]
                                        ; implicit-def: $vgpr8
.LBB4_5418:                             ;   in Loop: Header=BB4_5324 Depth=2
	s_andn2_saveexec_b64 s[20:21], s[88:89]
; %bb.5419:                             ;   in Loop: Header=BB4_5324 Depth=2
	v_or_b32_sdwa v32, v8, s39 dst_sel:DWORD dst_unused:UNUSED_PAD src0_sel:BYTE_3 src1_sel:DWORD
; %bb.5420:                             ;   in Loop: Header=BB4_5324 Depth=2
	s_or_b64 exec, exec, s[20:21]
	v_mov_b32_e32 v34, v11
	v_cmp_ne_u16_sdwa s[88:89], v11, v35 src0_sel:BYTE_0 src1_sel:DWORD
	v_mov_b32_e32 v6, 0
	s_and_saveexec_b64 s[20:21], s[88:89]
	s_cbranch_execz .LBB4_5426
; %bb.5421:                             ;   in Loop: Header=BB4_5324 Depth=2
	v_cmp_ne_u16_sdwa s[90:91], v11, s50 src0_sel:BYTE_0 src1_sel:DWORD
	v_bfrev_b32_e32 v6, 1
	s_and_saveexec_b64 s[88:89], s[90:91]
	s_cbranch_execz .LBB4_5425
; %bb.5422:                             ;   in Loop: Header=BB4_5324 Depth=2
	v_and_b32_e32 v8, 0x7f, v11
	v_cmp_ne_u32_e32 vcc, s39, v8
	v_mov_b32_e32 v6, 0x7f800001
	s_and_saveexec_b64 s[90:91], vcc
	s_cbranch_execz .LBB4_5424
; %bb.5423:                             ;   in Loop: Header=BB4_5324 Depth=2
	v_and_b32_e32 v6, 7, v11
	v_ffbh_u32_e32 v6, v6
	v_min_u32_e32 v6, 32, v6
	v_lshrrev_b32_e32 v9, 3, v8
	v_cmp_gt_u32_e32 vcc, 8, v8
	v_subrev_u32_e32 v8, 28, v6
	v_sub_u32_e32 v6, 29, v6
	v_cndmask_b32_e32 v8, 0, v8, vcc
	v_cndmask_b32_e32 v6, v9, v6, vcc
	v_lshlrev_b64 v[8:9], v8, v[34:35]
	v_lshlrev_b32_e32 v9, 24, v34
	v_lshlrev_b32_e32 v8, 20, v8
	v_and_b32_e32 v8, 0x700000, v8
	v_and_b32_e32 v9, 0x80000000, v9
	v_lshl_add_u32 v6, v6, 23, v58
	v_or3_b32 v6, v9, v6, v8
.LBB4_5424:                             ;   in Loop: Header=BB4_5324 Depth=2
	s_or_b64 exec, exec, s[90:91]
.LBB4_5425:                             ;   in Loop: Header=BB4_5324 Depth=2
	s_or_b64 exec, exec, s[88:89]
.LBB4_5426:                             ;   in Loop: Header=BB4_5324 Depth=2
	s_or_b64 exec, exec, s[20:21]
	v_mul_f32_e32 v8, v7, v6
	v_and_b32_e32 v19, 0x7f800000, v8
	v_mov_b32_e32 v20, v35
	v_cmp_ne_u64_e32 vcc, s[46:47], v[19:20]
                                        ; implicit-def: $vgpr20
	s_and_saveexec_b64 s[20:21], vcc
	s_xor_b64 s[88:89], exec, s[20:21]
	s_cbranch_execz .LBB4_5440
; %bb.5427:                             ;   in Loop: Header=BB4_5324 Depth=2
	v_and_b32_e32 v19, 0x7fffffff, v8
	v_mov_b32_e32 v20, v35
	v_cmp_gt_u64_e32 vcc, s[56:57], v[19:20]
	v_and_b32_sdwa v6, v8, s50 dst_sel:DWORD dst_unused:UNUSED_PAD src0_sel:BYTE_3 src1_sel:DWORD
                                        ; implicit-def: $vgpr20
	s_and_saveexec_b64 s[20:21], vcc
	s_xor_b64 s[90:91], exec, s[20:21]
	s_cbranch_execz .LBB4_5437
; %bb.5428:                             ;   in Loop: Header=BB4_5324 Depth=2
	v_mov_b32_e32 v20, 0
	v_cmp_ne_u32_e32 vcc, 0, v8
	s_and_saveexec_b64 s[92:93], vcc
	s_cbranch_execz .LBB4_5436
; %bb.5429:                             ;   in Loop: Header=BB4_5324 Depth=2
	v_and_b32_e32 v19, 0x7fffff, v8
	v_bfe_u32 v8, v8, 23, 8
	v_cmp_gt_u32_e64 s[20:21], s51, v8
	v_sub_u32_e32 v9, 0x79, v8
	v_cmp_eq_u32_e32 vcc, 0, v8
	v_cndmask_b32_e64 v9, 0, v9, s[20:21]
	v_cndmask_b32_e32 v9, v9, v59, vcc
	v_add_u32_e32 v21, 20, v9
	v_or_b32_e32 v20, 0x800000, v19
	v_lshlrev_b64 v[21:22], v21, -1
	v_add_u32_e32 v24, 19, v9
	v_cndmask_b32_e32 v19, v20, v19, vcc
	v_mov_b32_e32 v20, v35
	v_lshlrev_b64 v[24:25], v24, 1
	v_bfi_b32 v22, v22, 0, 0
	v_bfi_b32 v21, v21, 0, v19
	v_lshrrev_b64 v[54:55], v9, v[19:20]
	v_cmp_eq_u64_e64 s[20:21], v[21:22], v[24:25]
	v_mov_b32_e32 v39, v54
	v_mov_b32_e32 v40, v55
	s_and_saveexec_b64 s[94:95], s[20:21]
; %bb.5430:                             ;   in Loop: Header=BB4_5324 Depth=2
	v_bfe_u32 v19, v54, 20, 1
	v_add_co_u32_e64 v19, s[20:21], v54, v19
	v_add_co_u32_e64 v39, s[20:21], -1, v19
; %bb.5431:                             ;   in Loop: Header=BB4_5324 Depth=2
	s_or_b64 exec, exec, s[94:95]
	v_add_u32_e32 v8, 0xffffff81, v8
	v_cndmask_b32_e32 v8, v8, v60, vcc
	v_lshrrev_b32_e32 v19, 23, v54
	v_add3_u32 v19, v9, v8, v19
	v_add_u32_e32 v9, 6, v19
	v_and_b32_e32 v8, 0xfffff, v39
	v_add_u32_e32 v54, v8, v54
	v_mov_b32_e32 v55, v35
	v_cmp_ne_u32_e32 vcc, 0, v9
                                        ; implicit-def: $vgpr8
	s_and_saveexec_b64 s[20:21], vcc
	s_xor_b64 s[20:21], exec, s[20:21]
; %bb.5432:                             ;   in Loop: Header=BB4_5324 Depth=2
	v_cmp_lt_u64_e32 vcc, s[58:59], v[54:55]
	v_add_u32_e32 v8, 7, v19
	v_cndmask_b32_e32 v8, v9, v8, vcc
	v_cndmask_b32_e64 v9, 0, 1, vcc
	v_lshrrev_b64 v[54:55], v9, v[54:55]
; %bb.5433:                             ;   in Loop: Header=BB4_5324 Depth=2
	s_andn2_saveexec_b64 s[20:21], s[20:21]
; %bb.5434:                             ;   in Loop: Header=BB4_5324 Depth=2
	v_bfe_u32 v8, v54, 23, 1
; %bb.5435:                             ;   in Loop: Header=BB4_5324 Depth=2
	s_or_b64 exec, exec, s[20:21]
	v_lshrrev_b64 v[19:20], 20, v[54:55]
	v_cmp_gt_i32_e32 vcc, 16, v8
	v_cndmask_b32_e32 v20, 0, v20, vcc
	v_cndmask_b32_e32 v19, 7, v19, vcc
	v_cmp_eq_u32_e32 vcc, 0, v8
	v_min_i32_e32 v8, 15, v8
	v_cmp_eq_u64_e64 s[20:21], 0, v[19:20]
	v_lshlrev_b32_e32 v8, 3, v8
	v_and_b32_e32 v8, 0xf8, v8
	v_and_or_b32 v8, v19, 7, v8
	s_and_b64 s[20:21], vcc, s[20:21]
	v_cndmask_b32_e64 v8, v8, 0, s[20:21]
	v_or_b32_e32 v20, v8, v6
.LBB4_5436:                             ;   in Loop: Header=BB4_5324 Depth=2
	s_or_b64 exec, exec, s[92:93]
                                        ; implicit-def: $vgpr6
.LBB4_5437:                             ;   in Loop: Header=BB4_5324 Depth=2
	s_andn2_saveexec_b64 s[20:21], s[90:91]
; %bb.5438:                             ;   in Loop: Header=BB4_5324 Depth=2
	v_or_b32_e32 v20, 0x7e, v6
; %bb.5439:                             ;   in Loop: Header=BB4_5324 Depth=2
	s_or_b64 exec, exec, s[20:21]
                                        ; implicit-def: $vgpr8
.LBB4_5440:                             ;   in Loop: Header=BB4_5324 Depth=2
	s_andn2_saveexec_b64 s[20:21], s[88:89]
; %bb.5441:                             ;   in Loop: Header=BB4_5324 Depth=2
	v_or_b32_sdwa v20, v8, s39 dst_sel:DWORD dst_unused:UNUSED_PAD src0_sel:BYTE_3 src1_sel:DWORD
; %bb.5442:                             ;   in Loop: Header=BB4_5324 Depth=2
	s_or_b64 exec, exec, s[20:21]
	v_lshrrev_b16_e32 v30, 8, v34
	v_cmp_ne_u16_e32 vcc, 0, v30
	v_mov_b32_e32 v6, 0
	s_and_saveexec_b64 s[20:21], vcc
	s_cbranch_execz .LBB4_5448
; %bb.5443:                             ;   in Loop: Header=BB4_5324 Depth=2
	v_cmp_ne_u16_e32 vcc, s50, v30
	v_bfrev_b32_e32 v6, 1
	s_and_saveexec_b64 s[88:89], vcc
	s_cbranch_execz .LBB4_5447
; %bb.5444:                             ;   in Loop: Header=BB4_5324 Depth=2
	v_and_b32_e32 v8, 0x7f, v30
	v_cmp_ne_u32_e32 vcc, s39, v8
	v_mov_b32_e32 v6, 0x7f800001
	s_and_saveexec_b64 s[90:91], vcc
	s_cbranch_execz .LBB4_5446
; %bb.5445:                             ;   in Loop: Header=BB4_5324 Depth=2
	v_and_b32_e32 v6, 7, v30
	v_lshrrev_b32_e32 v19, 3, v8
	v_cmp_gt_u32_e32 vcc, 8, v8
	v_ffbh_u32_e32 v8, v6
	v_min_u32_e32 v21, 32, v8
	v_subrev_u32_e32 v8, 28, v21
	v_lshlrev_b64 v[8:9], v8, v[30:31]
	v_sub_u32_e32 v9, 29, v21
	v_and_b32_e32 v8, 7, v8
	v_cndmask_b32_e32 v9, v19, v9, vcc
	v_cndmask_b32_e32 v6, v6, v8, vcc
	v_lshlrev_b32_e32 v8, 16, v34
	v_lshlrev_b32_e32 v6, 20, v6
	v_and_b32_e32 v8, 0x80000000, v8
	v_lshl_add_u32 v9, v9, 23, v58
	v_or3_b32 v6, v8, v9, v6
.LBB4_5446:                             ;   in Loop: Header=BB4_5324 Depth=2
	s_or_b64 exec, exec, s[90:91]
.LBB4_5447:                             ;   in Loop: Header=BB4_5324 Depth=2
	s_or_b64 exec, exec, s[88:89]
.LBB4_5448:                             ;   in Loop: Header=BB4_5324 Depth=2
	s_or_b64 exec, exec, s[20:21]
	v_mul_f32_e32 v8, v7, v6
	v_and_b32_e32 v34, 0x7f800000, v8
	v_cmp_ne_u64_e32 vcc, s[46:47], v[34:35]
                                        ; implicit-def: $vgpr25
	s_and_saveexec_b64 s[20:21], vcc
	s_xor_b64 s[88:89], exec, s[20:21]
	s_cbranch_execz .LBB4_5462
; %bb.5449:                             ;   in Loop: Header=BB4_5324 Depth=2
	v_and_b32_e32 v34, 0x7fffffff, v8
	v_cmp_gt_u64_e32 vcc, s[56:57], v[34:35]
	v_and_b32_sdwa v6, v8, s50 dst_sel:DWORD dst_unused:UNUSED_PAD src0_sel:BYTE_3 src1_sel:DWORD
                                        ; implicit-def: $vgpr25
	s_and_saveexec_b64 s[20:21], vcc
	s_xor_b64 s[90:91], exec, s[20:21]
	s_cbranch_execz .LBB4_5459
; %bb.5450:                             ;   in Loop: Header=BB4_5324 Depth=2
	v_mov_b32_e32 v25, 0
	v_cmp_ne_u32_e32 vcc, 0, v8
	s_and_saveexec_b64 s[92:93], vcc
	s_cbranch_execz .LBB4_5458
; %bb.5451:                             ;   in Loop: Header=BB4_5324 Depth=2
	v_and_b32_e32 v19, 0x7fffff, v8
	v_bfe_u32 v8, v8, 23, 8
	v_cmp_gt_u32_e64 s[20:21], s51, v8
	v_sub_u32_e32 v9, 0x79, v8
	v_cmp_eq_u32_e32 vcc, 0, v8
	v_cndmask_b32_e64 v9, 0, v9, s[20:21]
	v_or_b32_e32 v21, 0x800000, v19
	v_cndmask_b32_e32 v9, v9, v59, vcc
	v_cndmask_b32_e32 v34, v21, v19, vcc
	v_add_u32_e32 v19, 20, v9
	v_lshlrev_b64 v[21:22], v19, -1
	v_add_u32_e32 v19, 19, v9
	v_lshlrev_b64 v[24:25], v19, 1
	v_bfi_b32 v22, v22, 0, 0
	v_bfi_b32 v21, v21, 0, v34
	v_lshrrev_b64 v[54:55], v9, v[34:35]
	v_cmp_eq_u64_e64 s[20:21], v[21:22], v[24:25]
	v_mov_b32_e32 v39, v54
	v_mov_b32_e32 v40, v55
	s_and_saveexec_b64 s[94:95], s[20:21]
; %bb.5452:                             ;   in Loop: Header=BB4_5324 Depth=2
	v_bfe_u32 v19, v54, 20, 1
	v_add_co_u32_e64 v19, s[20:21], v54, v19
	v_add_co_u32_e64 v39, s[20:21], -1, v19
; %bb.5453:                             ;   in Loop: Header=BB4_5324 Depth=2
	s_or_b64 exec, exec, s[94:95]
	v_add_u32_e32 v8, 0xffffff81, v8
	v_cndmask_b32_e32 v8, v8, v60, vcc
	v_lshrrev_b32_e32 v19, 23, v54
	v_add3_u32 v19, v9, v8, v19
	v_add_u32_e32 v9, 6, v19
	v_and_b32_e32 v8, 0xfffff, v39
	v_add_u32_e32 v34, v8, v54
	v_cmp_ne_u32_e32 vcc, 0, v9
                                        ; implicit-def: $vgpr54_vgpr55
                                        ; implicit-def: $vgpr8
	s_and_saveexec_b64 s[20:21], vcc
	s_xor_b64 s[20:21], exec, s[20:21]
; %bb.5454:                             ;   in Loop: Header=BB4_5324 Depth=2
	v_cmp_lt_u64_e32 vcc, s[58:59], v[34:35]
	v_add_u32_e32 v8, 7, v19
	v_cndmask_b32_e32 v8, v9, v8, vcc
	v_cndmask_b32_e64 v9, 0, 1, vcc
	v_lshrrev_b64 v[54:55], v9, v[34:35]
; %bb.5455:                             ;   in Loop: Header=BB4_5324 Depth=2
	s_andn2_saveexec_b64 s[20:21], s[20:21]
; %bb.5456:                             ;   in Loop: Header=BB4_5324 Depth=2
	v_mov_b32_e32 v55, v35
	v_bfe_u32 v8, v34, 23, 1
	v_mov_b32_e32 v54, v34
; %bb.5457:                             ;   in Loop: Header=BB4_5324 Depth=2
	s_or_b64 exec, exec, s[20:21]
	v_lshrrev_b64 v[21:22], 20, v[54:55]
	v_cmp_gt_i32_e32 vcc, 16, v8
	v_cndmask_b32_e32 v22, 0, v22, vcc
	v_cndmask_b32_e32 v21, 7, v21, vcc
	v_cmp_eq_u32_e32 vcc, 0, v8
	v_min_i32_e32 v8, 15, v8
	v_cmp_eq_u64_e64 s[20:21], 0, v[21:22]
	v_lshlrev_b32_e32 v8, 3, v8
	v_and_b32_e32 v8, 0xf8, v8
	v_and_or_b32 v8, v21, 7, v8
	s_and_b64 s[20:21], vcc, s[20:21]
	v_cndmask_b32_e64 v8, v8, 0, s[20:21]
	v_or_b32_e32 v25, v8, v6
.LBB4_5458:                             ;   in Loop: Header=BB4_5324 Depth=2
	s_or_b64 exec, exec, s[92:93]
                                        ; implicit-def: $vgpr6
.LBB4_5459:                             ;   in Loop: Header=BB4_5324 Depth=2
	s_andn2_saveexec_b64 s[20:21], s[90:91]
; %bb.5460:                             ;   in Loop: Header=BB4_5324 Depth=2
	v_or_b32_e32 v25, 0x7e, v6
; %bb.5461:                             ;   in Loop: Header=BB4_5324 Depth=2
	s_or_b64 exec, exec, s[20:21]
                                        ; implicit-def: $vgpr8
.LBB4_5462:                             ;   in Loop: Header=BB4_5324 Depth=2
	s_andn2_saveexec_b64 s[20:21], s[88:89]
; %bb.5463:                             ;   in Loop: Header=BB4_5324 Depth=2
	v_or_b32_sdwa v25, v8, s39 dst_sel:DWORD dst_unused:UNUSED_PAD src0_sel:BYTE_3 src1_sel:DWORD
; %bb.5464:                             ;   in Loop: Header=BB4_5324 Depth=2
	s_or_b64 exec, exec, s[20:21]
	v_lshrrev_b32_e32 v30, 16, v11
	v_cmp_ne_u16_sdwa s[88:89], v30, v35 src0_sel:BYTE_0 src1_sel:DWORD
	v_mov_b32_e32 v6, 0
	s_and_saveexec_b64 s[20:21], s[88:89]
	s_cbranch_execz .LBB4_5470
; %bb.5465:                             ;   in Loop: Header=BB4_5324 Depth=2
	v_cmp_ne_u16_sdwa s[90:91], v30, s50 src0_sel:BYTE_0 src1_sel:DWORD
	v_bfrev_b32_e32 v6, 1
	s_and_saveexec_b64 s[88:89], s[90:91]
	s_cbranch_execz .LBB4_5469
; %bb.5466:                             ;   in Loop: Header=BB4_5324 Depth=2
	v_bfe_u32 v8, v11, 16, 7
	v_cmp_ne_u32_e32 vcc, s39, v8
	v_mov_b32_e32 v6, 0x7f800001
	s_and_saveexec_b64 s[90:91], vcc
	s_cbranch_execz .LBB4_5468
; %bb.5467:                             ;   in Loop: Header=BB4_5324 Depth=2
	v_and_b32_e32 v6, 7, v30
	v_lshrrev_b32_e32 v19, 3, v8
	v_cmp_gt_u32_e32 vcc, 8, v8
	v_ffbh_u32_e32 v8, v6
	v_min_u32_e32 v21, 32, v8
	v_subrev_u32_e32 v8, 28, v21
	v_lshlrev_b64 v[8:9], v8, v[30:31]
	v_sub_u32_e32 v9, 29, v21
	v_and_b32_e32 v8, 7, v8
	v_cndmask_b32_e32 v9, v19, v9, vcc
	v_cndmask_b32_e32 v6, v6, v8, vcc
	v_lshlrev_b32_e32 v8, 24, v30
	v_lshlrev_b32_e32 v6, 20, v6
	v_and_b32_e32 v8, 0x80000000, v8
	v_lshl_add_u32 v9, v9, 23, v58
	v_or3_b32 v6, v8, v9, v6
.LBB4_5468:                             ;   in Loop: Header=BB4_5324 Depth=2
	s_or_b64 exec, exec, s[90:91]
.LBB4_5469:                             ;   in Loop: Header=BB4_5324 Depth=2
	s_or_b64 exec, exec, s[88:89]
.LBB4_5470:                             ;   in Loop: Header=BB4_5324 Depth=2
	s_or_b64 exec, exec, s[20:21]
	v_mul_f32_e32 v8, v7, v6
	v_and_b32_e32 v34, 0x7f800000, v8
	v_cmp_ne_u64_e32 vcc, s[46:47], v[34:35]
                                        ; implicit-def: $vgpr27
	s_and_saveexec_b64 s[20:21], vcc
	s_xor_b64 s[88:89], exec, s[20:21]
	s_cbranch_execz .LBB4_5484
; %bb.5471:                             ;   in Loop: Header=BB4_5324 Depth=2
	v_and_b32_e32 v34, 0x7fffffff, v8
	v_cmp_gt_u64_e32 vcc, s[56:57], v[34:35]
	v_and_b32_sdwa v6, v8, s50 dst_sel:DWORD dst_unused:UNUSED_PAD src0_sel:BYTE_3 src1_sel:DWORD
                                        ; implicit-def: $vgpr27
	s_and_saveexec_b64 s[20:21], vcc
	s_xor_b64 s[90:91], exec, s[20:21]
	s_cbranch_execz .LBB4_5481
; %bb.5472:                             ;   in Loop: Header=BB4_5324 Depth=2
	v_mov_b32_e32 v27, 0
	v_cmp_ne_u32_e32 vcc, 0, v8
	s_and_saveexec_b64 s[92:93], vcc
	s_cbranch_execz .LBB4_5480
; %bb.5473:                             ;   in Loop: Header=BB4_5324 Depth=2
	v_and_b32_e32 v19, 0x7fffff, v8
	v_bfe_u32 v8, v8, 23, 8
	v_cmp_gt_u32_e64 s[20:21], s51, v8
	v_sub_u32_e32 v9, 0x79, v8
	v_cmp_eq_u32_e32 vcc, 0, v8
	v_cndmask_b32_e64 v9, 0, v9, s[20:21]
	v_or_b32_e32 v21, 0x800000, v19
	v_cndmask_b32_e32 v9, v9, v59, vcc
	v_cndmask_b32_e32 v34, v21, v19, vcc
	v_add_u32_e32 v19, 20, v9
	v_lshlrev_b64 v[21:22], v19, -1
	v_add_u32_e32 v19, 19, v9
	v_lshlrev_b64 v[26:27], v19, 1
	v_bfi_b32 v22, v22, 0, 0
	v_bfi_b32 v21, v21, 0, v34
	v_lshrrev_b64 v[54:55], v9, v[34:35]
	v_cmp_eq_u64_e64 s[20:21], v[21:22], v[26:27]
	v_mov_b32_e32 v39, v54
	v_mov_b32_e32 v40, v55
	s_and_saveexec_b64 s[94:95], s[20:21]
; %bb.5474:                             ;   in Loop: Header=BB4_5324 Depth=2
	v_bfe_u32 v19, v54, 20, 1
	v_add_co_u32_e64 v19, s[20:21], v54, v19
	v_add_co_u32_e64 v39, s[20:21], -1, v19
; %bb.5475:                             ;   in Loop: Header=BB4_5324 Depth=2
	s_or_b64 exec, exec, s[94:95]
	v_add_u32_e32 v8, 0xffffff81, v8
	v_cndmask_b32_e32 v8, v8, v60, vcc
	v_lshrrev_b32_e32 v19, 23, v54
	v_add3_u32 v19, v9, v8, v19
	v_add_u32_e32 v9, 6, v19
	v_and_b32_e32 v8, 0xfffff, v39
	v_add_u32_e32 v34, v8, v54
	v_cmp_ne_u32_e32 vcc, 0, v9
                                        ; implicit-def: $vgpr54_vgpr55
                                        ; implicit-def: $vgpr8
	s_and_saveexec_b64 s[20:21], vcc
	s_xor_b64 s[20:21], exec, s[20:21]
; %bb.5476:                             ;   in Loop: Header=BB4_5324 Depth=2
	v_cmp_lt_u64_e32 vcc, s[58:59], v[34:35]
	v_add_u32_e32 v8, 7, v19
	v_cndmask_b32_e32 v8, v9, v8, vcc
	v_cndmask_b32_e64 v9, 0, 1, vcc
	v_lshrrev_b64 v[54:55], v9, v[34:35]
; %bb.5477:                             ;   in Loop: Header=BB4_5324 Depth=2
	s_andn2_saveexec_b64 s[20:21], s[20:21]
; %bb.5478:                             ;   in Loop: Header=BB4_5324 Depth=2
	v_mov_b32_e32 v55, v35
	v_bfe_u32 v8, v34, 23, 1
	v_mov_b32_e32 v54, v34
; %bb.5479:                             ;   in Loop: Header=BB4_5324 Depth=2
	s_or_b64 exec, exec, s[20:21]
	v_lshrrev_b64 v[21:22], 20, v[54:55]
	v_cmp_gt_i32_e32 vcc, 16, v8
	v_cndmask_b32_e32 v22, 0, v22, vcc
	v_cndmask_b32_e32 v21, 7, v21, vcc
	v_cmp_eq_u32_e32 vcc, 0, v8
	v_min_i32_e32 v8, 15, v8
	v_cmp_eq_u64_e64 s[20:21], 0, v[21:22]
	v_lshlrev_b32_e32 v8, 3, v8
	v_and_b32_e32 v8, 0xf8, v8
	v_and_or_b32 v8, v21, 7, v8
	s_and_b64 s[20:21], vcc, s[20:21]
	v_cndmask_b32_e64 v8, v8, 0, s[20:21]
	v_or_b32_e32 v27, v8, v6
.LBB4_5480:                             ;   in Loop: Header=BB4_5324 Depth=2
	s_or_b64 exec, exec, s[92:93]
                                        ; implicit-def: $vgpr6
.LBB4_5481:                             ;   in Loop: Header=BB4_5324 Depth=2
	s_andn2_saveexec_b64 s[20:21], s[90:91]
; %bb.5482:                             ;   in Loop: Header=BB4_5324 Depth=2
	v_or_b32_e32 v27, 0x7e, v6
; %bb.5483:                             ;   in Loop: Header=BB4_5324 Depth=2
	s_or_b64 exec, exec, s[20:21]
                                        ; implicit-def: $vgpr8
.LBB4_5484:                             ;   in Loop: Header=BB4_5324 Depth=2
	s_andn2_saveexec_b64 s[20:21], s[88:89]
; %bb.5485:                             ;   in Loop: Header=BB4_5324 Depth=2
	v_or_b32_sdwa v27, v8, s39 dst_sel:DWORD dst_unused:UNUSED_PAD src0_sel:BYTE_3 src1_sel:DWORD
; %bb.5486:                             ;   in Loop: Header=BB4_5324 Depth=2
	s_or_b64 exec, exec, s[20:21]
	v_cmp_lt_u64_e32 vcc, s[60:61], v[10:11]
	v_mov_b32_e32 v6, 0
	s_and_saveexec_b64 s[20:21], vcc
	s_cbranch_execz .LBB4_5492
; %bb.5487:                             ;   in Loop: Header=BB4_5324 Depth=2
	v_lshrrev_b32_e32 v10, 24, v11
	v_cmp_ne_u32_e32 vcc, s50, v10
	v_bfrev_b32_e32 v6, 1
	s_and_saveexec_b64 s[88:89], vcc
	s_cbranch_execz .LBB4_5491
; %bb.5488:                             ;   in Loop: Header=BB4_5324 Depth=2
	v_bfe_u32 v8, v11, 24, 7
	v_cmp_ne_u32_e32 vcc, s39, v8
	v_mov_b32_e32 v6, 0x7f800001
	s_and_saveexec_b64 s[90:91], vcc
	s_cbranch_execz .LBB4_5490
; %bb.5489:                             ;   in Loop: Header=BB4_5324 Depth=2
	v_and_b32_e32 v6, 7, v10
	v_lshrrev_b32_e32 v11, 3, v8
	v_cmp_gt_u32_e32 vcc, 8, v8
	v_ffbh_u32_e32 v8, v6
	v_min_u32_e32 v19, 32, v8
	v_subrev_u32_e32 v8, 28, v19
	v_lshlrev_b64 v[8:9], v8, v[10:11]
	v_sub_u32_e32 v9, 29, v19
	v_and_b32_e32 v8, 7, v8
	v_cndmask_b32_e32 v9, v11, v9, vcc
	v_cndmask_b32_e32 v6, v6, v8, vcc
	v_lshlrev_b32_e32 v8, 24, v10
	v_lshlrev_b32_e32 v6, 20, v6
	v_and_b32_e32 v8, 0x80000000, v8
	v_lshl_add_u32 v9, v9, 23, v58
	v_or3_b32 v6, v8, v9, v6
.LBB4_5490:                             ;   in Loop: Header=BB4_5324 Depth=2
	s_or_b64 exec, exec, s[90:91]
.LBB4_5491:                             ;   in Loop: Header=BB4_5324 Depth=2
	s_or_b64 exec, exec, s[88:89]
.LBB4_5492:                             ;   in Loop: Header=BB4_5324 Depth=2
	s_or_b64 exec, exec, s[20:21]
	v_mul_f32_e32 v8, v7, v6
	v_and_b32_e32 v34, 0x7f800000, v8
	v_cmp_ne_u64_e32 vcc, s[46:47], v[34:35]
                                        ; implicit-def: $vgpr31
	s_and_saveexec_b64 s[20:21], vcc
	s_xor_b64 s[88:89], exec, s[20:21]
	s_cbranch_execz .LBB4_5506
; %bb.5493:                             ;   in Loop: Header=BB4_5324 Depth=2
	v_and_b32_e32 v34, 0x7fffffff, v8
	v_cmp_gt_u64_e32 vcc, s[56:57], v[34:35]
	v_and_b32_sdwa v6, v8, s50 dst_sel:DWORD dst_unused:UNUSED_PAD src0_sel:BYTE_3 src1_sel:DWORD
                                        ; implicit-def: $vgpr31
	s_and_saveexec_b64 s[20:21], vcc
	s_xor_b64 s[90:91], exec, s[20:21]
	s_cbranch_execz .LBB4_5503
; %bb.5494:                             ;   in Loop: Header=BB4_5324 Depth=2
	v_mov_b32_e32 v31, 0
	v_cmp_ne_u32_e32 vcc, 0, v8
	s_and_saveexec_b64 s[92:93], vcc
	s_cbranch_execz .LBB4_5502
; %bb.5495:                             ;   in Loop: Header=BB4_5324 Depth=2
	v_and_b32_e32 v10, 0x7fffff, v8
	v_bfe_u32 v8, v8, 23, 8
	v_cmp_gt_u32_e64 s[20:21], s51, v8
	v_sub_u32_e32 v9, 0x79, v8
	v_cmp_eq_u32_e32 vcc, 0, v8
	v_cndmask_b32_e64 v9, 0, v9, s[20:21]
	v_or_b32_e32 v11, 0x800000, v10
	v_cndmask_b32_e32 v9, v9, v59, vcc
	v_cndmask_b32_e32 v34, v11, v10, vcc
	v_add_u32_e32 v10, 20, v9
	v_lshlrev_b64 v[10:11], v10, -1
	v_add_u32_e32 v19, 19, v9
	v_lshlrev_b64 v[21:22], v19, 1
	v_bfi_b32 v11, v11, 0, 0
	v_bfi_b32 v10, v10, 0, v34
	v_cmp_eq_u64_e64 s[20:21], v[10:11], v[21:22]
	v_lshrrev_b64 v[10:11], v9, v[34:35]
	v_mov_b32_e32 v55, v11
	v_mov_b32_e32 v54, v10
	s_and_saveexec_b64 s[94:95], s[20:21]
; %bb.5496:                             ;   in Loop: Header=BB4_5324 Depth=2
	v_bfe_u32 v11, v10, 20, 1
	v_add_co_u32_e64 v11, s[20:21], v10, v11
	v_add_co_u32_e64 v54, s[20:21], -1, v11
; %bb.5497:                             ;   in Loop: Header=BB4_5324 Depth=2
	s_or_b64 exec, exec, s[94:95]
	v_add_u32_e32 v8, 0xffffff81, v8
	v_cndmask_b32_e32 v8, v8, v60, vcc
	v_lshrrev_b32_e32 v11, 23, v10
	v_add3_u32 v19, v9, v8, v11
	v_add_u32_e32 v9, 6, v19
	v_and_b32_e32 v8, 0xfffff, v54
	v_add_u32_e32 v34, v8, v10
	v_cmp_ne_u32_e32 vcc, 0, v9
                                        ; implicit-def: $vgpr10_vgpr11
                                        ; implicit-def: $vgpr8
	s_and_saveexec_b64 s[20:21], vcc
	s_xor_b64 s[20:21], exec, s[20:21]
; %bb.5498:                             ;   in Loop: Header=BB4_5324 Depth=2
	v_cmp_lt_u64_e32 vcc, s[58:59], v[34:35]
	v_add_u32_e32 v8, 7, v19
	v_cndmask_b32_e32 v8, v9, v8, vcc
	v_cndmask_b32_e64 v9, 0, 1, vcc
	v_lshrrev_b64 v[10:11], v9, v[34:35]
; %bb.5499:                             ;   in Loop: Header=BB4_5324 Depth=2
	s_andn2_saveexec_b64 s[20:21], s[20:21]
; %bb.5500:                             ;   in Loop: Header=BB4_5324 Depth=2
	v_mov_b32_e32 v10, v34
	v_bfe_u32 v8, v34, 23, 1
	v_mov_b32_e32 v11, v35
; %bb.5501:                             ;   in Loop: Header=BB4_5324 Depth=2
	s_or_b64 exec, exec, s[20:21]
	v_lshrrev_b64 v[9:10], 20, v[10:11]
	v_cmp_gt_i32_e32 vcc, 16, v8
	v_cndmask_b32_e32 v10, 0, v10, vcc
	v_cndmask_b32_e32 v9, 7, v9, vcc
	v_cmp_eq_u32_e32 vcc, 0, v8
	v_min_i32_e32 v8, 15, v8
	v_cmp_eq_u64_e64 s[20:21], 0, v[9:10]
	v_lshlrev_b32_e32 v8, 3, v8
	v_and_b32_e32 v8, 0xf8, v8
	v_and_or_b32 v8, v9, 7, v8
	s_and_b64 s[20:21], vcc, s[20:21]
	v_cndmask_b32_e64 v8, v8, 0, s[20:21]
	v_or_b32_e32 v31, v8, v6
.LBB4_5502:                             ;   in Loop: Header=BB4_5324 Depth=2
	s_or_b64 exec, exec, s[92:93]
                                        ; implicit-def: $vgpr6
.LBB4_5503:                             ;   in Loop: Header=BB4_5324 Depth=2
	s_andn2_saveexec_b64 s[20:21], s[90:91]
; %bb.5504:                             ;   in Loop: Header=BB4_5324 Depth=2
	v_or_b32_e32 v31, 0x7e, v6
; %bb.5505:                             ;   in Loop: Header=BB4_5324 Depth=2
	s_or_b64 exec, exec, s[20:21]
                                        ; implicit-def: $vgpr8
.LBB4_5506:                             ;   in Loop: Header=BB4_5324 Depth=2
	s_andn2_saveexec_b64 s[20:21], s[88:89]
; %bb.5507:                             ;   in Loop: Header=BB4_5324 Depth=2
	v_or_b32_sdwa v31, v8, s39 dst_sel:DWORD dst_unused:UNUSED_PAD src0_sel:BYTE_3 src1_sel:DWORD
; %bb.5508:                             ;   in Loop: Header=BB4_5324 Depth=2
	s_or_b64 exec, exec, s[20:21]
	v_cmp_ne_u16_sdwa s[88:89], v12, v35 src0_sel:BYTE_0 src1_sel:DWORD
	v_mov_b32_e32 v6, 0
	s_and_saveexec_b64 s[20:21], s[88:89]
	s_cbranch_execz .LBB4_5514
; %bb.5509:                             ;   in Loop: Header=BB4_5324 Depth=2
	v_cmp_ne_u16_sdwa s[90:91], v12, s50 src0_sel:BYTE_0 src1_sel:DWORD
	v_bfrev_b32_e32 v6, 1
	s_and_saveexec_b64 s[88:89], s[90:91]
	s_cbranch_execz .LBB4_5513
; %bb.5510:                             ;   in Loop: Header=BB4_5324 Depth=2
	v_and_b32_e32 v8, 0x7f, v12
	v_cmp_ne_u32_e32 vcc, s39, v8
	v_mov_b32_e32 v6, 0x7f800001
	s_and_saveexec_b64 s[90:91], vcc
	s_cbranch_execz .LBB4_5512
; %bb.5511:                             ;   in Loop: Header=BB4_5324 Depth=2
	v_and_b32_e32 v6, 7, v12
	v_ffbh_u32_e32 v6, v6
	v_min_u32_e32 v6, 32, v6
	v_lshrrev_b32_e32 v9, 3, v8
	v_cmp_gt_u32_e32 vcc, 8, v8
	v_subrev_u32_e32 v8, 28, v6
	v_sub_u32_e32 v6, 29, v6
	v_cndmask_b32_e32 v8, 0, v8, vcc
	v_cndmask_b32_e32 v6, v9, v6, vcc
	v_lshlrev_b64 v[8:9], v8, v[12:13]
	v_lshlrev_b32_e32 v9, 24, v12
	v_lshlrev_b32_e32 v8, 20, v8
	v_and_b32_e32 v8, 0x700000, v8
	v_and_b32_e32 v9, 0x80000000, v9
	v_lshl_add_u32 v6, v6, 23, v58
	v_or3_b32 v6, v9, v6, v8
.LBB4_5512:                             ;   in Loop: Header=BB4_5324 Depth=2
	s_or_b64 exec, exec, s[90:91]
.LBB4_5513:                             ;   in Loop: Header=BB4_5324 Depth=2
	s_or_b64 exec, exec, s[88:89]
.LBB4_5514:                             ;   in Loop: Header=BB4_5324 Depth=2
	s_or_b64 exec, exec, s[20:21]
	v_mul_f32_e32 v9, v7, v6
	v_and_b32_e32 v34, 0x7f800000, v9
	v_cmp_ne_u64_e32 vcc, s[46:47], v[34:35]
                                        ; implicit-def: $vgpr8
	s_and_saveexec_b64 s[20:21], vcc
	s_xor_b64 s[88:89], exec, s[20:21]
	s_cbranch_execz .LBB4_5528
; %bb.5515:                             ;   in Loop: Header=BB4_5324 Depth=2
	v_and_b32_e32 v34, 0x7fffffff, v9
	v_cmp_gt_u64_e32 vcc, s[56:57], v[34:35]
	v_and_b32_sdwa v6, v9, s50 dst_sel:DWORD dst_unused:UNUSED_PAD src0_sel:BYTE_3 src1_sel:DWORD
                                        ; implicit-def: $vgpr8
	s_and_saveexec_b64 s[20:21], vcc
	s_xor_b64 s[90:91], exec, s[20:21]
	s_cbranch_execz .LBB4_5525
; %bb.5516:                             ;   in Loop: Header=BB4_5324 Depth=2
	v_mov_b32_e32 v8, 0
	v_cmp_ne_u32_e32 vcc, 0, v9
	s_and_saveexec_b64 s[92:93], vcc
	s_cbranch_execz .LBB4_5524
; %bb.5517:                             ;   in Loop: Header=BB4_5324 Depth=2
	v_bfe_u32 v8, v9, 23, 8
	v_and_b32_e32 v10, 0x7fffff, v9
	v_cmp_gt_u32_e64 s[20:21], s51, v8
	v_sub_u32_e32 v9, 0x79, v8
	v_cmp_eq_u32_e32 vcc, 0, v8
	v_cndmask_b32_e64 v9, 0, v9, s[20:21]
	v_or_b32_e32 v11, 0x800000, v10
	v_cndmask_b32_e32 v9, v9, v59, vcc
	v_cndmask_b32_e32 v34, v11, v10, vcc
	v_add_u32_e32 v10, 20, v9
	v_lshlrev_b64 v[10:11], v10, -1
	v_add_u32_e32 v19, 19, v9
	v_lshlrev_b64 v[21:22], v19, 1
	v_bfi_b32 v11, v11, 0, 0
	v_bfi_b32 v10, v10, 0, v34
	v_cmp_eq_u64_e64 s[20:21], v[10:11], v[21:22]
	v_lshrrev_b64 v[10:11], v9, v[34:35]
	v_mov_b32_e32 v55, v11
	v_mov_b32_e32 v54, v10
	s_and_saveexec_b64 s[94:95], s[20:21]
; %bb.5518:                             ;   in Loop: Header=BB4_5324 Depth=2
	v_bfe_u32 v11, v10, 20, 1
	v_add_co_u32_e64 v11, s[20:21], v10, v11
	v_add_co_u32_e64 v54, s[20:21], -1, v11
; %bb.5519:                             ;   in Loop: Header=BB4_5324 Depth=2
	s_or_b64 exec, exec, s[94:95]
	v_add_u32_e32 v8, 0xffffff81, v8
	v_cndmask_b32_e32 v8, v8, v60, vcc
	v_lshrrev_b32_e32 v11, 23, v10
	v_add3_u32 v19, v9, v8, v11
	v_add_u32_e32 v9, 6, v19
	v_and_b32_e32 v8, 0xfffff, v54
	v_add_u32_e32 v34, v8, v10
	v_cmp_ne_u32_e32 vcc, 0, v9
                                        ; implicit-def: $vgpr10_vgpr11
                                        ; implicit-def: $vgpr8
	s_and_saveexec_b64 s[20:21], vcc
	s_xor_b64 s[20:21], exec, s[20:21]
; %bb.5520:                             ;   in Loop: Header=BB4_5324 Depth=2
	v_cmp_lt_u64_e32 vcc, s[58:59], v[34:35]
	v_add_u32_e32 v8, 7, v19
	v_cndmask_b32_e32 v8, v9, v8, vcc
	v_cndmask_b32_e64 v9, 0, 1, vcc
	v_lshrrev_b64 v[10:11], v9, v[34:35]
; %bb.5521:                             ;   in Loop: Header=BB4_5324 Depth=2
	s_andn2_saveexec_b64 s[20:21], s[20:21]
; %bb.5522:                             ;   in Loop: Header=BB4_5324 Depth=2
	v_mov_b32_e32 v10, v34
	v_bfe_u32 v8, v34, 23, 1
	v_mov_b32_e32 v11, v35
; %bb.5523:                             ;   in Loop: Header=BB4_5324 Depth=2
	s_or_b64 exec, exec, s[20:21]
	v_lshrrev_b64 v[9:10], 20, v[10:11]
	v_cmp_gt_i32_e32 vcc, 16, v8
	v_cndmask_b32_e32 v10, 0, v10, vcc
	v_cndmask_b32_e32 v9, 7, v9, vcc
	v_cmp_eq_u32_e32 vcc, 0, v8
	v_min_i32_e32 v8, 15, v8
	v_cmp_eq_u64_e64 s[20:21], 0, v[9:10]
	v_lshlrev_b32_e32 v8, 3, v8
	v_and_b32_e32 v8, 0xf8, v8
	v_and_or_b32 v8, v9, 7, v8
	s_and_b64 s[20:21], vcc, s[20:21]
	v_cndmask_b32_e64 v8, v8, 0, s[20:21]
	v_or_b32_e32 v8, v8, v6
.LBB4_5524:                             ;   in Loop: Header=BB4_5324 Depth=2
	s_or_b64 exec, exec, s[92:93]
                                        ; implicit-def: $vgpr6
.LBB4_5525:                             ;   in Loop: Header=BB4_5324 Depth=2
	s_andn2_saveexec_b64 s[20:21], s[90:91]
; %bb.5526:                             ;   in Loop: Header=BB4_5324 Depth=2
	v_or_b32_e32 v8, 0x7e, v6
; %bb.5527:                             ;   in Loop: Header=BB4_5324 Depth=2
	s_or_b64 exec, exec, s[20:21]
                                        ; implicit-def: $vgpr9
.LBB4_5528:                             ;   in Loop: Header=BB4_5324 Depth=2
	s_andn2_saveexec_b64 s[20:21], s[88:89]
; %bb.5529:                             ;   in Loop: Header=BB4_5324 Depth=2
	v_or_b32_sdwa v8, v9, s39 dst_sel:DWORD dst_unused:UNUSED_PAD src0_sel:BYTE_3 src1_sel:DWORD
; %bb.5530:                             ;   in Loop: Header=BB4_5324 Depth=2
	s_or_b64 exec, exec, s[20:21]
	v_lshrrev_b16_e32 v10, 8, v12
	v_cmp_ne_u16_e32 vcc, 0, v10
	v_mov_b32_e32 v6, 0
	s_and_saveexec_b64 s[20:21], vcc
	s_cbranch_execz .LBB4_5536
; %bb.5531:                             ;   in Loop: Header=BB4_5324 Depth=2
	v_cmp_ne_u16_e32 vcc, s50, v10
	v_bfrev_b32_e32 v6, 1
	s_and_saveexec_b64 s[88:89], vcc
	s_cbranch_execz .LBB4_5535
; %bb.5532:                             ;   in Loop: Header=BB4_5324 Depth=2
	v_and_b32_e32 v9, 0x7f, v10
	v_cmp_ne_u32_e32 vcc, s39, v9
	v_mov_b32_e32 v6, 0x7f800001
	s_and_saveexec_b64 s[90:91], vcc
	s_cbranch_execz .LBB4_5534
; %bb.5533:                             ;   in Loop: Header=BB4_5324 Depth=2
	v_and_b32_e32 v6, 7, v10
	v_lshrrev_b32_e32 v11, 3, v9
	v_cmp_gt_u32_e32 vcc, 8, v9
	v_ffbh_u32_e32 v9, v6
	v_min_u32_e32 v19, 32, v9
	v_subrev_u32_e32 v9, 28, v19
	v_lshlrev_b64 v[9:10], v9, v[10:11]
	v_sub_u32_e32 v10, 29, v19
	v_and_b32_e32 v9, 7, v9
	v_cndmask_b32_e32 v10, v11, v10, vcc
	v_cndmask_b32_e32 v6, v6, v9, vcc
	v_lshlrev_b32_e32 v9, 16, v12
	v_lshlrev_b32_e32 v6, 20, v6
	v_and_b32_e32 v9, 0x80000000, v9
	v_lshl_add_u32 v10, v10, 23, v58
	v_or3_b32 v6, v9, v10, v6
.LBB4_5534:                             ;   in Loop: Header=BB4_5324 Depth=2
	s_or_b64 exec, exec, s[90:91]
.LBB4_5535:                             ;   in Loop: Header=BB4_5324 Depth=2
	s_or_b64 exec, exec, s[88:89]
.LBB4_5536:                             ;   in Loop: Header=BB4_5324 Depth=2
	s_or_b64 exec, exec, s[20:21]
	v_mul_f32_e32 v9, v7, v6
	v_and_b32_e32 v34, 0x7f800000, v9
	v_cmp_ne_u64_e32 vcc, s[46:47], v[34:35]
                                        ; implicit-def: $vgpr21
	s_and_saveexec_b64 s[20:21], vcc
	s_xor_b64 s[88:89], exec, s[20:21]
	s_cbranch_execz .LBB4_5550
; %bb.5537:                             ;   in Loop: Header=BB4_5324 Depth=2
	v_and_b32_e32 v34, 0x7fffffff, v9
	v_cmp_gt_u64_e32 vcc, s[56:57], v[34:35]
	v_and_b32_sdwa v6, v9, s50 dst_sel:DWORD dst_unused:UNUSED_PAD src0_sel:BYTE_3 src1_sel:DWORD
                                        ; implicit-def: $vgpr21
	s_and_saveexec_b64 s[20:21], vcc
	s_xor_b64 s[90:91], exec, s[20:21]
	s_cbranch_execz .LBB4_5547
; %bb.5538:                             ;   in Loop: Header=BB4_5324 Depth=2
	v_mov_b32_e32 v21, 0
	v_cmp_ne_u32_e32 vcc, 0, v9
	s_and_saveexec_b64 s[92:93], vcc
	s_cbranch_execz .LBB4_5546
; %bb.5539:                             ;   in Loop: Header=BB4_5324 Depth=2
	v_and_b32_e32 v10, 0x7fffff, v9
	v_bfe_u32 v9, v9, 23, 8
	v_cmp_gt_u32_e64 s[20:21], s51, v9
	v_sub_u32_e32 v11, 0x79, v9
	v_cmp_eq_u32_e32 vcc, 0, v9
	v_cndmask_b32_e64 v11, 0, v11, s[20:21]
	v_or_b32_e32 v21, 0x800000, v10
	v_cndmask_b32_e32 v19, v11, v59, vcc
	v_cndmask_b32_e32 v34, v21, v10, vcc
	v_add_u32_e32 v10, 20, v19
	v_lshlrev_b64 v[10:11], v10, -1
	v_add_u32_e32 v21, 19, v19
	v_lshlrev_b64 v[21:22], v21, 1
	v_bfi_b32 v11, v11, 0, 0
	v_bfi_b32 v10, v10, 0, v34
	v_cmp_eq_u64_e64 s[20:21], v[10:11], v[21:22]
	v_lshrrev_b64 v[10:11], v19, v[34:35]
	v_mov_b32_e32 v55, v11
	v_mov_b32_e32 v54, v10
	s_and_saveexec_b64 s[94:95], s[20:21]
; %bb.5540:                             ;   in Loop: Header=BB4_5324 Depth=2
	v_bfe_u32 v11, v10, 20, 1
	v_add_co_u32_e64 v11, s[20:21], v10, v11
	v_add_co_u32_e64 v54, s[20:21], -1, v11
; %bb.5541:                             ;   in Loop: Header=BB4_5324 Depth=2
	s_or_b64 exec, exec, s[94:95]
	v_add_u32_e32 v9, 0xffffff81, v9
	v_cndmask_b32_e32 v9, v9, v60, vcc
	v_lshrrev_b32_e32 v11, 23, v10
	v_add3_u32 v21, v19, v9, v11
	v_add_u32_e32 v19, 6, v21
	v_and_b32_e32 v9, 0xfffff, v54
	v_add_u32_e32 v34, v9, v10
	v_cmp_ne_u32_e32 vcc, 0, v19
                                        ; implicit-def: $vgpr10_vgpr11
                                        ; implicit-def: $vgpr9
	s_and_saveexec_b64 s[20:21], vcc
	s_xor_b64 s[20:21], exec, s[20:21]
; %bb.5542:                             ;   in Loop: Header=BB4_5324 Depth=2
	v_cmp_lt_u64_e32 vcc, s[58:59], v[34:35]
	v_add_u32_e32 v9, 7, v21
	v_cndmask_b32_e64 v10, 0, 1, vcc
	v_cndmask_b32_e32 v9, v19, v9, vcc
	v_lshrrev_b64 v[10:11], v10, v[34:35]
; %bb.5543:                             ;   in Loop: Header=BB4_5324 Depth=2
	s_andn2_saveexec_b64 s[20:21], s[20:21]
; %bb.5544:                             ;   in Loop: Header=BB4_5324 Depth=2
	v_mov_b32_e32 v10, v34
	v_bfe_u32 v9, v34, 23, 1
	v_mov_b32_e32 v11, v35
; %bb.5545:                             ;   in Loop: Header=BB4_5324 Depth=2
	s_or_b64 exec, exec, s[20:21]
	v_lshrrev_b64 v[10:11], 20, v[10:11]
	v_cmp_gt_i32_e32 vcc, 16, v9
	v_cndmask_b32_e32 v11, 0, v11, vcc
	v_cndmask_b32_e32 v10, 7, v10, vcc
	v_cmp_eq_u32_e32 vcc, 0, v9
	v_min_i32_e32 v9, 15, v9
	v_cmp_eq_u64_e64 s[20:21], 0, v[10:11]
	v_lshlrev_b32_e32 v9, 3, v9
	v_and_b32_e32 v9, 0xf8, v9
	v_and_or_b32 v9, v10, 7, v9
	s_and_b64 s[20:21], vcc, s[20:21]
	v_cndmask_b32_e64 v9, v9, 0, s[20:21]
	v_or_b32_e32 v21, v9, v6
.LBB4_5546:                             ;   in Loop: Header=BB4_5324 Depth=2
	s_or_b64 exec, exec, s[92:93]
                                        ; implicit-def: $vgpr6
.LBB4_5547:                             ;   in Loop: Header=BB4_5324 Depth=2
	s_andn2_saveexec_b64 s[20:21], s[90:91]
; %bb.5548:                             ;   in Loop: Header=BB4_5324 Depth=2
	v_or_b32_e32 v21, 0x7e, v6
; %bb.5549:                             ;   in Loop: Header=BB4_5324 Depth=2
	s_or_b64 exec, exec, s[20:21]
                                        ; implicit-def: $vgpr9
.LBB4_5550:                             ;   in Loop: Header=BB4_5324 Depth=2
	s_andn2_saveexec_b64 s[20:21], s[88:89]
; %bb.5551:                             ;   in Loop: Header=BB4_5324 Depth=2
	v_or_b32_sdwa v21, v9, s39 dst_sel:DWORD dst_unused:UNUSED_PAD src0_sel:BYTE_3 src1_sel:DWORD
; %bb.5552:                             ;   in Loop: Header=BB4_5324 Depth=2
	s_or_b64 exec, exec, s[20:21]
	v_lshrrev_b32_e32 v10, 16, v12
	v_cmp_ne_u16_sdwa s[88:89], v10, v35 src0_sel:BYTE_0 src1_sel:DWORD
	v_mov_b32_e32 v6, 0
	s_and_saveexec_b64 s[20:21], s[88:89]
	s_cbranch_execz .LBB4_5558
; %bb.5553:                             ;   in Loop: Header=BB4_5324 Depth=2
	v_cmp_ne_u16_sdwa s[90:91], v10, s50 src0_sel:BYTE_0 src1_sel:DWORD
	v_bfrev_b32_e32 v6, 1
	s_and_saveexec_b64 s[88:89], s[90:91]
	s_cbranch_execz .LBB4_5557
; %bb.5554:                             ;   in Loop: Header=BB4_5324 Depth=2
	v_bfe_u32 v9, v12, 16, 7
	v_cmp_ne_u32_e32 vcc, s39, v9
	v_mov_b32_e32 v6, 0x7f800001
	s_and_saveexec_b64 s[90:91], vcc
	s_cbranch_execz .LBB4_5556
; %bb.5555:                             ;   in Loop: Header=BB4_5324 Depth=2
	v_and_b32_e32 v6, 7, v10
	v_lshrrev_b32_e32 v11, 3, v9
	v_cmp_gt_u32_e32 vcc, 8, v9
	v_ffbh_u32_e32 v9, v6
	v_min_u32_e32 v9, 32, v9
	v_subrev_u32_e32 v19, 28, v9
	v_lshlrev_b64 v[28:29], v19, v[10:11]
	v_sub_u32_e32 v9, 29, v9
	v_and_b32_e32 v19, 7, v28
	v_cndmask_b32_e32 v9, v11, v9, vcc
	v_cndmask_b32_e32 v6, v6, v19, vcc
	v_lshlrev_b32_e32 v10, 24, v10
	v_lshlrev_b32_e32 v6, 20, v6
	v_and_b32_e32 v10, 0x80000000, v10
	v_lshl_add_u32 v9, v9, 23, v58
	v_or3_b32 v6, v10, v9, v6
.LBB4_5556:                             ;   in Loop: Header=BB4_5324 Depth=2
	s_or_b64 exec, exec, s[90:91]
.LBB4_5557:                             ;   in Loop: Header=BB4_5324 Depth=2
	s_or_b64 exec, exec, s[88:89]
.LBB4_5558:                             ;   in Loop: Header=BB4_5324 Depth=2
	s_or_b64 exec, exec, s[20:21]
	v_mul_f32_e32 v9, v7, v6
	v_and_b32_e32 v34, 0x7f800000, v9
	v_cmp_ne_u64_e32 vcc, s[46:47], v[34:35]
                                        ; implicit-def: $vgpr24
	s_and_saveexec_b64 s[20:21], vcc
	s_xor_b64 s[88:89], exec, s[20:21]
	s_cbranch_execz .LBB4_5572
; %bb.5559:                             ;   in Loop: Header=BB4_5324 Depth=2
	v_and_b32_e32 v34, 0x7fffffff, v9
	v_cmp_gt_u64_e32 vcc, s[56:57], v[34:35]
	v_and_b32_sdwa v6, v9, s50 dst_sel:DWORD dst_unused:UNUSED_PAD src0_sel:BYTE_3 src1_sel:DWORD
                                        ; implicit-def: $vgpr24
	s_and_saveexec_b64 s[20:21], vcc
	s_xor_b64 s[90:91], exec, s[20:21]
	s_cbranch_execz .LBB4_5569
; %bb.5560:                             ;   in Loop: Header=BB4_5324 Depth=2
	v_mov_b32_e32 v24, 0
	v_cmp_ne_u32_e32 vcc, 0, v9
	s_and_saveexec_b64 s[92:93], vcc
	s_cbranch_execz .LBB4_5568
; %bb.5561:                             ;   in Loop: Header=BB4_5324 Depth=2
	v_and_b32_e32 v10, 0x7fffff, v9
	v_bfe_u32 v9, v9, 23, 8
	v_cmp_gt_u32_e64 s[20:21], s51, v9
	v_sub_u32_e32 v11, 0x79, v9
	v_cmp_eq_u32_e32 vcc, 0, v9
	v_cndmask_b32_e64 v11, 0, v11, s[20:21]
	v_or_b32_e32 v22, 0x800000, v10
	v_cndmask_b32_e32 v19, v11, v59, vcc
	v_cndmask_b32_e32 v34, v22, v10, vcc
	v_add_u32_e32 v10, 20, v19
	v_lshlrev_b64 v[10:11], v10, -1
	v_add_u32_e32 v22, 19, v19
	v_lshlrev_b64 v[28:29], v22, 1
	v_bfi_b32 v11, v11, 0, 0
	v_bfi_b32 v10, v10, 0, v34
	v_cmp_eq_u64_e64 s[20:21], v[10:11], v[28:29]
	v_lshrrev_b64 v[10:11], v19, v[34:35]
	v_mov_b32_e32 v55, v11
	v_mov_b32_e32 v54, v10
	s_and_saveexec_b64 s[94:95], s[20:21]
; %bb.5562:                             ;   in Loop: Header=BB4_5324 Depth=2
	v_bfe_u32 v11, v10, 20, 1
	v_add_co_u32_e64 v11, s[20:21], v10, v11
	v_add_co_u32_e64 v54, s[20:21], -1, v11
; %bb.5563:                             ;   in Loop: Header=BB4_5324 Depth=2
	s_or_b64 exec, exec, s[94:95]
	v_add_u32_e32 v9, 0xffffff81, v9
	v_cndmask_b32_e32 v9, v9, v60, vcc
	v_lshrrev_b32_e32 v11, 23, v10
	v_add3_u32 v22, v19, v9, v11
	v_add_u32_e32 v19, 6, v22
	v_and_b32_e32 v9, 0xfffff, v54
	v_add_u32_e32 v34, v9, v10
	v_cmp_ne_u32_e32 vcc, 0, v19
                                        ; implicit-def: $vgpr10_vgpr11
                                        ; implicit-def: $vgpr9
	s_and_saveexec_b64 s[20:21], vcc
	s_xor_b64 s[20:21], exec, s[20:21]
; %bb.5564:                             ;   in Loop: Header=BB4_5324 Depth=2
	v_cmp_lt_u64_e32 vcc, s[58:59], v[34:35]
	v_add_u32_e32 v9, 7, v22
	v_cndmask_b32_e64 v10, 0, 1, vcc
	v_cndmask_b32_e32 v9, v19, v9, vcc
	v_lshrrev_b64 v[10:11], v10, v[34:35]
; %bb.5565:                             ;   in Loop: Header=BB4_5324 Depth=2
	s_andn2_saveexec_b64 s[20:21], s[20:21]
; %bb.5566:                             ;   in Loop: Header=BB4_5324 Depth=2
	v_mov_b32_e32 v10, v34
	v_bfe_u32 v9, v34, 23, 1
	v_mov_b32_e32 v11, v35
; %bb.5567:                             ;   in Loop: Header=BB4_5324 Depth=2
	s_or_b64 exec, exec, s[20:21]
	v_lshrrev_b64 v[10:11], 20, v[10:11]
	v_cmp_gt_i32_e32 vcc, 16, v9
	v_cndmask_b32_e32 v11, 0, v11, vcc
	v_cndmask_b32_e32 v10, 7, v10, vcc
	v_cmp_eq_u32_e32 vcc, 0, v9
	v_min_i32_e32 v9, 15, v9
	v_cmp_eq_u64_e64 s[20:21], 0, v[10:11]
	v_lshlrev_b32_e32 v9, 3, v9
	v_and_b32_e32 v9, 0xf8, v9
	v_and_or_b32 v9, v10, 7, v9
	s_and_b64 s[20:21], vcc, s[20:21]
	v_cndmask_b32_e64 v9, v9, 0, s[20:21]
	v_or_b32_e32 v24, v9, v6
.LBB4_5568:                             ;   in Loop: Header=BB4_5324 Depth=2
	s_or_b64 exec, exec, s[92:93]
                                        ; implicit-def: $vgpr6
.LBB4_5569:                             ;   in Loop: Header=BB4_5324 Depth=2
	s_andn2_saveexec_b64 s[20:21], s[90:91]
; %bb.5570:                             ;   in Loop: Header=BB4_5324 Depth=2
	v_or_b32_e32 v24, 0x7e, v6
; %bb.5571:                             ;   in Loop: Header=BB4_5324 Depth=2
	s_or_b64 exec, exec, s[20:21]
                                        ; implicit-def: $vgpr9
.LBB4_5572:                             ;   in Loop: Header=BB4_5324 Depth=2
	s_andn2_saveexec_b64 s[20:21], s[88:89]
; %bb.5573:                             ;   in Loop: Header=BB4_5324 Depth=2
	v_or_b32_sdwa v24, v9, s39 dst_sel:DWORD dst_unused:UNUSED_PAD src0_sel:BYTE_3 src1_sel:DWORD
; %bb.5574:                             ;   in Loop: Header=BB4_5324 Depth=2
	s_or_b64 exec, exec, s[20:21]
	v_cmp_lt_u32_e32 vcc, s61, v12
	v_mov_b32_e32 v6, 0
	s_and_saveexec_b64 s[20:21], vcc
	s_cbranch_execz .LBB4_5580
; %bb.5575:                             ;   in Loop: Header=BB4_5324 Depth=2
	v_lshrrev_b32_e32 v10, 24, v12
	v_cmp_ne_u32_e32 vcc, s50, v10
	v_bfrev_b32_e32 v6, 1
	s_and_saveexec_b64 s[88:89], vcc
	s_cbranch_execz .LBB4_5579
; %bb.5576:                             ;   in Loop: Header=BB4_5324 Depth=2
	v_bfe_u32 v9, v12, 24, 7
	v_cmp_ne_u32_e32 vcc, s39, v9
	v_mov_b32_e32 v6, 0x7f800001
	s_and_saveexec_b64 s[90:91], vcc
	s_cbranch_execz .LBB4_5578
; %bb.5577:                             ;   in Loop: Header=BB4_5324 Depth=2
	v_and_b32_e32 v6, 7, v10
	v_lshrrev_b32_e32 v11, 3, v9
	v_cmp_gt_u32_e32 vcc, 8, v9
	v_ffbh_u32_e32 v9, v6
	v_min_u32_e32 v9, 32, v9
	v_subrev_u32_e32 v19, 28, v9
	v_lshlrev_b64 v[28:29], v19, v[10:11]
	v_sub_u32_e32 v9, 29, v9
	v_and_b32_e32 v19, 7, v28
	v_cndmask_b32_e32 v9, v11, v9, vcc
	v_cndmask_b32_e32 v6, v6, v19, vcc
	v_lshlrev_b32_e32 v10, 24, v10
	v_lshlrev_b32_e32 v6, 20, v6
	v_and_b32_e32 v10, 0x80000000, v10
	v_lshl_add_u32 v9, v9, 23, v58
	v_or3_b32 v6, v10, v9, v6
.LBB4_5578:                             ;   in Loop: Header=BB4_5324 Depth=2
	s_or_b64 exec, exec, s[90:91]
.LBB4_5579:                             ;   in Loop: Header=BB4_5324 Depth=2
	s_or_b64 exec, exec, s[88:89]
.LBB4_5580:                             ;   in Loop: Header=BB4_5324 Depth=2
	s_or_b64 exec, exec, s[20:21]
	v_mul_f32_e32 v9, v7, v6
	v_and_b32_e32 v34, 0x7f800000, v9
	v_cmp_ne_u64_e32 vcc, s[46:47], v[34:35]
                                        ; implicit-def: $vgpr26
	s_and_saveexec_b64 s[20:21], vcc
	s_xor_b64 s[88:89], exec, s[20:21]
	s_cbranch_execz .LBB4_5594
; %bb.5581:                             ;   in Loop: Header=BB4_5324 Depth=2
	v_and_b32_e32 v34, 0x7fffffff, v9
	v_cmp_gt_u64_e32 vcc, s[56:57], v[34:35]
	v_and_b32_sdwa v6, v9, s50 dst_sel:DWORD dst_unused:UNUSED_PAD src0_sel:BYTE_3 src1_sel:DWORD
                                        ; implicit-def: $vgpr26
	s_and_saveexec_b64 s[20:21], vcc
	s_xor_b64 s[90:91], exec, s[20:21]
	s_cbranch_execz .LBB4_5591
; %bb.5582:                             ;   in Loop: Header=BB4_5324 Depth=2
	v_mov_b32_e32 v26, 0
	v_cmp_ne_u32_e32 vcc, 0, v9
	s_and_saveexec_b64 s[92:93], vcc
	s_cbranch_execz .LBB4_5590
; %bb.5583:                             ;   in Loop: Header=BB4_5324 Depth=2
	v_and_b32_e32 v10, 0x7fffff, v9
	v_bfe_u32 v9, v9, 23, 8
	v_cmp_gt_u32_e64 s[20:21], s51, v9
	v_sub_u32_e32 v11, 0x79, v9
	v_cmp_eq_u32_e32 vcc, 0, v9
	v_cndmask_b32_e64 v11, 0, v11, s[20:21]
	v_or_b32_e32 v22, 0x800000, v10
	v_cndmask_b32_e32 v19, v11, v59, vcc
	v_cndmask_b32_e32 v34, v22, v10, vcc
	v_add_u32_e32 v10, 20, v19
	v_lshlrev_b64 v[10:11], v10, -1
	v_add_u32_e32 v22, 19, v19
	v_lshlrev_b64 v[28:29], v22, 1
	v_bfi_b32 v11, v11, 0, 0
	v_bfi_b32 v10, v10, 0, v34
	v_cmp_eq_u64_e64 s[20:21], v[10:11], v[28:29]
	v_lshrrev_b64 v[10:11], v19, v[34:35]
	v_mov_b32_e32 v55, v11
	v_mov_b32_e32 v54, v10
	s_and_saveexec_b64 s[94:95], s[20:21]
; %bb.5584:                             ;   in Loop: Header=BB4_5324 Depth=2
	v_bfe_u32 v11, v10, 20, 1
	v_add_co_u32_e64 v11, s[20:21], v10, v11
	v_add_co_u32_e64 v54, s[20:21], -1, v11
; %bb.5585:                             ;   in Loop: Header=BB4_5324 Depth=2
	s_or_b64 exec, exec, s[94:95]
	v_add_u32_e32 v9, 0xffffff81, v9
	v_cndmask_b32_e32 v9, v9, v60, vcc
	v_lshrrev_b32_e32 v11, 23, v10
	v_add3_u32 v22, v19, v9, v11
	v_add_u32_e32 v19, 6, v22
	v_and_b32_e32 v9, 0xfffff, v54
	v_add_u32_e32 v34, v9, v10
	v_cmp_ne_u32_e32 vcc, 0, v19
                                        ; implicit-def: $vgpr10_vgpr11
                                        ; implicit-def: $vgpr9
	s_and_saveexec_b64 s[20:21], vcc
	s_xor_b64 s[20:21], exec, s[20:21]
; %bb.5586:                             ;   in Loop: Header=BB4_5324 Depth=2
	v_cmp_lt_u64_e32 vcc, s[58:59], v[34:35]
	v_add_u32_e32 v9, 7, v22
	v_cndmask_b32_e64 v10, 0, 1, vcc
	v_cndmask_b32_e32 v9, v19, v9, vcc
	v_lshrrev_b64 v[10:11], v10, v[34:35]
; %bb.5587:                             ;   in Loop: Header=BB4_5324 Depth=2
	s_andn2_saveexec_b64 s[20:21], s[20:21]
; %bb.5588:                             ;   in Loop: Header=BB4_5324 Depth=2
	v_mov_b32_e32 v10, v34
	v_bfe_u32 v9, v34, 23, 1
	v_mov_b32_e32 v11, v35
; %bb.5589:                             ;   in Loop: Header=BB4_5324 Depth=2
	s_or_b64 exec, exec, s[20:21]
	v_lshrrev_b64 v[10:11], 20, v[10:11]
	v_cmp_gt_i32_e32 vcc, 16, v9
	v_cndmask_b32_e32 v11, 0, v11, vcc
	v_cndmask_b32_e32 v10, 7, v10, vcc
	v_cmp_eq_u32_e32 vcc, 0, v9
	v_min_i32_e32 v9, 15, v9
	v_cmp_eq_u64_e64 s[20:21], 0, v[10:11]
	v_lshlrev_b32_e32 v9, 3, v9
	v_and_b32_e32 v9, 0xf8, v9
	v_and_or_b32 v9, v10, 7, v9
	s_and_b64 s[20:21], vcc, s[20:21]
	v_cndmask_b32_e64 v9, v9, 0, s[20:21]
	v_or_b32_e32 v26, v9, v6
.LBB4_5590:                             ;   in Loop: Header=BB4_5324 Depth=2
	s_or_b64 exec, exec, s[92:93]
                                        ; implicit-def: $vgpr6
.LBB4_5591:                             ;   in Loop: Header=BB4_5324 Depth=2
	s_andn2_saveexec_b64 s[20:21], s[90:91]
; %bb.5592:                             ;   in Loop: Header=BB4_5324 Depth=2
	v_or_b32_e32 v26, 0x7e, v6
; %bb.5593:                             ;   in Loop: Header=BB4_5324 Depth=2
	s_or_b64 exec, exec, s[20:21]
                                        ; implicit-def: $vgpr9
.LBB4_5594:                             ;   in Loop: Header=BB4_5324 Depth=2
	s_andn2_saveexec_b64 s[20:21], s[88:89]
; %bb.5595:                             ;   in Loop: Header=BB4_5324 Depth=2
	v_or_b32_sdwa v26, v9, s39 dst_sel:DWORD dst_unused:UNUSED_PAD src0_sel:BYTE_3 src1_sel:DWORD
; %bb.5596:                             ;   in Loop: Header=BB4_5324 Depth=2
	s_or_b64 exec, exec, s[20:21]
	v_mov_b32_e32 v34, v13
	v_cmp_ne_u16_sdwa s[88:89], v13, v35 src0_sel:BYTE_0 src1_sel:DWORD
	v_mov_b32_e32 v6, 0
	s_and_saveexec_b64 s[20:21], s[88:89]
	s_cbranch_execz .LBB4_5602
; %bb.5597:                             ;   in Loop: Header=BB4_5324 Depth=2
	v_cmp_ne_u16_sdwa s[90:91], v13, s50 src0_sel:BYTE_0 src1_sel:DWORD
	v_bfrev_b32_e32 v6, 1
	s_and_saveexec_b64 s[88:89], s[90:91]
	s_cbranch_execz .LBB4_5601
; %bb.5598:                             ;   in Loop: Header=BB4_5324 Depth=2
	v_and_b32_e32 v9, 0x7f, v13
	v_cmp_ne_u32_e32 vcc, s39, v9
	v_mov_b32_e32 v6, 0x7f800001
	s_and_saveexec_b64 s[90:91], vcc
	s_cbranch_execz .LBB4_5600
; %bb.5599:                             ;   in Loop: Header=BB4_5324 Depth=2
	v_and_b32_e32 v6, 7, v13
	v_ffbh_u32_e32 v6, v6
	v_min_u32_e32 v6, 32, v6
	v_lshrrev_b32_e32 v10, 3, v9
	v_cmp_gt_u32_e32 vcc, 8, v9
	v_subrev_u32_e32 v9, 28, v6
	v_sub_u32_e32 v6, 29, v6
	v_cndmask_b32_e32 v9, 0, v9, vcc
	v_cndmask_b32_e32 v6, v10, v6, vcc
	v_lshlrev_b64 v[9:10], v9, v[34:35]
	v_lshlrev_b32_e32 v10, 24, v34
	v_lshlrev_b32_e32 v9, 20, v9
	v_and_b32_e32 v9, 0x700000, v9
	v_and_b32_e32 v10, 0x80000000, v10
	v_lshl_add_u32 v6, v6, 23, v58
	v_or3_b32 v6, v10, v6, v9
.LBB4_5600:                             ;   in Loop: Header=BB4_5324 Depth=2
	s_or_b64 exec, exec, s[90:91]
.LBB4_5601:                             ;   in Loop: Header=BB4_5324 Depth=2
	s_or_b64 exec, exec, s[88:89]
.LBB4_5602:                             ;   in Loop: Header=BB4_5324 Depth=2
	s_or_b64 exec, exec, s[20:21]
	v_mul_f32_e32 v10, v7, v6
	v_and_b32_e32 v28, 0x7f800000, v10
	v_mov_b32_e32 v29, v35
	v_cmp_ne_u64_e32 vcc, s[46:47], v[28:29]
                                        ; implicit-def: $vgpr6
	s_and_saveexec_b64 s[20:21], vcc
	s_xor_b64 s[88:89], exec, s[20:21]
	s_cbranch_execz .LBB4_5616
; %bb.5603:                             ;   in Loop: Header=BB4_5324 Depth=2
	v_and_b32_e32 v28, 0x7fffffff, v10
	v_mov_b32_e32 v29, v35
	v_cmp_gt_u64_e32 vcc, s[56:57], v[28:29]
	v_and_b32_sdwa v9, v10, s50 dst_sel:DWORD dst_unused:UNUSED_PAD src0_sel:BYTE_3 src1_sel:DWORD
                                        ; implicit-def: $vgpr6
	s_and_saveexec_b64 s[20:21], vcc
	s_xor_b64 s[90:91], exec, s[20:21]
	s_cbranch_execz .LBB4_5613
; %bb.5604:                             ;   in Loop: Header=BB4_5324 Depth=2
	v_mov_b32_e32 v6, 0
	v_cmp_ne_u32_e32 vcc, 0, v10
	s_and_saveexec_b64 s[92:93], vcc
	s_cbranch_execz .LBB4_5612
; %bb.5605:                             ;   in Loop: Header=BB4_5324 Depth=2
	v_bfe_u32 v6, v10, 23, 8
	v_and_b32_e32 v11, 0x7fffff, v10
	v_cmp_gt_u32_e64 s[20:21], s51, v6
	v_sub_u32_e32 v10, 0x79, v6
	v_cmp_eq_u32_e32 vcc, 0, v6
	v_cndmask_b32_e64 v10, 0, v10, s[20:21]
	v_or_b32_e32 v22, 0x800000, v11
	v_cndmask_b32_e32 v19, v10, v59, vcc
	v_cndmask_b32_e32 v10, v22, v11, vcc
	v_add_u32_e32 v22, 20, v19
	v_lshlrev_b64 v[28:29], v22, -1
	v_mov_b32_e32 v11, v35
	v_add_u32_e32 v22, 19, v19
	v_bfi_b32 v28, v28, 0, v10
	v_lshlrev_b64 v[48:49], v22, 1
	v_lshrrev_b64 v[10:11], v19, v[10:11]
	v_bfi_b32 v29, v29, 0, 0
	v_cmp_eq_u64_e64 s[20:21], v[28:29], v[48:49]
	v_mov_b32_e32 v55, v11
	v_mov_b32_e32 v54, v10
	s_and_saveexec_b64 s[94:95], s[20:21]
; %bb.5606:                             ;   in Loop: Header=BB4_5324 Depth=2
	v_bfe_u32 v11, v10, 20, 1
	v_add_co_u32_e64 v11, s[20:21], v10, v11
	v_add_co_u32_e64 v54, s[20:21], -1, v11
; %bb.5607:                             ;   in Loop: Header=BB4_5324 Depth=2
	s_or_b64 exec, exec, s[94:95]
	v_add_u32_e32 v6, 0xffffff81, v6
	v_cndmask_b32_e32 v6, v6, v60, vcc
	v_lshrrev_b32_e32 v11, 23, v10
	v_add3_u32 v22, v19, v6, v11
	v_add_u32_e32 v19, 6, v22
	v_and_b32_e32 v6, 0xfffff, v54
	v_add_u32_e32 v10, v6, v10
	v_mov_b32_e32 v11, v35
	v_cmp_ne_u32_e32 vcc, 0, v19
                                        ; implicit-def: $vgpr6
	s_and_saveexec_b64 s[20:21], vcc
	s_xor_b64 s[20:21], exec, s[20:21]
; %bb.5608:                             ;   in Loop: Header=BB4_5324 Depth=2
	v_cmp_lt_u64_e32 vcc, s[58:59], v[10:11]
	v_add_u32_e32 v6, 7, v22
	v_cndmask_b32_e32 v6, v19, v6, vcc
	v_cndmask_b32_e64 v19, 0, 1, vcc
	v_lshrrev_b64 v[10:11], v19, v[10:11]
; %bb.5609:                             ;   in Loop: Header=BB4_5324 Depth=2
	s_andn2_saveexec_b64 s[20:21], s[20:21]
; %bb.5610:                             ;   in Loop: Header=BB4_5324 Depth=2
	v_bfe_u32 v6, v10, 23, 1
; %bb.5611:                             ;   in Loop: Header=BB4_5324 Depth=2
	s_or_b64 exec, exec, s[20:21]
	v_lshrrev_b64 v[10:11], 20, v[10:11]
	v_cmp_gt_i32_e32 vcc, 16, v6
	v_cndmask_b32_e32 v11, 0, v11, vcc
	v_cndmask_b32_e32 v10, 7, v10, vcc
	v_cmp_eq_u32_e32 vcc, 0, v6
	v_min_i32_e32 v6, 15, v6
	v_cmp_eq_u64_e64 s[20:21], 0, v[10:11]
	v_lshlrev_b32_e32 v6, 3, v6
	v_and_b32_e32 v6, 0xf8, v6
	v_and_or_b32 v6, v10, 7, v6
	s_and_b64 s[20:21], vcc, s[20:21]
	v_cndmask_b32_e64 v6, v6, 0, s[20:21]
	v_or_b32_e32 v6, v6, v9
.LBB4_5612:                             ;   in Loop: Header=BB4_5324 Depth=2
	s_or_b64 exec, exec, s[92:93]
                                        ; implicit-def: $vgpr9
.LBB4_5613:                             ;   in Loop: Header=BB4_5324 Depth=2
	s_andn2_saveexec_b64 s[20:21], s[90:91]
; %bb.5614:                             ;   in Loop: Header=BB4_5324 Depth=2
	v_or_b32_e32 v6, 0x7e, v9
; %bb.5615:                             ;   in Loop: Header=BB4_5324 Depth=2
	s_or_b64 exec, exec, s[20:21]
                                        ; implicit-def: $vgpr10
.LBB4_5616:                             ;   in Loop: Header=BB4_5324 Depth=2
	s_andn2_saveexec_b64 s[20:21], s[88:89]
; %bb.5617:                             ;   in Loop: Header=BB4_5324 Depth=2
	v_or_b32_sdwa v6, v10, s39 dst_sel:DWORD dst_unused:UNUSED_PAD src0_sel:BYTE_3 src1_sel:DWORD
; %bb.5618:                             ;   in Loop: Header=BB4_5324 Depth=2
	s_or_b64 exec, exec, s[20:21]
	v_lshrrev_b16_e32 v10, 8, v34
	v_cmp_ne_u16_e32 vcc, 0, v10
	v_mov_b32_e32 v9, 0
	s_and_saveexec_b64 s[20:21], vcc
	s_cbranch_execz .LBB4_5624
; %bb.5619:                             ;   in Loop: Header=BB4_5324 Depth=2
	v_cmp_ne_u16_e32 vcc, s50, v10
	v_bfrev_b32_e32 v9, 1
	s_and_saveexec_b64 s[88:89], vcc
	s_cbranch_execz .LBB4_5623
; %bb.5620:                             ;   in Loop: Header=BB4_5324 Depth=2
	v_and_b32_e32 v11, 0x7f, v10
	v_cmp_ne_u32_e32 vcc, s39, v11
	v_mov_b32_e32 v9, 0x7f800001
	s_and_saveexec_b64 s[90:91], vcc
	s_cbranch_execz .LBB4_5622
; %bb.5621:                             ;   in Loop: Header=BB4_5324 Depth=2
	v_and_b32_e32 v19, 7, v10
	v_ffbh_u32_e32 v9, v19
	v_lshrrev_b32_e32 v22, 3, v11
	v_cmp_gt_u32_e32 vcc, 8, v11
	v_min_u32_e32 v11, 32, v9
	v_subrev_u32_e32 v9, 28, v11
	v_lshlrev_b64 v[9:10], v9, v[10:11]
	v_sub_u32_e32 v10, 29, v11
	v_and_b32_e32 v9, 7, v9
	v_cndmask_b32_e32 v10, v22, v10, vcc
	v_cndmask_b32_e32 v9, v19, v9, vcc
	v_lshlrev_b32_e32 v11, 16, v34
	v_lshlrev_b32_e32 v9, 20, v9
	v_and_b32_e32 v11, 0x80000000, v11
	v_lshl_add_u32 v10, v10, 23, v58
	v_or3_b32 v9, v11, v10, v9
.LBB4_5622:                             ;   in Loop: Header=BB4_5324 Depth=2
	s_or_b64 exec, exec, s[90:91]
.LBB4_5623:                             ;   in Loop: Header=BB4_5324 Depth=2
	s_or_b64 exec, exec, s[88:89]
.LBB4_5624:                             ;   in Loop: Header=BB4_5324 Depth=2
	s_or_b64 exec, exec, s[20:21]
	v_mul_f32_e32 v10, v7, v9
	v_and_b32_e32 v34, 0x7f800000, v10
	v_cmp_ne_u64_e32 vcc, s[46:47], v[34:35]
                                        ; implicit-def: $vgpr9
	s_and_saveexec_b64 s[20:21], vcc
	s_xor_b64 s[88:89], exec, s[20:21]
	s_cbranch_execz .LBB4_5638
; %bb.5625:                             ;   in Loop: Header=BB4_5324 Depth=2
	v_and_b32_e32 v34, 0x7fffffff, v10
	v_cmp_gt_u64_e32 vcc, s[56:57], v[34:35]
	v_and_b32_sdwa v19, v10, s50 dst_sel:DWORD dst_unused:UNUSED_PAD src0_sel:BYTE_3 src1_sel:DWORD
                                        ; implicit-def: $vgpr9
	s_and_saveexec_b64 s[20:21], vcc
	s_xor_b64 s[90:91], exec, s[20:21]
	s_cbranch_execz .LBB4_5635
; %bb.5626:                             ;   in Loop: Header=BB4_5324 Depth=2
	v_mov_b32_e32 v9, 0
	v_cmp_ne_u32_e32 vcc, 0, v10
	s_and_saveexec_b64 s[92:93], vcc
	s_cbranch_execz .LBB4_5634
; %bb.5627:                             ;   in Loop: Header=BB4_5324 Depth=2
	v_bfe_u32 v9, v10, 23, 8
	v_and_b32_e32 v11, 0x7fffff, v10
	v_cmp_gt_u32_e64 s[20:21], s51, v9
	v_sub_u32_e32 v10, 0x79, v9
	v_cmp_eq_u32_e32 vcc, 0, v9
	v_cndmask_b32_e64 v10, 0, v10, s[20:21]
	v_cndmask_b32_e32 v22, v10, v59, vcc
	v_or_b32_e32 v28, 0x800000, v11
	v_add_u32_e32 v10, 20, v22
	v_cndmask_b32_e32 v34, v28, v11, vcc
	v_lshlrev_b64 v[10:11], v10, -1
	v_add_u32_e32 v28, 19, v22
	v_lshlrev_b64 v[28:29], v28, 1
	v_bfi_b32 v11, v11, 0, 0
	v_bfi_b32 v10, v10, 0, v34
	v_cmp_eq_u64_e64 s[20:21], v[10:11], v[28:29]
	v_lshrrev_b64 v[10:11], v22, v[34:35]
	v_mov_b32_e32 v55, v11
	v_mov_b32_e32 v54, v10
	s_and_saveexec_b64 s[94:95], s[20:21]
; %bb.5628:                             ;   in Loop: Header=BB4_5324 Depth=2
	v_bfe_u32 v11, v10, 20, 1
	v_add_co_u32_e64 v11, s[20:21], v10, v11
	v_add_co_u32_e64 v54, s[20:21], -1, v11
; %bb.5629:                             ;   in Loop: Header=BB4_5324 Depth=2
	s_or_b64 exec, exec, s[94:95]
	v_add_u32_e32 v9, 0xffffff81, v9
	v_cndmask_b32_e32 v9, v9, v60, vcc
	v_lshrrev_b32_e32 v11, 23, v10
	v_add3_u32 v28, v22, v9, v11
	v_add_u32_e32 v22, 6, v28
	v_and_b32_e32 v9, 0xfffff, v54
	v_add_u32_e32 v34, v9, v10
	v_cmp_ne_u32_e32 vcc, 0, v22
                                        ; implicit-def: $vgpr10_vgpr11
                                        ; implicit-def: $vgpr9
	s_and_saveexec_b64 s[20:21], vcc
	s_xor_b64 s[20:21], exec, s[20:21]
; %bb.5630:                             ;   in Loop: Header=BB4_5324 Depth=2
	v_cmp_lt_u64_e32 vcc, s[58:59], v[34:35]
	v_add_u32_e32 v9, 7, v28
	v_cndmask_b32_e64 v10, 0, 1, vcc
	v_cndmask_b32_e32 v9, v22, v9, vcc
	v_lshrrev_b64 v[10:11], v10, v[34:35]
; %bb.5631:                             ;   in Loop: Header=BB4_5324 Depth=2
	s_andn2_saveexec_b64 s[20:21], s[20:21]
; %bb.5632:                             ;   in Loop: Header=BB4_5324 Depth=2
	v_mov_b32_e32 v10, v34
	v_bfe_u32 v9, v34, 23, 1
	v_mov_b32_e32 v11, v35
; %bb.5633:                             ;   in Loop: Header=BB4_5324 Depth=2
	s_or_b64 exec, exec, s[20:21]
	v_lshrrev_b64 v[10:11], 20, v[10:11]
	v_cmp_gt_i32_e32 vcc, 16, v9
	v_cndmask_b32_e32 v11, 0, v11, vcc
	v_cndmask_b32_e32 v10, 7, v10, vcc
	v_cmp_eq_u32_e32 vcc, 0, v9
	v_min_i32_e32 v9, 15, v9
	v_cmp_eq_u64_e64 s[20:21], 0, v[10:11]
	v_lshlrev_b32_e32 v9, 3, v9
	v_and_b32_e32 v9, 0xf8, v9
	v_and_or_b32 v9, v10, 7, v9
	s_and_b64 s[20:21], vcc, s[20:21]
	v_cndmask_b32_e64 v9, v9, 0, s[20:21]
	v_or_b32_e32 v9, v9, v19
.LBB4_5634:                             ;   in Loop: Header=BB4_5324 Depth=2
	s_or_b64 exec, exec, s[92:93]
                                        ; implicit-def: $vgpr19
.LBB4_5635:                             ;   in Loop: Header=BB4_5324 Depth=2
	s_andn2_saveexec_b64 s[20:21], s[90:91]
; %bb.5636:                             ;   in Loop: Header=BB4_5324 Depth=2
	v_or_b32_e32 v9, 0x7e, v19
; %bb.5637:                             ;   in Loop: Header=BB4_5324 Depth=2
	s_or_b64 exec, exec, s[20:21]
                                        ; implicit-def: $vgpr10
.LBB4_5638:                             ;   in Loop: Header=BB4_5324 Depth=2
	s_andn2_saveexec_b64 s[20:21], s[88:89]
; %bb.5639:                             ;   in Loop: Header=BB4_5324 Depth=2
	v_or_b32_sdwa v9, v10, s39 dst_sel:DWORD dst_unused:UNUSED_PAD src0_sel:BYTE_3 src1_sel:DWORD
; %bb.5640:                             ;   in Loop: Header=BB4_5324 Depth=2
	s_or_b64 exec, exec, s[20:21]
	v_lshrrev_b32_e32 v10, 16, v13
	v_cmp_ne_u16_sdwa s[88:89], v10, v35 src0_sel:BYTE_0 src1_sel:DWORD
	v_mov_b32_e32 v11, 0
	s_and_saveexec_b64 s[20:21], s[88:89]
	s_cbranch_execz .LBB4_5646
; %bb.5641:                             ;   in Loop: Header=BB4_5324 Depth=2
	v_cmp_ne_u16_sdwa s[90:91], v10, s50 src0_sel:BYTE_0 src1_sel:DWORD
	v_bfrev_b32_e32 v11, 1
	s_and_saveexec_b64 s[88:89], s[90:91]
	s_cbranch_execz .LBB4_5645
; %bb.5642:                             ;   in Loop: Header=BB4_5324 Depth=2
	v_bfe_u32 v19, v13, 16, 7
	v_cmp_ne_u32_e32 vcc, s39, v19
	v_mov_b32_e32 v11, 0x7f800001
	s_and_saveexec_b64 s[90:91], vcc
	s_cbranch_execz .LBB4_5644
; %bb.5643:                             ;   in Loop: Header=BB4_5324 Depth=2
	v_and_b32_e32 v11, 7, v10
	v_lshrrev_b32_e32 v22, 3, v19
	v_cmp_gt_u32_e32 vcc, 8, v19
	v_ffbh_u32_e32 v19, v11
	v_min_u32_e32 v19, 32, v19
	v_subrev_u32_e32 v28, 28, v19
	v_lshlrev_b64 v[28:29], v28, v[10:11]
	v_sub_u32_e32 v19, 29, v19
	v_and_b32_e32 v28, 7, v28
	v_cndmask_b32_e32 v19, v22, v19, vcc
	v_cndmask_b32_e32 v11, v11, v28, vcc
	v_lshlrev_b32_e32 v10, 24, v10
	v_lshlrev_b32_e32 v11, 20, v11
	v_and_b32_e32 v10, 0x80000000, v10
	v_lshl_add_u32 v19, v19, 23, v58
	v_or3_b32 v11, v10, v19, v11
.LBB4_5644:                             ;   in Loop: Header=BB4_5324 Depth=2
	s_or_b64 exec, exec, s[90:91]
.LBB4_5645:                             ;   in Loop: Header=BB4_5324 Depth=2
	s_or_b64 exec, exec, s[88:89]
.LBB4_5646:                             ;   in Loop: Header=BB4_5324 Depth=2
	s_or_b64 exec, exec, s[20:21]
	v_mul_f32_e32 v10, v7, v11
	v_and_b32_e32 v34, 0x7f800000, v10
	v_cmp_ne_u64_e32 vcc, s[46:47], v[34:35]
                                        ; implicit-def: $vgpr19
	s_and_saveexec_b64 s[20:21], vcc
	s_xor_b64 s[88:89], exec, s[20:21]
	s_cbranch_execz .LBB4_5660
; %bb.5647:                             ;   in Loop: Header=BB4_5324 Depth=2
	v_and_b32_e32 v34, 0x7fffffff, v10
	v_cmp_gt_u64_e32 vcc, s[56:57], v[34:35]
	v_and_b32_sdwa v22, v10, s50 dst_sel:DWORD dst_unused:UNUSED_PAD src0_sel:BYTE_3 src1_sel:DWORD
                                        ; implicit-def: $vgpr19
	s_and_saveexec_b64 s[20:21], vcc
	s_xor_b64 s[90:91], exec, s[20:21]
	s_cbranch_execz .LBB4_5657
; %bb.5648:                             ;   in Loop: Header=BB4_5324 Depth=2
	v_mov_b32_e32 v19, 0
	v_cmp_ne_u32_e32 vcc, 0, v10
	s_and_saveexec_b64 s[92:93], vcc
	s_cbranch_execz .LBB4_5656
; %bb.5649:                             ;   in Loop: Header=BB4_5324 Depth=2
	v_bfe_u32 v19, v10, 23, 8
	v_and_b32_e32 v11, 0x7fffff, v10
	v_cmp_gt_u32_e64 s[20:21], s51, v19
	v_sub_u32_e32 v10, 0x79, v19
	v_cmp_eq_u32_e32 vcc, 0, v19
	v_cndmask_b32_e64 v10, 0, v10, s[20:21]
	v_cndmask_b32_e32 v28, v10, v59, vcc
	v_or_b32_e32 v29, 0x800000, v11
	v_add_u32_e32 v10, 20, v28
	v_cndmask_b32_e32 v34, v29, v11, vcc
	v_lshlrev_b64 v[10:11], v10, -1
	v_add_u32_e32 v29, 19, v28
	v_lshlrev_b64 v[29:30], v29, 1
	v_bfi_b32 v11, v11, 0, 0
	v_bfi_b32 v10, v10, 0, v34
	v_cmp_eq_u64_e64 s[20:21], v[10:11], v[29:30]
	v_lshrrev_b64 v[10:11], v28, v[34:35]
	v_mov_b32_e32 v55, v11
	v_mov_b32_e32 v54, v10
	s_and_saveexec_b64 s[94:95], s[20:21]
; %bb.5650:                             ;   in Loop: Header=BB4_5324 Depth=2
	v_bfe_u32 v11, v10, 20, 1
	v_add_co_u32_e64 v11, s[20:21], v10, v11
	v_add_co_u32_e64 v54, s[20:21], -1, v11
; %bb.5651:                             ;   in Loop: Header=BB4_5324 Depth=2
	s_or_b64 exec, exec, s[94:95]
	v_add_u32_e32 v11, 0xffffff81, v19
	v_cndmask_b32_e32 v11, v11, v60, vcc
	v_lshrrev_b32_e32 v19, 23, v10
	v_add3_u32 v29, v28, v11, v19
	v_add_u32_e32 v28, 6, v29
	v_and_b32_e32 v11, 0xfffff, v54
	v_add_u32_e32 v34, v11, v10
	v_cmp_ne_u32_e32 vcc, 0, v28
                                        ; implicit-def: $vgpr10_vgpr11
                                        ; implicit-def: $vgpr19
	s_and_saveexec_b64 s[20:21], vcc
	s_xor_b64 s[20:21], exec, s[20:21]
; %bb.5652:                             ;   in Loop: Header=BB4_5324 Depth=2
	v_cmp_lt_u64_e32 vcc, s[58:59], v[34:35]
	v_add_u32_e32 v10, 7, v29
	v_cndmask_b32_e32 v19, v28, v10, vcc
	v_cndmask_b32_e64 v10, 0, 1, vcc
	v_lshrrev_b64 v[10:11], v10, v[34:35]
; %bb.5653:                             ;   in Loop: Header=BB4_5324 Depth=2
	s_andn2_saveexec_b64 s[20:21], s[20:21]
; %bb.5654:                             ;   in Loop: Header=BB4_5324 Depth=2
	v_mov_b32_e32 v10, v34
	v_bfe_u32 v19, v34, 23, 1
	v_mov_b32_e32 v11, v35
; %bb.5655:                             ;   in Loop: Header=BB4_5324 Depth=2
	s_or_b64 exec, exec, s[20:21]
	v_lshrrev_b64 v[10:11], 20, v[10:11]
	v_cmp_gt_i32_e32 vcc, 16, v19
	v_cndmask_b32_e32 v11, 0, v11, vcc
	v_cndmask_b32_e32 v10, 7, v10, vcc
	v_cmp_eq_u64_e64 s[20:21], 0, v[10:11]
	v_min_i32_e32 v11, 15, v19
	v_lshlrev_b32_e32 v11, 3, v11
	v_cmp_eq_u32_e32 vcc, 0, v19
	v_and_b32_e32 v11, 0xf8, v11
	v_and_or_b32 v10, v10, 7, v11
	s_and_b64 s[20:21], vcc, s[20:21]
	v_cndmask_b32_e64 v10, v10, 0, s[20:21]
	v_or_b32_e32 v19, v10, v22
.LBB4_5656:                             ;   in Loop: Header=BB4_5324 Depth=2
	s_or_b64 exec, exec, s[92:93]
                                        ; implicit-def: $vgpr22
.LBB4_5657:                             ;   in Loop: Header=BB4_5324 Depth=2
	s_andn2_saveexec_b64 s[20:21], s[90:91]
; %bb.5658:                             ;   in Loop: Header=BB4_5324 Depth=2
	v_or_b32_e32 v19, 0x7e, v22
; %bb.5659:                             ;   in Loop: Header=BB4_5324 Depth=2
	s_or_b64 exec, exec, s[20:21]
                                        ; implicit-def: $vgpr10
.LBB4_5660:                             ;   in Loop: Header=BB4_5324 Depth=2
	s_andn2_saveexec_b64 s[20:21], s[88:89]
; %bb.5661:                             ;   in Loop: Header=BB4_5324 Depth=2
	v_or_b32_sdwa v19, v10, s39 dst_sel:DWORD dst_unused:UNUSED_PAD src0_sel:BYTE_3 src1_sel:DWORD
; %bb.5662:                             ;   in Loop: Header=BB4_5324 Depth=2
	s_or_b64 exec, exec, s[20:21]
	v_cmp_lt_u64_e32 vcc, s[60:61], v[12:13]
	v_mov_b32_e32 v11, 0
	s_and_saveexec_b64 s[20:21], vcc
	s_cbranch_execz .LBB4_5668
; %bb.5663:                             ;   in Loop: Header=BB4_5324 Depth=2
	v_lshrrev_b32_e32 v10, 24, v13
	v_cmp_ne_u32_e32 vcc, s50, v10
	v_bfrev_b32_e32 v11, 1
	s_and_saveexec_b64 s[88:89], vcc
	s_cbranch_execz .LBB4_5667
; %bb.5664:                             ;   in Loop: Header=BB4_5324 Depth=2
	v_bfe_u32 v12, v13, 24, 7
	v_cmp_ne_u32_e32 vcc, s39, v12
	v_mov_b32_e32 v11, 0x7f800001
	s_and_saveexec_b64 s[90:91], vcc
	s_cbranch_execz .LBB4_5666
; %bb.5665:                             ;   in Loop: Header=BB4_5324 Depth=2
	v_and_b32_e32 v13, 7, v10
	v_ffbh_u32_e32 v11, v13
	v_min_u32_e32 v28, 32, v11
	v_subrev_u32_e32 v11, 28, v28
	v_lshrrev_b32_e32 v22, 3, v12
	v_cmp_gt_u32_e32 vcc, 8, v12
	v_lshlrev_b64 v[11:12], v11, v[10:11]
	v_sub_u32_e32 v12, 29, v28
	v_and_b32_e32 v11, 7, v11
	v_cndmask_b32_e32 v12, v22, v12, vcc
	v_cndmask_b32_e32 v11, v13, v11, vcc
	v_lshlrev_b32_e32 v10, 24, v10
	v_lshlrev_b32_e32 v11, 20, v11
	v_and_b32_e32 v10, 0x80000000, v10
	v_lshl_add_u32 v12, v12, 23, v58
	v_or3_b32 v11, v10, v12, v11
.LBB4_5666:                             ;   in Loop: Header=BB4_5324 Depth=2
	s_or_b64 exec, exec, s[90:91]
.LBB4_5667:                             ;   in Loop: Header=BB4_5324 Depth=2
	s_or_b64 exec, exec, s[88:89]
.LBB4_5668:                             ;   in Loop: Header=BB4_5324 Depth=2
	s_or_b64 exec, exec, s[20:21]
	v_mul_f32_e32 v10, v7, v11
	v_and_b32_e32 v34, 0x7f800000, v10
	v_cmp_ne_u64_e32 vcc, s[46:47], v[34:35]
                                        ; implicit-def: $vgpr22
	s_and_saveexec_b64 s[20:21], vcc
	s_xor_b64 s[88:89], exec, s[20:21]
	s_cbranch_execz .LBB4_5682
; %bb.5669:                             ;   in Loop: Header=BB4_5324 Depth=2
	v_and_b32_e32 v34, 0x7fffffff, v10
	v_cmp_gt_u64_e32 vcc, s[56:57], v[34:35]
	v_and_b32_sdwa v7, v10, s50 dst_sel:DWORD dst_unused:UNUSED_PAD src0_sel:BYTE_3 src1_sel:DWORD
                                        ; implicit-def: $vgpr22
	s_and_saveexec_b64 s[20:21], vcc
	s_xor_b64 s[90:91], exec, s[20:21]
	s_cbranch_execz .LBB4_5679
; %bb.5670:                             ;   in Loop: Header=BB4_5324 Depth=2
	v_mov_b32_e32 v22, 0
	v_cmp_ne_u32_e32 vcc, 0, v10
	s_and_saveexec_b64 s[92:93], vcc
	s_cbranch_execz .LBB4_5678
; %bb.5671:                             ;   in Loop: Header=BB4_5324 Depth=2
	v_bfe_u32 v13, v10, 23, 8
	v_and_b32_e32 v11, 0x7fffff, v10
	v_cmp_gt_u32_e64 s[20:21], s51, v13
	v_sub_u32_e32 v10, 0x79, v13
	v_cmp_eq_u32_e32 vcc, 0, v13
	v_cndmask_b32_e64 v10, 0, v10, s[20:21]
	v_cndmask_b32_e32 v22, v10, v59, vcc
	v_or_b32_e32 v12, 0x800000, v11
	v_add_u32_e32 v10, 20, v22
	v_cndmask_b32_e32 v34, v12, v11, vcc
	v_lshlrev_b64 v[10:11], v10, -1
	v_add_u32_e32 v12, 19, v22
	v_lshlrev_b64 v[28:29], v12, 1
	v_bfi_b32 v11, v11, 0, 0
	v_bfi_b32 v10, v10, 0, v34
	v_cmp_eq_u64_e64 s[20:21], v[10:11], v[28:29]
	v_lshrrev_b64 v[10:11], v22, v[34:35]
	v_mov_b32_e32 v12, v11
	v_mov_b32_e32 v11, v10
	s_and_saveexec_b64 s[94:95], s[20:21]
; %bb.5672:                             ;   in Loop: Header=BB4_5324 Depth=2
	v_bfe_u32 v11, v10, 20, 1
	v_add_co_u32_e64 v11, s[20:21], v10, v11
	v_add_co_u32_e64 v11, s[20:21], -1, v11
; %bb.5673:                             ;   in Loop: Header=BB4_5324 Depth=2
	s_or_b64 exec, exec, s[94:95]
	v_add_u32_e32 v12, 0xffffff81, v13
	v_cndmask_b32_e32 v12, v12, v60, vcc
	v_lshrrev_b32_e32 v13, 23, v10
	v_add3_u32 v22, v22, v12, v13
	v_add_u32_e32 v13, 6, v22
	v_and_b32_e32 v11, 0xfffff, v11
	v_add_u32_e32 v34, v11, v10
	v_cmp_ne_u32_e32 vcc, 0, v13
                                        ; implicit-def: $vgpr10_vgpr11
                                        ; implicit-def: $vgpr12
	s_and_saveexec_b64 s[20:21], vcc
	s_xor_b64 s[20:21], exec, s[20:21]
; %bb.5674:                             ;   in Loop: Header=BB4_5324 Depth=2
	v_cmp_lt_u64_e32 vcc, s[58:59], v[34:35]
	v_add_u32_e32 v10, 7, v22
	v_cndmask_b32_e32 v12, v13, v10, vcc
	v_cndmask_b32_e64 v10, 0, 1, vcc
	v_lshrrev_b64 v[10:11], v10, v[34:35]
; %bb.5675:                             ;   in Loop: Header=BB4_5324 Depth=2
	s_andn2_saveexec_b64 s[20:21], s[20:21]
; %bb.5676:                             ;   in Loop: Header=BB4_5324 Depth=2
	v_mov_b32_e32 v10, v34
	v_bfe_u32 v12, v34, 23, 1
	v_mov_b32_e32 v11, v35
; %bb.5677:                             ;   in Loop: Header=BB4_5324 Depth=2
	s_or_b64 exec, exec, s[20:21]
	v_lshrrev_b64 v[10:11], 20, v[10:11]
	v_cmp_gt_i32_e32 vcc, 16, v12
	v_cndmask_b32_e32 v11, 0, v11, vcc
	v_cndmask_b32_e32 v10, 7, v10, vcc
	v_cmp_eq_u64_e64 s[20:21], 0, v[10:11]
	v_min_i32_e32 v11, 15, v12
	v_lshlrev_b32_e32 v11, 3, v11
	v_cmp_eq_u32_e32 vcc, 0, v12
	v_and_b32_e32 v11, 0xf8, v11
	v_and_or_b32 v10, v10, 7, v11
	s_and_b64 s[20:21], vcc, s[20:21]
	v_cndmask_b32_e64 v10, v10, 0, s[20:21]
	v_or_b32_e32 v22, v10, v7
.LBB4_5678:                             ;   in Loop: Header=BB4_5324 Depth=2
	s_or_b64 exec, exec, s[92:93]
                                        ; implicit-def: $vgpr7
.LBB4_5679:                             ;   in Loop: Header=BB4_5324 Depth=2
	s_andn2_saveexec_b64 s[20:21], s[90:91]
; %bb.5680:                             ;   in Loop: Header=BB4_5324 Depth=2
	v_or_b32_e32 v22, 0x7e, v7
; %bb.5681:                             ;   in Loop: Header=BB4_5324 Depth=2
	s_or_b64 exec, exec, s[20:21]
                                        ; implicit-def: $vgpr10
.LBB4_5682:                             ;   in Loop: Header=BB4_5324 Depth=2
	s_andn2_saveexec_b64 s[20:21], s[88:89]
; %bb.5683:                             ;   in Loop: Header=BB4_5324 Depth=2
	v_or_b32_sdwa v22, v10, s39 dst_sel:DWORD dst_unused:UNUSED_PAD src0_sel:BYTE_3 src1_sel:DWORD
; %bb.5684:                             ;   in Loop: Header=BB4_5324 Depth=2
	s_or_b64 exec, exec, s[20:21]
	v_lshl_or_b32 v7, v18, 8, v2
	v_lshlrev_b32_e32 v10, 16, v23
	v_lshlrev_b32_e32 v11, 24, v32
	v_or3_b32 v34, v10, v11, v7
	global_load_dwordx4 v[10:13], v[16:17], off glc slc
	v_cmp_ne_u32_e32 vcc, 0, v2
	v_mov_b32_e32 v18, 0
	s_and_saveexec_b64 s[20:21], vcc
	s_cbranch_execz .LBB4_5690
; %bb.5685:                             ;   in Loop: Header=BB4_5324 Depth=2
	v_cmp_ne_u32_e32 vcc, s50, v2
	v_bfrev_b32_e32 v18, 1
	s_and_saveexec_b64 s[88:89], vcc
	s_cbranch_execz .LBB4_5689
; %bb.5686:                             ;   in Loop: Header=BB4_5324 Depth=2
	v_and_b32_e32 v23, 0x7f, v2
	v_cmp_ne_u32_e32 vcc, s39, v23
	v_mov_b32_e32 v18, 0x7f800001
	s_and_saveexec_b64 s[90:91], vcc
	s_cbranch_execz .LBB4_5688
; %bb.5687:                             ;   in Loop: Header=BB4_5324 Depth=2
	v_and_b32_e32 v2, 7, v2
	v_ffbh_u32_e32 v2, v2
	v_min_u32_e32 v2, 32, v2
	v_lshrrev_b32_e32 v18, 3, v23
	v_cmp_gt_u32_e32 vcc, 8, v23
	v_subrev_u32_e32 v23, 28, v2
	v_sub_u32_e32 v2, 29, v2
	v_cndmask_b32_e32 v2, v18, v2, vcc
	v_cndmask_b32_e32 v18, 0, v23, vcc
	v_lshlrev_b64 v[28:29], v18, v[34:35]
	v_lshlrev_b32_e32 v23, 24, v34
	v_lshlrev_b32_e32 v18, 20, v28
	v_and_b32_e32 v18, 0x700000, v18
	v_and_b32_e32 v23, 0x80000000, v23
	v_lshl_add_u32 v2, v2, 23, v58
	v_or3_b32 v18, v23, v2, v18
.LBB4_5688:                             ;   in Loop: Header=BB4_5324 Depth=2
	s_or_b64 exec, exec, s[90:91]
.LBB4_5689:                             ;   in Loop: Header=BB4_5324 Depth=2
	s_or_b64 exec, exec, s[88:89]
.LBB4_5690:                             ;   in Loop: Header=BB4_5324 Depth=2
	s_or_b64 exec, exec, s[20:21]
	s_waitcnt vmcnt(0)
	v_cmp_gt_i16_sdwa s[88:89], v10, s39 src0_sel:BYTE_0 src1_sel:DWORD
	s_mov_b64 s[20:21], 0
	s_and_saveexec_b64 s[90:91], s[88:89]
	s_xor_b64 s[88:89], exec, s[90:91]
	s_cbranch_execnz .LBB4_6092
; %bb.5691:                             ;   in Loop: Header=BB4_5324 Depth=2
	s_or_saveexec_b64 s[88:89], s[88:89]
	v_bfrev_b32_e32 v2, 1
	s_xor_b64 exec, exec, s[88:89]
	s_cbranch_execnz .LBB4_6095
.LBB4_5692:                             ;   in Loop: Header=BB4_5324 Depth=2
	s_or_b64 exec, exec, s[88:89]
	s_and_saveexec_b64 s[88:89], s[20:21]
	s_cbranch_execz .LBB4_5694
.LBB4_5693:                             ;   in Loop: Header=BB4_5324 Depth=2
	v_and_b32_e32 v2, 7, v10
	v_ffbh_u32_e32 v2, v2
	v_and_b32_e32 v23, 0x7f, v10
	v_min_u32_e32 v2, 32, v2
	v_bfe_u32 v28, v10, 3, 4
	v_subrev_u32_e32 v29, 28, v2
	v_sub_u32_e32 v2, 29, v2
	v_cmp_gt_u32_e32 vcc, 8, v23
	v_cndmask_b32_e32 v2, v28, v2, vcc
	v_cndmask_b32_e32 v28, 0, v29, vcc
	v_lshlrev_b64 v[28:29], v28, v[10:11]
	v_lshlrev_b32_e32 v29, 24, v10
	v_lshlrev_b32_e32 v28, 20, v28
	v_and_b32_e32 v28, 0x700000, v28
	v_and_b32_e32 v29, 0x80000000, v29
	v_lshl_add_u32 v2, v2, 23, v58
	v_or3_b32 v2, v29, v2, v28
	v_cmp_ne_u32_e32 vcc, s39, v23
	v_cndmask_b32_e32 v2, v42, v2, vcc
.LBB4_5694:                             ;   in Loop: Header=BB4_5324 Depth=2
	s_or_b64 exec, exec, s[88:89]
	v_add_f32_e32 v23, v18, v2
	v_and_b32_e32 v28, 0x7f800000, v23
	v_mov_b32_e32 v29, v35
	v_cmp_ne_u64_e32 vcc, s[46:47], v[28:29]
                                        ; implicit-def: $vgpr2
	s_and_saveexec_b64 s[20:21], vcc
	s_xor_b64 s[88:89], exec, s[20:21]
	s_cbranch_execz .LBB4_5708
; %bb.5695:                             ;   in Loop: Header=BB4_5324 Depth=2
	v_and_b32_e32 v28, 0x7fffffff, v23
	v_mov_b32_e32 v29, v35
	v_cmp_gt_u64_e32 vcc, s[56:57], v[28:29]
	v_and_b32_sdwa v18, v23, s50 dst_sel:DWORD dst_unused:UNUSED_PAD src0_sel:BYTE_3 src1_sel:DWORD
                                        ; implicit-def: $vgpr2
	s_and_saveexec_b64 s[20:21], vcc
	s_xor_b64 s[90:91], exec, s[20:21]
	s_cbranch_execz .LBB4_5705
; %bb.5696:                             ;   in Loop: Header=BB4_5324 Depth=2
	v_mov_b32_e32 v2, 0
	v_cmp_ne_u32_e32 vcc, 0, v23
	s_and_saveexec_b64 s[92:93], vcc
	s_cbranch_execz .LBB4_5704
; %bb.5697:                             ;   in Loop: Header=BB4_5324 Depth=2
	v_bfe_u32 v2, v23, 23, 8
	v_and_b32_e32 v28, 0x7fffff, v23
	v_cmp_gt_u32_e64 s[20:21], s51, v2
	v_sub_u32_e32 v23, 0x79, v2
	v_cmp_eq_u32_e32 vcc, 0, v2
	v_cndmask_b32_e64 v23, 0, v23, s[20:21]
	v_cndmask_b32_e32 v23, v23, v59, vcc
	v_add_u32_e32 v30, 20, v23
	v_or_b32_e32 v29, 0x800000, v28
	v_lshlrev_b64 v[32:33], v30, -1
	v_add_u32_e32 v30, 19, v23
	v_cndmask_b32_e32 v28, v29, v28, vcc
	v_mov_b32_e32 v29, v35
	v_lshlrev_b64 v[48:49], v30, 1
	v_bfi_b32 v33, v33, 0, 0
	v_bfi_b32 v32, v32, 0, v28
	v_lshrrev_b64 v[54:55], v23, v[28:29]
	v_cmp_eq_u64_e64 s[20:21], v[32:33], v[48:49]
	v_mov_b32_e32 v39, v54
	v_mov_b32_e32 v40, v55
	s_and_saveexec_b64 s[94:95], s[20:21]
; %bb.5698:                             ;   in Loop: Header=BB4_5324 Depth=2
	v_bfe_u32 v28, v54, 20, 1
	v_add_co_u32_e64 v28, s[20:21], v54, v28
	v_add_co_u32_e64 v39, s[20:21], -1, v28
; %bb.5699:                             ;   in Loop: Header=BB4_5324 Depth=2
	s_or_b64 exec, exec, s[94:95]
	v_add_u32_e32 v2, 0xffffff81, v2
	v_cndmask_b32_e32 v2, v2, v60, vcc
	v_lshrrev_b32_e32 v28, 23, v54
	v_add3_u32 v28, v23, v2, v28
	v_add_u32_e32 v23, 6, v28
	v_and_b32_e32 v2, 0xfffff, v39
	v_add_u32_e32 v54, v2, v54
	v_mov_b32_e32 v55, v35
	v_cmp_ne_u32_e32 vcc, 0, v23
                                        ; implicit-def: $vgpr2
	s_and_saveexec_b64 s[20:21], vcc
	s_xor_b64 s[20:21], exec, s[20:21]
; %bb.5700:                             ;   in Loop: Header=BB4_5324 Depth=2
	v_cmp_lt_u64_e32 vcc, s[58:59], v[54:55]
	v_add_u32_e32 v2, 7, v28
	v_cndmask_b32_e32 v2, v23, v2, vcc
	v_cndmask_b32_e64 v23, 0, 1, vcc
	v_lshrrev_b64 v[54:55], v23, v[54:55]
; %bb.5701:                             ;   in Loop: Header=BB4_5324 Depth=2
	s_andn2_saveexec_b64 s[20:21], s[20:21]
; %bb.5702:                             ;   in Loop: Header=BB4_5324 Depth=2
	v_bfe_u32 v2, v54, 23, 1
; %bb.5703:                             ;   in Loop: Header=BB4_5324 Depth=2
	s_or_b64 exec, exec, s[20:21]
	v_lshrrev_b64 v[28:29], 20, v[54:55]
	v_cmp_gt_i32_e32 vcc, 16, v2
	v_cndmask_b32_e32 v29, 0, v29, vcc
	v_cndmask_b32_e32 v28, 7, v28, vcc
	v_cmp_eq_u32_e32 vcc, 0, v2
	v_min_i32_e32 v2, 15, v2
	v_cmp_eq_u64_e64 s[20:21], 0, v[28:29]
	v_lshlrev_b32_e32 v2, 3, v2
	v_and_b32_e32 v2, 0xf8, v2
	v_and_or_b32 v2, v28, 7, v2
	s_and_b64 s[20:21], vcc, s[20:21]
	v_cndmask_b32_e64 v2, v2, 0, s[20:21]
	v_or_b32_e32 v2, v2, v18
.LBB4_5704:                             ;   in Loop: Header=BB4_5324 Depth=2
	s_or_b64 exec, exec, s[92:93]
                                        ; implicit-def: $vgpr18
.LBB4_5705:                             ;   in Loop: Header=BB4_5324 Depth=2
	s_andn2_saveexec_b64 s[20:21], s[90:91]
; %bb.5706:                             ;   in Loop: Header=BB4_5324 Depth=2
	v_or_b32_e32 v2, 0x7e, v18
; %bb.5707:                             ;   in Loop: Header=BB4_5324 Depth=2
	s_or_b64 exec, exec, s[20:21]
                                        ; implicit-def: $vgpr23
.LBB4_5708:                             ;   in Loop: Header=BB4_5324 Depth=2
	s_andn2_saveexec_b64 s[20:21], s[88:89]
; %bb.5709:                             ;   in Loop: Header=BB4_5324 Depth=2
	v_or_b32_sdwa v2, v23, s39 dst_sel:DWORD dst_unused:UNUSED_PAD src0_sel:BYTE_3 src1_sel:DWORD
; %bb.5710:                             ;   in Loop: Header=BB4_5324 Depth=2
	s_or_b64 exec, exec, s[20:21]
	v_lshrrev_b16_e32 v30, 8, v7
	v_cmp_ne_u16_e32 vcc, 0, v30
	v_mov_b32_e32 v18, 0
	s_and_saveexec_b64 s[20:21], vcc
	s_cbranch_execz .LBB4_5716
; %bb.5711:                             ;   in Loop: Header=BB4_5324 Depth=2
	v_cmp_ne_u16_e32 vcc, s50, v30
	v_bfrev_b32_e32 v18, 1
	s_and_saveexec_b64 s[88:89], vcc
	s_cbranch_execz .LBB4_5715
; %bb.5712:                             ;   in Loop: Header=BB4_5324 Depth=2
	v_and_b32_e32 v23, 0x7f, v30
	v_cmp_ne_u32_e32 vcc, s39, v23
	v_mov_b32_e32 v18, 0x7f800001
	s_and_saveexec_b64 s[90:91], vcc
	s_cbranch_execz .LBB4_5714
; %bb.5713:                             ;   in Loop: Header=BB4_5324 Depth=2
	v_and_b32_e32 v18, 7, v30
	v_lshrrev_b32_e32 v32, 3, v23
	v_cmp_gt_u32_e32 vcc, 8, v23
	v_ffbh_u32_e32 v23, v18
	v_min_u32_e32 v23, 32, v23
	v_subrev_u32_e32 v28, 28, v23
	v_lshlrev_b64 v[28:29], v28, v[30:31]
	v_sub_u32_e32 v23, 29, v23
	v_and_b32_e32 v28, 7, v28
	v_cndmask_b32_e32 v23, v32, v23, vcc
	v_cndmask_b32_e32 v18, v18, v28, vcc
	v_lshlrev_b32_e32 v7, 16, v7
	v_lshlrev_b32_e32 v18, 20, v18
	v_and_b32_e32 v7, 0x80000000, v7
	v_lshl_add_u32 v23, v23, 23, v58
	v_or3_b32 v18, v7, v23, v18
.LBB4_5714:                             ;   in Loop: Header=BB4_5324 Depth=2
	s_or_b64 exec, exec, s[90:91]
.LBB4_5715:                             ;   in Loop: Header=BB4_5324 Depth=2
	s_or_b64 exec, exec, s[88:89]
.LBB4_5716:                             ;   in Loop: Header=BB4_5324 Depth=2
	s_or_b64 exec, exec, s[20:21]
	v_lshrrev_b16_e32 v54, 8, v10
	v_cmp_lt_i16_e32 vcc, s39, v54
	s_mov_b64 s[20:21], 0
	s_and_saveexec_b64 s[88:89], vcc
	s_xor_b64 s[88:89], exec, s[88:89]
	s_cbranch_execnz .LBB4_6096
; %bb.5717:                             ;   in Loop: Header=BB4_5324 Depth=2
	s_or_saveexec_b64 s[88:89], s[88:89]
	v_bfrev_b32_e32 v7, 1
	s_xor_b64 exec, exec, s[88:89]
	s_cbranch_execnz .LBB4_6099
.LBB4_5718:                             ;   in Loop: Header=BB4_5324 Depth=2
	s_or_b64 exec, exec, s[88:89]
	s_and_saveexec_b64 s[88:89], s[20:21]
	s_cbranch_execz .LBB4_5720
.LBB4_5719:                             ;   in Loop: Header=BB4_5324 Depth=2
	v_and_b32_e32 v7, 7, v54
	v_ffbh_u32_e32 v28, v7
	v_min_u32_e32 v32, 32, v28
	v_mov_b32_e32 v55, v35
	v_subrev_u32_e32 v28, 28, v32
	v_lshlrev_b64 v[28:29], v28, v[54:55]
	v_and_b32_e32 v23, 0x7f, v54
	v_bfe_u32 v30, v54, 3, 4
	v_sub_u32_e32 v29, 29, v32
	v_and_b32_e32 v28, 7, v28
	v_cmp_gt_u32_e32 vcc, 8, v23
	v_cndmask_b32_e32 v29, v30, v29, vcc
	v_cndmask_b32_e32 v7, v7, v28, vcc
	v_lshlrev_b32_e32 v28, 24, v54
	v_lshlrev_b32_e32 v7, 20, v7
	v_and_b32_e32 v28, 0x80000000, v28
	v_lshl_add_u32 v29, v29, 23, v58
	v_or3_b32 v7, v28, v29, v7
	v_cmp_ne_u32_e32 vcc, s39, v23
	v_cndmask_b32_e32 v7, v42, v7, vcc
.LBB4_5720:                             ;   in Loop: Header=BB4_5324 Depth=2
	s_or_b64 exec, exec, s[88:89]
	v_add_f32_e32 v23, v18, v7
	v_and_b32_e32 v28, 0x7f800000, v23
	v_mov_b32_e32 v29, v35
	v_cmp_ne_u64_e32 vcc, s[46:47], v[28:29]
                                        ; implicit-def: $vgpr7
	s_and_saveexec_b64 s[20:21], vcc
	s_xor_b64 s[88:89], exec, s[20:21]
	s_cbranch_execz .LBB4_5734
; %bb.5721:                             ;   in Loop: Header=BB4_5324 Depth=2
	v_and_b32_e32 v28, 0x7fffffff, v23
	v_mov_b32_e32 v29, v35
	v_cmp_gt_u64_e32 vcc, s[56:57], v[28:29]
	v_and_b32_sdwa v18, v23, s50 dst_sel:DWORD dst_unused:UNUSED_PAD src0_sel:BYTE_3 src1_sel:DWORD
                                        ; implicit-def: $vgpr7
	s_and_saveexec_b64 s[20:21], vcc
	s_xor_b64 s[90:91], exec, s[20:21]
	s_cbranch_execz .LBB4_5731
; %bb.5722:                             ;   in Loop: Header=BB4_5324 Depth=2
	v_mov_b32_e32 v7, 0
	v_cmp_ne_u32_e32 vcc, 0, v23
	s_and_saveexec_b64 s[92:93], vcc
	s_cbranch_execz .LBB4_5730
; %bb.5723:                             ;   in Loop: Header=BB4_5324 Depth=2
	v_bfe_u32 v7, v23, 23, 8
	v_and_b32_e32 v28, 0x7fffff, v23
	v_cmp_gt_u32_e64 s[20:21], s51, v7
	v_sub_u32_e32 v23, 0x79, v7
	v_cmp_eq_u32_e32 vcc, 0, v7
	v_cndmask_b32_e64 v23, 0, v23, s[20:21]
	v_cndmask_b32_e32 v23, v23, v59, vcc
	v_add_u32_e32 v30, 20, v23
	v_or_b32_e32 v29, 0x800000, v28
	v_lshlrev_b64 v[32:33], v30, -1
	v_add_u32_e32 v30, 19, v23
	v_cndmask_b32_e32 v28, v29, v28, vcc
	v_mov_b32_e32 v29, v35
	v_lshlrev_b64 v[48:49], v30, 1
	v_bfi_b32 v33, v33, 0, 0
	v_bfi_b32 v32, v32, 0, v28
	v_lshrrev_b64 v[54:55], v23, v[28:29]
	v_cmp_eq_u64_e64 s[20:21], v[32:33], v[48:49]
	v_mov_b32_e32 v39, v54
	v_mov_b32_e32 v40, v55
	s_and_saveexec_b64 s[94:95], s[20:21]
; %bb.5724:                             ;   in Loop: Header=BB4_5324 Depth=2
	v_bfe_u32 v28, v54, 20, 1
	v_add_co_u32_e64 v28, s[20:21], v54, v28
	v_add_co_u32_e64 v39, s[20:21], -1, v28
; %bb.5725:                             ;   in Loop: Header=BB4_5324 Depth=2
	s_or_b64 exec, exec, s[94:95]
	v_add_u32_e32 v7, 0xffffff81, v7
	v_cndmask_b32_e32 v7, v7, v60, vcc
	v_lshrrev_b32_e32 v28, 23, v54
	v_add3_u32 v28, v23, v7, v28
	v_add_u32_e32 v23, 6, v28
	v_and_b32_e32 v7, 0xfffff, v39
	v_add_u32_e32 v54, v7, v54
	v_mov_b32_e32 v55, v35
	v_cmp_ne_u32_e32 vcc, 0, v23
                                        ; implicit-def: $vgpr7
	s_and_saveexec_b64 s[20:21], vcc
	s_xor_b64 s[20:21], exec, s[20:21]
; %bb.5726:                             ;   in Loop: Header=BB4_5324 Depth=2
	v_cmp_lt_u64_e32 vcc, s[58:59], v[54:55]
	v_add_u32_e32 v7, 7, v28
	v_cndmask_b32_e32 v7, v23, v7, vcc
	v_cndmask_b32_e64 v23, 0, 1, vcc
	v_lshrrev_b64 v[54:55], v23, v[54:55]
; %bb.5727:                             ;   in Loop: Header=BB4_5324 Depth=2
	s_andn2_saveexec_b64 s[20:21], s[20:21]
; %bb.5728:                             ;   in Loop: Header=BB4_5324 Depth=2
	v_bfe_u32 v7, v54, 23, 1
; %bb.5729:                             ;   in Loop: Header=BB4_5324 Depth=2
	s_or_b64 exec, exec, s[20:21]
	v_lshrrev_b64 v[28:29], 20, v[54:55]
	v_cmp_gt_i32_e32 vcc, 16, v7
	v_cndmask_b32_e32 v29, 0, v29, vcc
	v_cndmask_b32_e32 v28, 7, v28, vcc
	v_cmp_eq_u32_e32 vcc, 0, v7
	v_min_i32_e32 v7, 15, v7
	v_cmp_eq_u64_e64 s[20:21], 0, v[28:29]
	v_lshlrev_b32_e32 v7, 3, v7
	v_and_b32_e32 v7, 0xf8, v7
	v_and_or_b32 v7, v28, 7, v7
	s_and_b64 s[20:21], vcc, s[20:21]
	v_cndmask_b32_e64 v7, v7, 0, s[20:21]
	v_or_b32_e32 v7, v7, v18
.LBB4_5730:                             ;   in Loop: Header=BB4_5324 Depth=2
	s_or_b64 exec, exec, s[92:93]
                                        ; implicit-def: $vgpr18
.LBB4_5731:                             ;   in Loop: Header=BB4_5324 Depth=2
	s_andn2_saveexec_b64 s[20:21], s[90:91]
; %bb.5732:                             ;   in Loop: Header=BB4_5324 Depth=2
	v_or_b32_e32 v7, 0x7e, v18
; %bb.5733:                             ;   in Loop: Header=BB4_5324 Depth=2
	s_or_b64 exec, exec, s[20:21]
                                        ; implicit-def: $vgpr23
.LBB4_5734:                             ;   in Loop: Header=BB4_5324 Depth=2
	s_andn2_saveexec_b64 s[20:21], s[88:89]
; %bb.5735:                             ;   in Loop: Header=BB4_5324 Depth=2
	v_or_b32_sdwa v7, v23, s39 dst_sel:DWORD dst_unused:UNUSED_PAD src0_sel:BYTE_3 src1_sel:DWORD
; %bb.5736:                             ;   in Loop: Header=BB4_5324 Depth=2
	s_or_b64 exec, exec, s[20:21]
	v_and_b32_sdwa v23, v34, s49 dst_sel:DWORD dst_unused:UNUSED_PAD src0_sel:WORD_1 src1_sel:DWORD
	v_lshrrev_b32_e32 v30, 16, v34
	v_cmp_ne_u16_e32 vcc, 0, v23
	v_mov_b32_e32 v18, 0
	s_and_saveexec_b64 s[20:21], vcc
	s_cbranch_execz .LBB4_5742
; %bb.5737:                             ;   in Loop: Header=BB4_5324 Depth=2
	v_cmp_ne_u16_e32 vcc, s50, v23
	v_bfrev_b32_e32 v18, 1
	s_and_saveexec_b64 s[88:89], vcc
	s_cbranch_execz .LBB4_5741
; %bb.5738:                             ;   in Loop: Header=BB4_5324 Depth=2
	v_bfe_u32 v23, v34, 16, 7
	v_cmp_ne_u32_e32 vcc, s39, v23
	v_mov_b32_e32 v18, 0x7f800001
	s_and_saveexec_b64 s[90:91], vcc
	s_cbranch_execz .LBB4_5740
; %bb.5739:                             ;   in Loop: Header=BB4_5324 Depth=2
	v_and_b32_e32 v18, 7, v30
	v_lshrrev_b32_e32 v32, 3, v23
	v_cmp_gt_u32_e32 vcc, 8, v23
	v_ffbh_u32_e32 v23, v18
	v_min_u32_e32 v23, 32, v23
	v_subrev_u32_e32 v28, 28, v23
	v_lshlrev_b64 v[28:29], v28, v[30:31]
	v_sub_u32_e32 v23, 29, v23
	v_and_b32_e32 v28, 7, v28
	v_cndmask_b32_e32 v18, v18, v28, vcc
	v_mov_b32_e32 v28, 24
	v_cndmask_b32_e32 v23, v32, v23, vcc
	v_lshlrev_b32_sdwa v28, v28, v34 dst_sel:DWORD dst_unused:UNUSED_PAD src0_sel:DWORD src1_sel:WORD_1
	v_lshlrev_b32_e32 v18, 20, v18
	v_and_b32_e32 v28, 0x80000000, v28
	v_lshl_add_u32 v23, v23, 23, v58
	v_or3_b32 v18, v28, v23, v18
.LBB4_5740:                             ;   in Loop: Header=BB4_5324 Depth=2
	s_or_b64 exec, exec, s[90:91]
.LBB4_5741:                             ;   in Loop: Header=BB4_5324 Depth=2
	s_or_b64 exec, exec, s[88:89]
.LBB4_5742:                             ;   in Loop: Header=BB4_5324 Depth=2
	s_or_b64 exec, exec, s[20:21]
	v_lshrrev_b32_e32 v30, 16, v10
	v_cmp_gt_i16_sdwa s[88:89], v30, s39 src0_sel:BYTE_0 src1_sel:DWORD
	s_mov_b64 s[20:21], 0
	s_and_saveexec_b64 s[90:91], s[88:89]
	s_xor_b64 s[88:89], exec, s[90:91]
	s_cbranch_execnz .LBB4_6100
; %bb.5743:                             ;   in Loop: Header=BB4_5324 Depth=2
	s_or_saveexec_b64 s[88:89], s[88:89]
	v_bfrev_b32_e32 v23, 1
	s_xor_b64 exec, exec, s[88:89]
	s_cbranch_execnz .LBB4_6103
.LBB4_5744:                             ;   in Loop: Header=BB4_5324 Depth=2
	s_or_b64 exec, exec, s[88:89]
	s_and_saveexec_b64 s[88:89], s[20:21]
	s_cbranch_execz .LBB4_5746
.LBB4_5745:                             ;   in Loop: Header=BB4_5324 Depth=2
	v_and_b32_e32 v23, 7, v30
	v_ffbh_u32_e32 v28, v23
	v_min_u32_e32 v39, 32, v28
	v_subrev_u32_e32 v28, 28, v39
	v_lshlrev_b64 v[28:29], v28, v[30:31]
	v_and_b32_e32 v32, 0x7f, v30
	v_bfe_u32 v33, v30, 3, 4
	v_sub_u32_e32 v29, 29, v39
	v_and_b32_e32 v28, 7, v28
	v_cmp_gt_u32_e32 vcc, 8, v32
	v_cndmask_b32_e32 v29, v33, v29, vcc
	v_cndmask_b32_e32 v23, v23, v28, vcc
	v_lshlrev_b32_e32 v28, 24, v30
	v_lshlrev_b32_e32 v23, 20, v23
	v_and_b32_e32 v28, 0x80000000, v28
	v_lshl_add_u32 v29, v29, 23, v58
	v_or3_b32 v23, v28, v29, v23
	v_cmp_ne_u32_e32 vcc, s39, v32
	v_cndmask_b32_e32 v23, v42, v23, vcc
.LBB4_5746:                             ;   in Loop: Header=BB4_5324 Depth=2
	s_or_b64 exec, exec, s[88:89]
	v_add_f32_e32 v28, v18, v23
	v_and_b32_e32 v29, 0x7f800000, v28
	v_mov_b32_e32 v30, v35
	v_cmp_ne_u64_e32 vcc, s[46:47], v[29:30]
                                        ; implicit-def: $vgpr18
	s_and_saveexec_b64 s[20:21], vcc
	s_xor_b64 s[88:89], exec, s[20:21]
	s_cbranch_execz .LBB4_5760
; %bb.5747:                             ;   in Loop: Header=BB4_5324 Depth=2
	v_and_b32_e32 v29, 0x7fffffff, v28
	v_mov_b32_e32 v30, v35
	v_cmp_gt_u64_e32 vcc, s[56:57], v[29:30]
	v_and_b32_sdwa v23, v28, s50 dst_sel:DWORD dst_unused:UNUSED_PAD src0_sel:BYTE_3 src1_sel:DWORD
                                        ; implicit-def: $vgpr18
	s_and_saveexec_b64 s[20:21], vcc
	s_xor_b64 s[90:91], exec, s[20:21]
	s_cbranch_execz .LBB4_5757
; %bb.5748:                             ;   in Loop: Header=BB4_5324 Depth=2
	v_mov_b32_e32 v18, 0
	v_cmp_ne_u32_e32 vcc, 0, v28
	s_and_saveexec_b64 s[92:93], vcc
	s_cbranch_execz .LBB4_5756
; %bb.5749:                             ;   in Loop: Header=BB4_5324 Depth=2
	v_bfe_u32 v18, v28, 23, 8
	v_and_b32_e32 v29, 0x7fffff, v28
	v_cmp_gt_u32_e64 s[20:21], s51, v18
	v_sub_u32_e32 v28, 0x79, v18
	v_cmp_eq_u32_e32 vcc, 0, v18
	v_cndmask_b32_e64 v28, 0, v28, s[20:21]
	v_cndmask_b32_e32 v28, v28, v59, vcc
	v_add_u32_e32 v32, 20, v28
	v_or_b32_e32 v30, 0x800000, v29
	v_lshlrev_b64 v[32:33], v32, -1
	v_add_u32_e32 v39, 19, v28
	v_cndmask_b32_e32 v29, v30, v29, vcc
	v_mov_b32_e32 v30, v35
	v_lshlrev_b64 v[48:49], v39, 1
	v_bfi_b32 v33, v33, 0, 0
	v_bfi_b32 v32, v32, 0, v29
	v_lshrrev_b64 v[54:55], v28, v[29:30]
	v_cmp_eq_u64_e64 s[20:21], v[32:33], v[48:49]
	v_mov_b32_e32 v39, v54
	v_mov_b32_e32 v40, v55
	s_and_saveexec_b64 s[94:95], s[20:21]
; %bb.5750:                             ;   in Loop: Header=BB4_5324 Depth=2
	v_bfe_u32 v29, v54, 20, 1
	v_add_co_u32_e64 v29, s[20:21], v54, v29
	v_add_co_u32_e64 v39, s[20:21], -1, v29
; %bb.5751:                             ;   in Loop: Header=BB4_5324 Depth=2
	s_or_b64 exec, exec, s[94:95]
	v_add_u32_e32 v18, 0xffffff81, v18
	v_cndmask_b32_e32 v18, v18, v60, vcc
	v_lshrrev_b32_e32 v29, 23, v54
	v_add3_u32 v29, v28, v18, v29
	v_add_u32_e32 v28, 6, v29
	v_and_b32_e32 v18, 0xfffff, v39
	v_add_u32_e32 v54, v18, v54
	v_mov_b32_e32 v55, v35
	v_cmp_ne_u32_e32 vcc, 0, v28
                                        ; implicit-def: $vgpr18
	s_and_saveexec_b64 s[20:21], vcc
	s_xor_b64 s[20:21], exec, s[20:21]
; %bb.5752:                             ;   in Loop: Header=BB4_5324 Depth=2
	v_cmp_lt_u64_e32 vcc, s[58:59], v[54:55]
	v_add_u32_e32 v18, 7, v29
	v_cndmask_b32_e32 v18, v28, v18, vcc
	v_cndmask_b32_e64 v28, 0, 1, vcc
	v_lshrrev_b64 v[54:55], v28, v[54:55]
; %bb.5753:                             ;   in Loop: Header=BB4_5324 Depth=2
	s_andn2_saveexec_b64 s[20:21], s[20:21]
; %bb.5754:                             ;   in Loop: Header=BB4_5324 Depth=2
	v_bfe_u32 v18, v54, 23, 1
; %bb.5755:                             ;   in Loop: Header=BB4_5324 Depth=2
	s_or_b64 exec, exec, s[20:21]
	v_lshrrev_b64 v[28:29], 20, v[54:55]
	v_cmp_gt_i32_e32 vcc, 16, v18
	v_cndmask_b32_e32 v29, 0, v29, vcc
	v_cndmask_b32_e32 v28, 7, v28, vcc
	v_cmp_eq_u32_e32 vcc, 0, v18
	v_min_i32_e32 v18, 15, v18
	v_cmp_eq_u64_e64 s[20:21], 0, v[28:29]
	v_lshlrev_b32_e32 v18, 3, v18
	v_and_b32_e32 v18, 0xf8, v18
	v_and_or_b32 v18, v28, 7, v18
	s_and_b64 s[20:21], vcc, s[20:21]
	v_cndmask_b32_e64 v18, v18, 0, s[20:21]
	v_or_b32_e32 v18, v18, v23
.LBB4_5756:                             ;   in Loop: Header=BB4_5324 Depth=2
	s_or_b64 exec, exec, s[92:93]
                                        ; implicit-def: $vgpr23
.LBB4_5757:                             ;   in Loop: Header=BB4_5324 Depth=2
	s_andn2_saveexec_b64 s[20:21], s[90:91]
; %bb.5758:                             ;   in Loop: Header=BB4_5324 Depth=2
	v_or_b32_e32 v18, 0x7e, v23
; %bb.5759:                             ;   in Loop: Header=BB4_5324 Depth=2
	s_or_b64 exec, exec, s[20:21]
                                        ; implicit-def: $vgpr28
.LBB4_5760:                             ;   in Loop: Header=BB4_5324 Depth=2
	s_andn2_saveexec_b64 s[20:21], s[88:89]
; %bb.5761:                             ;   in Loop: Header=BB4_5324 Depth=2
	v_or_b32_sdwa v18, v28, s39 dst_sel:DWORD dst_unused:UNUSED_PAD src0_sel:BYTE_3 src1_sel:DWORD
; %bb.5762:                             ;   in Loop: Header=BB4_5324 Depth=2
	s_or_b64 exec, exec, s[20:21]
	v_cmp_lt_u32_e32 vcc, s61, v34
	v_mov_b32_e32 v23, 0
	s_and_saveexec_b64 s[20:21], vcc
	s_cbranch_execz .LBB4_5768
; %bb.5763:                             ;   in Loop: Header=BB4_5324 Depth=2
	v_lshrrev_b32_e32 v30, 24, v34
	v_cmp_ne_u32_e32 vcc, s50, v30
	v_bfrev_b32_e32 v23, 1
	s_and_saveexec_b64 s[88:89], vcc
	s_cbranch_execz .LBB4_5767
; %bb.5764:                             ;   in Loop: Header=BB4_5324 Depth=2
	v_bfe_u32 v28, v34, 24, 7
	v_cmp_ne_u32_e32 vcc, s39, v28
	v_mov_b32_e32 v23, 0x7f800001
	s_and_saveexec_b64 s[90:91], vcc
	s_cbranch_execz .LBB4_5766
; %bb.5765:                             ;   in Loop: Header=BB4_5324 Depth=2
	v_and_b32_e32 v23, 7, v30
	v_lshrrev_b32_e32 v32, 3, v28
	v_cmp_gt_u32_e32 vcc, 8, v28
	v_ffbh_u32_e32 v28, v23
	v_min_u32_e32 v33, 32, v28
	v_subrev_u32_e32 v28, 28, v33
	v_lshlrev_b64 v[28:29], v28, v[30:31]
	v_sub_u32_e32 v29, 29, v33
	v_and_b32_e32 v28, 7, v28
	v_cndmask_b32_e32 v29, v32, v29, vcc
	v_cndmask_b32_e32 v23, v23, v28, vcc
	v_lshlrev_b32_e32 v28, 24, v30
	v_lshlrev_b32_e32 v23, 20, v23
	v_and_b32_e32 v28, 0x80000000, v28
	v_lshl_add_u32 v29, v29, 23, v58
	v_or3_b32 v23, v28, v29, v23
.LBB4_5766:                             ;   in Loop: Header=BB4_5324 Depth=2
	s_or_b64 exec, exec, s[90:91]
.LBB4_5767:                             ;   in Loop: Header=BB4_5324 Depth=2
	s_or_b64 exec, exec, s[88:89]
.LBB4_5768:                             ;   in Loop: Header=BB4_5324 Depth=2
	s_or_b64 exec, exec, s[20:21]
	v_bfe_u32 v32, v10, 24, 3
	v_ffbh_u32_e32 v29, v32
	v_min_u32_e32 v39, 32, v29
	v_lshrrev_b32_e32 v28, 24, v10
	v_subrev_u32_e32 v29, 28, v39
	v_lshlrev_b64 v[29:30], v29, v[28:29]
	v_bfe_u32 v33, v10, 24, 7
	v_bfe_u32 v34, v28, 3, 4
	v_sub_u32_e32 v30, 29, v39
	v_and_b32_e32 v29, 7, v29
	v_cmp_gt_u32_e32 vcc, 8, v33
	v_cndmask_b32_e32 v30, v34, v30, vcc
	v_cndmask_b32_e32 v29, v32, v29, vcc
	v_lshlrev_b32_e32 v29, 20, v29
	v_and_b32_e32 v32, 0x80000000, v10
	v_lshl_add_u32 v30, v30, 23, v58
	v_or3_b32 v29, v32, v30, v29
	v_cmp_ne_u32_e32 vcc, s39, v33
	v_cndmask_b32_e32 v29, v42, v29, vcc
	v_cmp_ne_u32_e32 vcc, s50, v28
	v_cndmask_b32_e32 v28, v43, v29, vcc
	v_cmp_lt_u32_e32 vcc, s61, v10
	v_cndmask_b32_e32 v28, 0, v28, vcc
	v_add_f32_e32 v29, v28, v23
	v_and_b32_e32 v34, 0x7f800000, v29
	v_cmp_ne_u64_e32 vcc, s[46:47], v[34:35]
                                        ; implicit-def: $vgpr23
	s_and_saveexec_b64 s[20:21], vcc
	s_xor_b64 s[88:89], exec, s[20:21]
	s_cbranch_execz .LBB4_5782
; %bb.5769:                             ;   in Loop: Header=BB4_5324 Depth=2
	v_and_b32_e32 v34, 0x7fffffff, v29
	v_cmp_gt_u64_e32 vcc, s[56:57], v[34:35]
	v_and_b32_sdwa v28, v29, s50 dst_sel:DWORD dst_unused:UNUSED_PAD src0_sel:BYTE_3 src1_sel:DWORD
                                        ; implicit-def: $vgpr23
	s_and_saveexec_b64 s[20:21], vcc
	s_xor_b64 s[90:91], exec, s[20:21]
	s_cbranch_execz .LBB4_5779
; %bb.5770:                             ;   in Loop: Header=BB4_5324 Depth=2
	v_mov_b32_e32 v23, 0
	v_cmp_ne_u32_e32 vcc, 0, v29
	s_and_saveexec_b64 s[92:93], vcc
	s_cbranch_execz .LBB4_5778
; %bb.5771:                             ;   in Loop: Header=BB4_5324 Depth=2
	v_bfe_u32 v23, v29, 23, 8
	v_and_b32_e32 v30, 0x7fffff, v29
	v_cmp_gt_u32_e64 s[20:21], s51, v23
	v_sub_u32_e32 v29, 0x79, v23
	v_cmp_eq_u32_e32 vcc, 0, v23
	v_cndmask_b32_e64 v29, 0, v29, s[20:21]
	v_or_b32_e32 v32, 0x800000, v30
	v_cndmask_b32_e32 v29, v29, v59, vcc
	v_cndmask_b32_e32 v34, v32, v30, vcc
	v_add_u32_e32 v30, 20, v29
	v_lshlrev_b64 v[32:33], v30, -1
	v_add_u32_e32 v30, 19, v29
	v_lshlrev_b64 v[48:49], v30, 1
	v_bfi_b32 v33, v33, 0, 0
	v_bfi_b32 v32, v32, 0, v34
	v_lshrrev_b64 v[54:55], v29, v[34:35]
	v_cmp_eq_u64_e64 s[20:21], v[32:33], v[48:49]
	v_mov_b32_e32 v39, v54
	v_mov_b32_e32 v40, v55
	s_and_saveexec_b64 s[94:95], s[20:21]
; %bb.5772:                             ;   in Loop: Header=BB4_5324 Depth=2
	v_bfe_u32 v30, v54, 20, 1
	v_add_co_u32_e64 v30, s[20:21], v54, v30
	v_add_co_u32_e64 v39, s[20:21], -1, v30
; %bb.5773:                             ;   in Loop: Header=BB4_5324 Depth=2
	s_or_b64 exec, exec, s[94:95]
	v_add_u32_e32 v23, 0xffffff81, v23
	v_cndmask_b32_e32 v23, v23, v60, vcc
	v_lshrrev_b32_e32 v30, 23, v54
	v_add3_u32 v30, v29, v23, v30
	v_add_u32_e32 v29, 6, v30
	v_and_b32_e32 v23, 0xfffff, v39
	v_add_u32_e32 v34, v23, v54
	v_cmp_ne_u32_e32 vcc, 0, v29
                                        ; implicit-def: $vgpr54_vgpr55
                                        ; implicit-def: $vgpr23
	s_and_saveexec_b64 s[20:21], vcc
	s_xor_b64 s[20:21], exec, s[20:21]
; %bb.5774:                             ;   in Loop: Header=BB4_5324 Depth=2
	v_cmp_lt_u64_e32 vcc, s[58:59], v[34:35]
	v_add_u32_e32 v23, 7, v30
	v_cndmask_b32_e32 v23, v29, v23, vcc
	v_cndmask_b32_e64 v29, 0, 1, vcc
	v_lshrrev_b64 v[54:55], v29, v[34:35]
; %bb.5775:                             ;   in Loop: Header=BB4_5324 Depth=2
	s_andn2_saveexec_b64 s[20:21], s[20:21]
; %bb.5776:                             ;   in Loop: Header=BB4_5324 Depth=2
	v_mov_b32_e32 v55, v35
	v_bfe_u32 v23, v34, 23, 1
	v_mov_b32_e32 v54, v34
; %bb.5777:                             ;   in Loop: Header=BB4_5324 Depth=2
	s_or_b64 exec, exec, s[20:21]
	v_lshrrev_b64 v[29:30], 20, v[54:55]
	v_cmp_gt_i32_e32 vcc, 16, v23
	v_cndmask_b32_e32 v30, 0, v30, vcc
	v_cndmask_b32_e32 v29, 7, v29, vcc
	v_cmp_eq_u32_e32 vcc, 0, v23
	v_min_i32_e32 v23, 15, v23
	v_cmp_eq_u64_e64 s[20:21], 0, v[29:30]
	v_lshlrev_b32_e32 v23, 3, v23
	v_and_b32_e32 v23, 0xf8, v23
	v_and_or_b32 v23, v29, 7, v23
	s_and_b64 s[20:21], vcc, s[20:21]
	v_cndmask_b32_e64 v23, v23, 0, s[20:21]
	v_or_b32_e32 v23, v23, v28
.LBB4_5778:                             ;   in Loop: Header=BB4_5324 Depth=2
	s_or_b64 exec, exec, s[92:93]
                                        ; implicit-def: $vgpr28
.LBB4_5779:                             ;   in Loop: Header=BB4_5324 Depth=2
	s_andn2_saveexec_b64 s[20:21], s[90:91]
; %bb.5780:                             ;   in Loop: Header=BB4_5324 Depth=2
	v_or_b32_e32 v23, 0x7e, v28
; %bb.5781:                             ;   in Loop: Header=BB4_5324 Depth=2
	s_or_b64 exec, exec, s[20:21]
                                        ; implicit-def: $vgpr29
.LBB4_5782:                             ;   in Loop: Header=BB4_5324 Depth=2
	s_andn2_saveexec_b64 s[20:21], s[88:89]
; %bb.5783:                             ;   in Loop: Header=BB4_5324 Depth=2
	v_or_b32_sdwa v23, v29, s39 dst_sel:DWORD dst_unused:UNUSED_PAD src0_sel:BYTE_3 src1_sel:DWORD
; %bb.5784:                             ;   in Loop: Header=BB4_5324 Depth=2
	s_or_b64 exec, exec, s[20:21]
	v_lshl_or_b32 v25, v25, 8, v20
	v_lshlrev_b32_e32 v27, 16, v27
	v_lshlrev_b32_e32 v28, 24, v31
	v_or3_b32 v34, v27, v28, v25
	v_cmp_ne_u32_e32 vcc, 0, v20
	v_mov_b32_e32 v27, 0
	s_and_saveexec_b64 s[20:21], vcc
	s_cbranch_execz .LBB4_5790
; %bb.5785:                             ;   in Loop: Header=BB4_5324 Depth=2
	v_cmp_ne_u32_e32 vcc, s50, v20
	v_bfrev_b32_e32 v27, 1
	s_and_saveexec_b64 s[88:89], vcc
	s_cbranch_execz .LBB4_5789
; %bb.5786:                             ;   in Loop: Header=BB4_5324 Depth=2
	v_and_b32_e32 v28, 0x7f, v20
	v_cmp_ne_u32_e32 vcc, s39, v28
	v_mov_b32_e32 v27, 0x7f800001
	s_and_saveexec_b64 s[90:91], vcc
	s_cbranch_execz .LBB4_5788
; %bb.5787:                             ;   in Loop: Header=BB4_5324 Depth=2
	v_and_b32_e32 v20, 7, v20
	v_ffbh_u32_e32 v20, v20
	v_min_u32_e32 v20, 32, v20
	v_lshrrev_b32_e32 v27, 3, v28
	v_cmp_gt_u32_e32 vcc, 8, v28
	v_subrev_u32_e32 v28, 28, v20
	v_sub_u32_e32 v20, 29, v20
	v_cndmask_b32_e32 v20, v27, v20, vcc
	v_cndmask_b32_e32 v27, 0, v28, vcc
	v_lshlrev_b64 v[27:28], v27, v[34:35]
	v_lshlrev_b32_e32 v28, 24, v34
	v_lshlrev_b32_e32 v27, 20, v27
	v_and_b32_e32 v27, 0x700000, v27
	v_and_b32_e32 v28, 0x80000000, v28
	v_lshl_add_u32 v20, v20, 23, v58
	v_or3_b32 v27, v28, v20, v27
.LBB4_5788:                             ;   in Loop: Header=BB4_5324 Depth=2
	s_or_b64 exec, exec, s[90:91]
.LBB4_5789:                             ;   in Loop: Header=BB4_5324 Depth=2
	s_or_b64 exec, exec, s[88:89]
.LBB4_5790:                             ;   in Loop: Header=BB4_5324 Depth=2
	s_or_b64 exec, exec, s[20:21]
	v_cmp_gt_i16_sdwa s[88:89], v11, s39 src0_sel:BYTE_0 src1_sel:DWORD
	s_mov_b64 s[20:21], 0
	s_and_saveexec_b64 s[90:91], s[88:89]
	s_xor_b64 s[88:89], exec, s[90:91]
	s_cbranch_execz .LBB4_5794
; %bb.5791:                             ;   in Loop: Header=BB4_5324 Depth=2
	v_cmp_eq_u16_sdwa s[92:93], v11, s50 src0_sel:BYTE_0 src1_sel:DWORD
	s_mov_b64 s[20:21], -1
	s_and_saveexec_b64 s[90:91], s[92:93]
; %bb.5792:                             ;   in Loop: Header=BB4_5324 Depth=2
	s_xor_b64 s[20:21], exec, -1
; %bb.5793:                             ;   in Loop: Header=BB4_5324 Depth=2
	s_or_b64 exec, exec, s[90:91]
	s_and_b64 s[20:21], s[20:21], exec
.LBB4_5794:                             ;   in Loop: Header=BB4_5324 Depth=2
	s_or_saveexec_b64 s[88:89], s[88:89]
	v_bfrev_b32_e32 v20, 1
	s_xor_b64 exec, exec, s[88:89]
; %bb.5795:                             ;   in Loop: Header=BB4_5324 Depth=2
	v_cmp_ne_u16_sdwa s[90:91], v11, v35 src0_sel:BYTE_0 src1_sel:DWORD
	s_andn2_b64 s[20:21], s[20:21], exec
	s_and_b64 s[90:91], s[90:91], exec
	v_mov_b32_e32 v20, 0
	s_or_b64 s[20:21], s[20:21], s[90:91]
; %bb.5796:                             ;   in Loop: Header=BB4_5324 Depth=2
	s_or_b64 exec, exec, s[88:89]
	v_mov_b32_e32 v54, v11
	v_mov_b32_e32 v55, v35
	s_and_saveexec_b64 s[88:89], s[20:21]
	s_cbranch_execz .LBB4_5798
; %bb.5797:                             ;   in Loop: Header=BB4_5324 Depth=2
	v_and_b32_e32 v20, 7, v11
	v_ffbh_u32_e32 v20, v20
	v_and_b32_e32 v30, 0x7f, v11
	v_min_u32_e32 v20, 32, v20
	v_bfe_u32 v28, v11, 3, 4
	v_subrev_u32_e32 v29, 28, v20
	v_sub_u32_e32 v20, 29, v20
	v_cmp_gt_u32_e32 vcc, 8, v30
	v_cndmask_b32_e32 v20, v28, v20, vcc
	v_cndmask_b32_e32 v28, 0, v29, vcc
	v_lshlrev_b64 v[28:29], v28, v[54:55]
	v_lshlrev_b32_e32 v29, 24, v54
	v_lshlrev_b32_e32 v28, 20, v28
	v_and_b32_e32 v28, 0x700000, v28
	v_and_b32_e32 v29, 0x80000000, v29
	v_lshl_add_u32 v20, v20, 23, v58
	v_or3_b32 v20, v29, v20, v28
	v_cmp_ne_u32_e32 vcc, s39, v30
	v_cndmask_b32_e32 v20, v42, v20, vcc
.LBB4_5798:                             ;   in Loop: Header=BB4_5324 Depth=2
	s_or_b64 exec, exec, s[88:89]
	v_add_f32_e32 v28, v27, v20
	v_and_b32_e32 v29, 0x7f800000, v28
	v_mov_b32_e32 v30, v35
	v_cmp_ne_u64_e32 vcc, s[46:47], v[29:30]
                                        ; implicit-def: $vgpr20
	s_and_saveexec_b64 s[20:21], vcc
	s_xor_b64 s[88:89], exec, s[20:21]
	s_cbranch_execz .LBB4_5812
; %bb.5799:                             ;   in Loop: Header=BB4_5324 Depth=2
	v_and_b32_e32 v29, 0x7fffffff, v28
	v_mov_b32_e32 v30, v35
	v_cmp_gt_u64_e32 vcc, s[56:57], v[29:30]
	v_and_b32_sdwa v27, v28, s50 dst_sel:DWORD dst_unused:UNUSED_PAD src0_sel:BYTE_3 src1_sel:DWORD
                                        ; implicit-def: $vgpr20
	s_and_saveexec_b64 s[20:21], vcc
	s_xor_b64 s[90:91], exec, s[20:21]
	s_cbranch_execz .LBB4_5809
; %bb.5800:                             ;   in Loop: Header=BB4_5324 Depth=2
	v_mov_b32_e32 v20, 0
	v_cmp_ne_u32_e32 vcc, 0, v28
	s_and_saveexec_b64 s[92:93], vcc
	s_cbranch_execz .LBB4_5808
; %bb.5801:                             ;   in Loop: Header=BB4_5324 Depth=2
	v_bfe_u32 v20, v28, 23, 8
	v_and_b32_e32 v29, 0x7fffff, v28
	v_cmp_gt_u32_e64 s[20:21], s51, v20
	v_sub_u32_e32 v28, 0x79, v20
	v_cmp_eq_u32_e32 vcc, 0, v20
	v_cndmask_b32_e64 v28, 0, v28, s[20:21]
	v_cndmask_b32_e32 v28, v28, v59, vcc
	v_or_b32_e32 v30, 0x800000, v29
	v_add_u32_e32 v31, 20, v28
	v_cndmask_b32_e32 v29, v30, v29, vcc
	v_mov_b32_e32 v30, v35
	v_lshlrev_b64 v[31:32], v31, -1
	v_add_u32_e32 v33, 19, v28
	v_lshlrev_b64 v[48:49], v33, 1
	v_lshrrev_b64 v[39:40], v28, v[29:30]
	v_bfi_b32 v32, v32, 0, 0
	v_bfi_b32 v31, v31, 0, v29
	v_cmp_eq_u64_e64 s[20:21], v[31:32], v[48:49]
	v_mov_b32_e32 v41, v40
	v_mov_b32_e32 v40, v39
	s_and_saveexec_b64 s[94:95], s[20:21]
; %bb.5802:                             ;   in Loop: Header=BB4_5324 Depth=2
	v_bfe_u32 v29, v39, 20, 1
	v_add_co_u32_e64 v29, s[20:21], v39, v29
	v_add_co_u32_e64 v40, s[20:21], -1, v29
; %bb.5803:                             ;   in Loop: Header=BB4_5324 Depth=2
	s_or_b64 exec, exec, s[94:95]
	v_add_u32_e32 v20, 0xffffff81, v20
	v_cndmask_b32_e32 v20, v20, v60, vcc
	v_lshrrev_b32_e32 v29, 23, v39
	v_add3_u32 v29, v28, v20, v29
	v_add_u32_e32 v28, 6, v29
	v_and_b32_e32 v20, 0xfffff, v40
	v_add_u32_e32 v39, v20, v39
	v_mov_b32_e32 v40, v35
	v_cmp_ne_u32_e32 vcc, 0, v28
                                        ; implicit-def: $vgpr20
	s_and_saveexec_b64 s[20:21], vcc
	s_xor_b64 s[20:21], exec, s[20:21]
; %bb.5804:                             ;   in Loop: Header=BB4_5324 Depth=2
	v_cmp_lt_u64_e32 vcc, s[58:59], v[39:40]
	v_add_u32_e32 v20, 7, v29
	v_cndmask_b32_e32 v20, v28, v20, vcc
	v_cndmask_b32_e64 v28, 0, 1, vcc
	v_lshrrev_b64 v[39:40], v28, v[39:40]
; %bb.5805:                             ;   in Loop: Header=BB4_5324 Depth=2
	s_andn2_saveexec_b64 s[20:21], s[20:21]
; %bb.5806:                             ;   in Loop: Header=BB4_5324 Depth=2
	v_bfe_u32 v20, v39, 23, 1
; %bb.5807:                             ;   in Loop: Header=BB4_5324 Depth=2
	s_or_b64 exec, exec, s[20:21]
	v_lshrrev_b64 v[28:29], 20, v[39:40]
	v_cmp_gt_i32_e32 vcc, 16, v20
	v_cndmask_b32_e32 v29, 0, v29, vcc
	v_cndmask_b32_e32 v28, 7, v28, vcc
	v_cmp_eq_u32_e32 vcc, 0, v20
	v_min_i32_e32 v20, 15, v20
	v_cmp_eq_u64_e64 s[20:21], 0, v[28:29]
	v_lshlrev_b32_e32 v20, 3, v20
	v_and_b32_e32 v20, 0xf8, v20
	v_and_or_b32 v20, v28, 7, v20
	s_and_b64 s[20:21], vcc, s[20:21]
	v_cndmask_b32_e64 v20, v20, 0, s[20:21]
	v_or_b32_e32 v20, v20, v27
.LBB4_5808:                             ;   in Loop: Header=BB4_5324 Depth=2
	s_or_b64 exec, exec, s[92:93]
                                        ; implicit-def: $vgpr27
.LBB4_5809:                             ;   in Loop: Header=BB4_5324 Depth=2
	s_andn2_saveexec_b64 s[20:21], s[90:91]
; %bb.5810:                             ;   in Loop: Header=BB4_5324 Depth=2
	v_or_b32_e32 v20, 0x7e, v27
; %bb.5811:                             ;   in Loop: Header=BB4_5324 Depth=2
	s_or_b64 exec, exec, s[20:21]
                                        ; implicit-def: $vgpr28
.LBB4_5812:                             ;   in Loop: Header=BB4_5324 Depth=2
	s_andn2_saveexec_b64 s[20:21], s[88:89]
; %bb.5813:                             ;   in Loop: Header=BB4_5324 Depth=2
	v_or_b32_sdwa v20, v28, s39 dst_sel:DWORD dst_unused:UNUSED_PAD src0_sel:BYTE_3 src1_sel:DWORD
; %bb.5814:                             ;   in Loop: Header=BB4_5324 Depth=2
	s_or_b64 exec, exec, s[20:21]
	v_lshrrev_b16_e32 v30, 8, v25
	v_cmp_ne_u16_e32 vcc, 0, v30
	v_mov_b32_e32 v27, 0
	s_and_saveexec_b64 s[20:21], vcc
	s_cbranch_execz .LBB4_5820
; %bb.5815:                             ;   in Loop: Header=BB4_5324 Depth=2
	v_cmp_ne_u16_e32 vcc, s50, v30
	v_bfrev_b32_e32 v27, 1
	s_and_saveexec_b64 s[88:89], vcc
	s_cbranch_execz .LBB4_5819
; %bb.5816:                             ;   in Loop: Header=BB4_5324 Depth=2
	v_and_b32_e32 v28, 0x7f, v30
	v_cmp_ne_u32_e32 vcc, s39, v28
	v_mov_b32_e32 v27, 0x7f800001
	s_and_saveexec_b64 s[90:91], vcc
	s_cbranch_execz .LBB4_5818
; %bb.5817:                             ;   in Loop: Header=BB4_5324 Depth=2
	v_and_b32_e32 v29, 7, v30
	v_ffbh_u32_e32 v27, v29
	v_min_u32_e32 v32, 32, v27
	v_lshrrev_b32_e32 v31, 3, v28
	v_subrev_u32_e32 v27, 28, v32
	v_cmp_gt_u32_e32 vcc, 8, v28
	v_lshlrev_b64 v[27:28], v27, v[30:31]
	v_sub_u32_e32 v28, 29, v32
	v_and_b32_e32 v27, 7, v27
	v_cndmask_b32_e32 v28, v31, v28, vcc
	v_cndmask_b32_e32 v27, v29, v27, vcc
	v_lshlrev_b32_e32 v25, 16, v25
	v_lshlrev_b32_e32 v27, 20, v27
	v_and_b32_e32 v25, 0x80000000, v25
	v_lshl_add_u32 v28, v28, 23, v58
	v_or3_b32 v27, v25, v28, v27
.LBB4_5818:                             ;   in Loop: Header=BB4_5324 Depth=2
	s_or_b64 exec, exec, s[90:91]
.LBB4_5819:                             ;   in Loop: Header=BB4_5324 Depth=2
	s_or_b64 exec, exec, s[88:89]
.LBB4_5820:                             ;   in Loop: Header=BB4_5324 Depth=2
	s_or_b64 exec, exec, s[20:21]
	v_lshrrev_b16_e32 v54, 8, v54
	v_cmp_lt_i16_e32 vcc, s39, v54
	s_mov_b64 s[20:21], 0
	s_and_saveexec_b64 s[88:89], vcc
	s_xor_b64 s[88:89], exec, s[88:89]
	s_cbranch_execnz .LBB4_6104
; %bb.5821:                             ;   in Loop: Header=BB4_5324 Depth=2
	s_or_saveexec_b64 s[88:89], s[88:89]
	v_bfrev_b32_e32 v25, 1
	s_xor_b64 exec, exec, s[88:89]
	s_cbranch_execnz .LBB4_6107
.LBB4_5822:                             ;   in Loop: Header=BB4_5324 Depth=2
	s_or_b64 exec, exec, s[88:89]
	s_and_saveexec_b64 s[88:89], s[20:21]
	s_cbranch_execz .LBB4_5824
.LBB4_5823:                             ;   in Loop: Header=BB4_5324 Depth=2
	v_and_b32_e32 v25, 7, v54
	v_ffbh_u32_e32 v28, v25
	v_min_u32_e32 v32, 32, v28
	v_mov_b32_e32 v55, v35
	v_subrev_u32_e32 v28, 28, v32
	v_lshlrev_b64 v[28:29], v28, v[54:55]
	v_and_b32_e32 v30, 0x7f, v54
	v_bfe_u32 v31, v54, 3, 4
	v_sub_u32_e32 v29, 29, v32
	v_and_b32_e32 v28, 7, v28
	v_cmp_gt_u32_e32 vcc, 8, v30
	v_cndmask_b32_e32 v29, v31, v29, vcc
	v_cndmask_b32_e32 v25, v25, v28, vcc
	v_lshlrev_b32_e32 v28, 24, v54
	v_lshlrev_b32_e32 v25, 20, v25
	v_and_b32_e32 v28, 0x80000000, v28
	v_lshl_add_u32 v29, v29, 23, v58
	v_or3_b32 v25, v28, v29, v25
	v_cmp_ne_u32_e32 vcc, s39, v30
	v_cndmask_b32_e32 v25, v42, v25, vcc
.LBB4_5824:                             ;   in Loop: Header=BB4_5324 Depth=2
	s_or_b64 exec, exec, s[88:89]
	v_add_f32_e32 v28, v27, v25
	v_and_b32_e32 v29, 0x7f800000, v28
	v_mov_b32_e32 v30, v35
	v_cmp_ne_u64_e32 vcc, s[46:47], v[29:30]
                                        ; implicit-def: $vgpr25
	s_and_saveexec_b64 s[20:21], vcc
	s_xor_b64 s[88:89], exec, s[20:21]
	s_cbranch_execz .LBB4_5838
; %bb.5825:                             ;   in Loop: Header=BB4_5324 Depth=2
	v_and_b32_e32 v29, 0x7fffffff, v28
	v_mov_b32_e32 v30, v35
	v_cmp_gt_u64_e32 vcc, s[56:57], v[29:30]
	v_and_b32_sdwa v27, v28, s50 dst_sel:DWORD dst_unused:UNUSED_PAD src0_sel:BYTE_3 src1_sel:DWORD
                                        ; implicit-def: $vgpr25
	s_and_saveexec_b64 s[20:21], vcc
	s_xor_b64 s[90:91], exec, s[20:21]
	s_cbranch_execz .LBB4_5835
; %bb.5826:                             ;   in Loop: Header=BB4_5324 Depth=2
	v_mov_b32_e32 v25, 0
	v_cmp_ne_u32_e32 vcc, 0, v28
	s_and_saveexec_b64 s[92:93], vcc
	s_cbranch_execz .LBB4_5834
; %bb.5827:                             ;   in Loop: Header=BB4_5324 Depth=2
	v_bfe_u32 v25, v28, 23, 8
	v_and_b32_e32 v29, 0x7fffff, v28
	v_cmp_gt_u32_e64 s[20:21], s51, v25
	v_sub_u32_e32 v28, 0x79, v25
	v_cmp_eq_u32_e32 vcc, 0, v25
	v_cndmask_b32_e64 v28, 0, v28, s[20:21]
	v_cndmask_b32_e32 v28, v28, v59, vcc
	v_add_u32_e32 v31, 20, v28
	v_or_b32_e32 v30, 0x800000, v29
	v_lshlrev_b64 v[31:32], v31, -1
	v_add_u32_e32 v33, 19, v28
	v_cndmask_b32_e32 v29, v30, v29, vcc
	v_mov_b32_e32 v30, v35
	v_lshlrev_b64 v[48:49], v33, 1
	v_bfi_b32 v32, v32, 0, 0
	v_bfi_b32 v31, v31, 0, v29
	v_lshrrev_b64 v[54:55], v28, v[29:30]
	v_cmp_eq_u64_e64 s[20:21], v[31:32], v[48:49]
	v_mov_b32_e32 v39, v54
	v_mov_b32_e32 v40, v55
	s_and_saveexec_b64 s[94:95], s[20:21]
; %bb.5828:                             ;   in Loop: Header=BB4_5324 Depth=2
	v_bfe_u32 v29, v54, 20, 1
	v_add_co_u32_e64 v29, s[20:21], v54, v29
	v_add_co_u32_e64 v39, s[20:21], -1, v29
; %bb.5829:                             ;   in Loop: Header=BB4_5324 Depth=2
	s_or_b64 exec, exec, s[94:95]
	v_add_u32_e32 v25, 0xffffff81, v25
	v_cndmask_b32_e32 v25, v25, v60, vcc
	v_lshrrev_b32_e32 v29, 23, v54
	v_add3_u32 v29, v28, v25, v29
	v_add_u32_e32 v28, 6, v29
	v_and_b32_e32 v25, 0xfffff, v39
	v_add_u32_e32 v54, v25, v54
	v_mov_b32_e32 v55, v35
	v_cmp_ne_u32_e32 vcc, 0, v28
                                        ; implicit-def: $vgpr25
	s_and_saveexec_b64 s[20:21], vcc
	s_xor_b64 s[20:21], exec, s[20:21]
; %bb.5830:                             ;   in Loop: Header=BB4_5324 Depth=2
	v_cmp_lt_u64_e32 vcc, s[58:59], v[54:55]
	v_add_u32_e32 v25, 7, v29
	v_cndmask_b32_e32 v25, v28, v25, vcc
	v_cndmask_b32_e64 v28, 0, 1, vcc
	v_lshrrev_b64 v[54:55], v28, v[54:55]
; %bb.5831:                             ;   in Loop: Header=BB4_5324 Depth=2
	s_andn2_saveexec_b64 s[20:21], s[20:21]
; %bb.5832:                             ;   in Loop: Header=BB4_5324 Depth=2
	v_bfe_u32 v25, v54, 23, 1
; %bb.5833:                             ;   in Loop: Header=BB4_5324 Depth=2
	s_or_b64 exec, exec, s[20:21]
	v_lshrrev_b64 v[28:29], 20, v[54:55]
	v_cmp_gt_i32_e32 vcc, 16, v25
	v_cndmask_b32_e32 v29, 0, v29, vcc
	v_cndmask_b32_e32 v28, 7, v28, vcc
	v_cmp_eq_u32_e32 vcc, 0, v25
	v_min_i32_e32 v25, 15, v25
	v_cmp_eq_u64_e64 s[20:21], 0, v[28:29]
	v_lshlrev_b32_e32 v25, 3, v25
	v_and_b32_e32 v25, 0xf8, v25
	v_and_or_b32 v25, v28, 7, v25
	s_and_b64 s[20:21], vcc, s[20:21]
	v_cndmask_b32_e64 v25, v25, 0, s[20:21]
	v_or_b32_e32 v25, v25, v27
.LBB4_5834:                             ;   in Loop: Header=BB4_5324 Depth=2
	s_or_b64 exec, exec, s[92:93]
                                        ; implicit-def: $vgpr27
.LBB4_5835:                             ;   in Loop: Header=BB4_5324 Depth=2
	s_andn2_saveexec_b64 s[20:21], s[90:91]
; %bb.5836:                             ;   in Loop: Header=BB4_5324 Depth=2
	v_or_b32_e32 v25, 0x7e, v27
; %bb.5837:                             ;   in Loop: Header=BB4_5324 Depth=2
	s_or_b64 exec, exec, s[20:21]
                                        ; implicit-def: $vgpr28
.LBB4_5838:                             ;   in Loop: Header=BB4_5324 Depth=2
	s_andn2_saveexec_b64 s[20:21], s[88:89]
; %bb.5839:                             ;   in Loop: Header=BB4_5324 Depth=2
	v_or_b32_sdwa v25, v28, s39 dst_sel:DWORD dst_unused:UNUSED_PAD src0_sel:BYTE_3 src1_sel:DWORD
; %bb.5840:                             ;   in Loop: Header=BB4_5324 Depth=2
	s_or_b64 exec, exec, s[20:21]
	v_lshrrev_b32_e32 v30, 16, v34
	v_cmp_ne_u16_sdwa s[88:89], v30, v35 src0_sel:BYTE_0 src1_sel:DWORD
	v_mov_b32_e32 v27, 0
	s_and_saveexec_b64 s[20:21], s[88:89]
	s_cbranch_execz .LBB4_5846
; %bb.5841:                             ;   in Loop: Header=BB4_5324 Depth=2
	v_cmp_ne_u16_sdwa s[90:91], v30, s50 src0_sel:BYTE_0 src1_sel:DWORD
	v_bfrev_b32_e32 v27, 1
	s_and_saveexec_b64 s[88:89], s[90:91]
	s_cbranch_execz .LBB4_5845
; %bb.5842:                             ;   in Loop: Header=BB4_5324 Depth=2
	v_bfe_u32 v28, v34, 16, 7
	v_cmp_ne_u32_e32 vcc, s39, v28
	v_mov_b32_e32 v27, 0x7f800001
	s_and_saveexec_b64 s[90:91], vcc
	s_cbranch_execz .LBB4_5844
; %bb.5843:                             ;   in Loop: Header=BB4_5324 Depth=2
	v_and_b32_e32 v29, 7, v30
	v_ffbh_u32_e32 v27, v29
	v_min_u32_e32 v32, 32, v27
	v_lshrrev_b32_e32 v31, 3, v28
	v_subrev_u32_e32 v27, 28, v32
	v_cmp_gt_u32_e32 vcc, 8, v28
	v_lshlrev_b64 v[27:28], v27, v[30:31]
	v_sub_u32_e32 v28, 29, v32
	v_and_b32_e32 v27, 7, v27
	v_cndmask_b32_e32 v28, v31, v28, vcc
	v_cndmask_b32_e32 v27, v29, v27, vcc
	v_lshlrev_b32_e32 v29, 24, v30
	v_lshlrev_b32_e32 v27, 20, v27
	v_and_b32_e32 v29, 0x80000000, v29
	v_lshl_add_u32 v28, v28, 23, v58
	v_or3_b32 v27, v29, v28, v27
.LBB4_5844:                             ;   in Loop: Header=BB4_5324 Depth=2
	s_or_b64 exec, exec, s[90:91]
.LBB4_5845:                             ;   in Loop: Header=BB4_5324 Depth=2
	s_or_b64 exec, exec, s[88:89]
.LBB4_5846:                             ;   in Loop: Header=BB4_5324 Depth=2
	s_or_b64 exec, exec, s[20:21]
	v_lshrrev_b32_e32 v30, 16, v11
	v_cmp_gt_i16_sdwa s[88:89], v30, s39 src0_sel:BYTE_0 src1_sel:DWORD
	s_mov_b64 s[20:21], 0
	s_and_saveexec_b64 s[90:91], s[88:89]
	s_xor_b64 s[88:89], exec, s[90:91]
	s_cbranch_execnz .LBB4_6108
; %bb.5847:                             ;   in Loop: Header=BB4_5324 Depth=2
	s_or_saveexec_b64 s[88:89], s[88:89]
	v_bfrev_b32_e32 v28, 1
	s_xor_b64 exec, exec, s[88:89]
	s_cbranch_execnz .LBB4_6111
.LBB4_5848:                             ;   in Loop: Header=BB4_5324 Depth=2
	s_or_b64 exec, exec, s[88:89]
	s_and_saveexec_b64 s[88:89], s[20:21]
	s_cbranch_execz .LBB4_5850
.LBB4_5849:                             ;   in Loop: Header=BB4_5324 Depth=2
	v_and_b32_e32 v31, 7, v30
	v_ffbh_u32_e32 v28, v31
	v_min_u32_e32 v39, 32, v28
	v_subrev_u32_e32 v28, 28, v39
	v_lshlrev_b64 v[28:29], v28, v[30:31]
	v_and_b32_e32 v32, 0x7f, v30
	v_bfe_u32 v33, v30, 3, 4
	v_sub_u32_e32 v29, 29, v39
	v_and_b32_e32 v28, 7, v28
	v_cmp_gt_u32_e32 vcc, 8, v32
	v_cndmask_b32_e32 v29, v33, v29, vcc
	v_cndmask_b32_e32 v28, v31, v28, vcc
	v_lshlrev_b32_e32 v30, 24, v30
	v_lshlrev_b32_e32 v28, 20, v28
	v_and_b32_e32 v30, 0x80000000, v30
	v_lshl_add_u32 v29, v29, 23, v58
	v_or3_b32 v28, v30, v29, v28
	v_cmp_ne_u32_e32 vcc, s39, v32
	v_cndmask_b32_e32 v28, v42, v28, vcc
.LBB4_5850:                             ;   in Loop: Header=BB4_5324 Depth=2
	s_or_b64 exec, exec, s[88:89]
	v_add_f32_e32 v29, v27, v28
	v_and_b32_e32 v27, 0x7f800000, v29
	v_mov_b32_e32 v28, v35
	v_cmp_ne_u64_e32 vcc, s[46:47], v[27:28]
                                        ; implicit-def: $vgpr27
	s_and_saveexec_b64 s[20:21], vcc
	s_xor_b64 s[88:89], exec, s[20:21]
	s_cbranch_execz .LBB4_5864
; %bb.5851:                             ;   in Loop: Header=BB4_5324 Depth=2
	v_and_b32_e32 v27, 0x7fffffff, v29
	v_mov_b32_e32 v28, v35
	v_cmp_gt_u64_e32 vcc, s[56:57], v[27:28]
	v_and_b32_sdwa v28, v29, s50 dst_sel:DWORD dst_unused:UNUSED_PAD src0_sel:BYTE_3 src1_sel:DWORD
                                        ; implicit-def: $vgpr27
	s_and_saveexec_b64 s[20:21], vcc
	s_xor_b64 s[90:91], exec, s[20:21]
	s_cbranch_execz .LBB4_5861
; %bb.5852:                             ;   in Loop: Header=BB4_5324 Depth=2
	v_mov_b32_e32 v27, 0
	v_cmp_ne_u32_e32 vcc, 0, v29
	s_and_saveexec_b64 s[92:93], vcc
	s_cbranch_execz .LBB4_5860
; %bb.5853:                             ;   in Loop: Header=BB4_5324 Depth=2
	v_bfe_u32 v27, v29, 23, 8
	v_and_b32_e32 v30, 0x7fffff, v29
	v_cmp_gt_u32_e64 s[20:21], s51, v27
	v_sub_u32_e32 v29, 0x79, v27
	v_cmp_eq_u32_e32 vcc, 0, v27
	v_cndmask_b32_e64 v29, 0, v29, s[20:21]
	v_cndmask_b32_e32 v29, v29, v59, vcc
	v_add_u32_e32 v32, 20, v29
	v_or_b32_e32 v31, 0x800000, v30
	v_lshlrev_b64 v[32:33], v32, -1
	v_add_u32_e32 v39, 19, v29
	v_cndmask_b32_e32 v30, v31, v30, vcc
	v_mov_b32_e32 v31, v35
	v_lshlrev_b64 v[48:49], v39, 1
	v_bfi_b32 v33, v33, 0, 0
	v_bfi_b32 v32, v32, 0, v30
	v_lshrrev_b64 v[54:55], v29, v[30:31]
	v_cmp_eq_u64_e64 s[20:21], v[32:33], v[48:49]
	v_mov_b32_e32 v39, v54
	v_mov_b32_e32 v40, v55
	s_and_saveexec_b64 s[94:95], s[20:21]
; %bb.5854:                             ;   in Loop: Header=BB4_5324 Depth=2
	v_bfe_u32 v30, v54, 20, 1
	v_add_co_u32_e64 v30, s[20:21], v54, v30
	v_add_co_u32_e64 v39, s[20:21], -1, v30
; %bb.5855:                             ;   in Loop: Header=BB4_5324 Depth=2
	s_or_b64 exec, exec, s[94:95]
	v_add_u32_e32 v27, 0xffffff81, v27
	v_cndmask_b32_e32 v27, v27, v60, vcc
	v_lshrrev_b32_e32 v30, 23, v54
	v_add3_u32 v30, v29, v27, v30
	v_add_u32_e32 v29, 6, v30
	v_and_b32_e32 v27, 0xfffff, v39
	v_add_u32_e32 v54, v27, v54
	v_mov_b32_e32 v55, v35
	v_cmp_ne_u32_e32 vcc, 0, v29
                                        ; implicit-def: $vgpr27
	s_and_saveexec_b64 s[20:21], vcc
	s_xor_b64 s[20:21], exec, s[20:21]
; %bb.5856:                             ;   in Loop: Header=BB4_5324 Depth=2
	v_cmp_lt_u64_e32 vcc, s[58:59], v[54:55]
	v_add_u32_e32 v27, 7, v30
	v_cndmask_b32_e32 v27, v29, v27, vcc
	v_cndmask_b32_e64 v29, 0, 1, vcc
	v_lshrrev_b64 v[54:55], v29, v[54:55]
; %bb.5857:                             ;   in Loop: Header=BB4_5324 Depth=2
	s_andn2_saveexec_b64 s[20:21], s[20:21]
; %bb.5858:                             ;   in Loop: Header=BB4_5324 Depth=2
	v_bfe_u32 v27, v54, 23, 1
; %bb.5859:                             ;   in Loop: Header=BB4_5324 Depth=2
	s_or_b64 exec, exec, s[20:21]
	v_lshrrev_b64 v[29:30], 20, v[54:55]
	v_cmp_gt_i32_e32 vcc, 16, v27
	v_cndmask_b32_e32 v30, 0, v30, vcc
	v_cndmask_b32_e32 v29, 7, v29, vcc
	v_cmp_eq_u32_e32 vcc, 0, v27
	v_min_i32_e32 v27, 15, v27
	v_cmp_eq_u64_e64 s[20:21], 0, v[29:30]
	v_lshlrev_b32_e32 v27, 3, v27
	v_and_b32_e32 v27, 0xf8, v27
	v_and_or_b32 v27, v29, 7, v27
	s_and_b64 s[20:21], vcc, s[20:21]
	v_cndmask_b32_e64 v27, v27, 0, s[20:21]
	v_or_b32_e32 v27, v27, v28
.LBB4_5860:                             ;   in Loop: Header=BB4_5324 Depth=2
	s_or_b64 exec, exec, s[92:93]
                                        ; implicit-def: $vgpr28
.LBB4_5861:                             ;   in Loop: Header=BB4_5324 Depth=2
	s_andn2_saveexec_b64 s[20:21], s[90:91]
; %bb.5862:                             ;   in Loop: Header=BB4_5324 Depth=2
	v_or_b32_e32 v27, 0x7e, v28
; %bb.5863:                             ;   in Loop: Header=BB4_5324 Depth=2
	s_or_b64 exec, exec, s[20:21]
                                        ; implicit-def: $vgpr29
.LBB4_5864:                             ;   in Loop: Header=BB4_5324 Depth=2
	s_andn2_saveexec_b64 s[20:21], s[88:89]
; %bb.5865:                             ;   in Loop: Header=BB4_5324 Depth=2
	v_or_b32_sdwa v27, v29, s39 dst_sel:DWORD dst_unused:UNUSED_PAD src0_sel:BYTE_3 src1_sel:DWORD
; %bb.5866:                             ;   in Loop: Header=BB4_5324 Depth=2
	s_or_b64 exec, exec, s[20:21]
	v_cmp_lt_u32_e32 vcc, s61, v34
	v_mov_b32_e32 v28, 0
	s_and_saveexec_b64 s[20:21], vcc
	s_cbranch_execz .LBB4_5872
; %bb.5867:                             ;   in Loop: Header=BB4_5324 Depth=2
	v_lshrrev_b32_e32 v30, 24, v34
	v_cmp_ne_u32_sdwa s[90:91], v34, s50 src0_sel:BYTE_3 src1_sel:DWORD
	v_bfrev_b32_e32 v28, 1
	s_and_saveexec_b64 s[88:89], s[90:91]
	s_cbranch_execz .LBB4_5871
; %bb.5868:                             ;   in Loop: Header=BB4_5324 Depth=2
	v_bfe_u32 v29, v34, 24, 7
	v_cmp_ne_u32_e32 vcc, s39, v29
	v_mov_b32_e32 v28, 0x7f800001
	s_and_saveexec_b64 s[90:91], vcc
	s_cbranch_execz .LBB4_5870
; %bb.5869:                             ;   in Loop: Header=BB4_5324 Depth=2
	v_and_b32_e32 v31, 7, v30
	v_ffbh_u32_e32 v28, v31
	v_min_u32_e32 v33, 32, v28
	v_subrev_u32_e32 v28, 28, v33
	v_lshrrev_b32_e32 v32, 3, v29
	v_cmp_gt_u32_e32 vcc, 8, v29
	v_lshlrev_b64 v[28:29], v28, v[30:31]
	v_sub_u32_e32 v29, 29, v33
	v_and_b32_e32 v28, 7, v28
	v_mov_b32_e32 v30, 24
	v_cndmask_b32_e32 v29, v32, v29, vcc
	v_cndmask_b32_e32 v28, v31, v28, vcc
	v_lshlrev_b32_sdwa v30, v30, v34 dst_sel:DWORD dst_unused:UNUSED_PAD src0_sel:DWORD src1_sel:BYTE_3
	v_lshlrev_b32_e32 v28, 20, v28
	v_and_b32_e32 v30, 0x80000000, v30
	v_lshl_add_u32 v29, v29, 23, v58
	v_or3_b32 v28, v30, v29, v28
.LBB4_5870:                             ;   in Loop: Header=BB4_5324 Depth=2
	s_or_b64 exec, exec, s[90:91]
.LBB4_5871:                             ;   in Loop: Header=BB4_5324 Depth=2
	s_or_b64 exec, exec, s[88:89]
.LBB4_5872:                             ;   in Loop: Header=BB4_5324 Depth=2
	s_or_b64 exec, exec, s[20:21]
	v_bfe_u32 v32, v11, 24, 3
	v_ffbh_u32_e32 v30, v32
	v_min_u32_e32 v39, 32, v30
	v_lshrrev_b32_e32 v29, 24, v11
	v_subrev_u32_e32 v30, 28, v39
	v_lshlrev_b64 v[30:31], v30, v[29:30]
	v_bfe_u32 v33, v11, 24, 7
	v_bfe_u32 v34, v29, 3, 4
	v_sub_u32_e32 v31, 29, v39
	v_and_b32_e32 v30, 7, v30
	v_cmp_gt_u32_e32 vcc, 8, v33
	v_cndmask_b32_e32 v31, v34, v31, vcc
	v_cndmask_b32_e32 v30, v32, v30, vcc
	v_lshlrev_b32_e32 v30, 20, v30
	v_and_b32_e32 v32, 0x80000000, v11
	v_lshl_add_u32 v31, v31, 23, v58
	v_or3_b32 v30, v32, v31, v30
	v_cmp_ne_u32_e32 vcc, s39, v33
	v_cndmask_b32_e32 v30, v42, v30, vcc
	v_cmp_ne_u32_e32 vcc, s50, v29
	v_cndmask_b32_e32 v29, v43, v30, vcc
	v_cmp_lt_u64_e32 vcc, s[60:61], v[10:11]
                                        ; implicit-def: $vgpr30
	v_cndmask_b32_e32 v10, 0, v29, vcc
	v_add_f32_e32 v10, v10, v28
	v_and_b32_e32 v34, 0x7f800000, v10
	v_cmp_ne_u64_e32 vcc, s[46:47], v[34:35]
	s_and_saveexec_b64 s[20:21], vcc
	s_xor_b64 s[88:89], exec, s[20:21]
	s_cbranch_execz .LBB4_5886
; %bb.5873:                             ;   in Loop: Header=BB4_5324 Depth=2
	v_and_b32_e32 v34, 0x7fffffff, v10
	v_cmp_gt_u64_e32 vcc, s[56:57], v[34:35]
	v_and_b32_sdwa v28, v10, s50 dst_sel:DWORD dst_unused:UNUSED_PAD src0_sel:BYTE_3 src1_sel:DWORD
                                        ; implicit-def: $vgpr30
	s_and_saveexec_b64 s[20:21], vcc
	s_xor_b64 s[90:91], exec, s[20:21]
	s_cbranch_execz .LBB4_5883
; %bb.5874:                             ;   in Loop: Header=BB4_5324 Depth=2
	v_mov_b32_e32 v30, 0
	v_cmp_ne_u32_e32 vcc, 0, v10
	s_and_saveexec_b64 s[92:93], vcc
	s_cbranch_execz .LBB4_5882
; %bb.5875:                             ;   in Loop: Header=BB4_5324 Depth=2
	v_bfe_u32 v29, v10, 23, 8
	v_and_b32_e32 v11, 0x7fffff, v10
	v_cmp_gt_u32_e64 s[20:21], s51, v29
	v_sub_u32_e32 v10, 0x79, v29
	v_cmp_eq_u32_e32 vcc, 0, v29
	v_cndmask_b32_e64 v10, 0, v10, s[20:21]
	v_cndmask_b32_e32 v30, v10, v59, vcc
	v_or_b32_e32 v31, 0x800000, v11
	v_add_u32_e32 v10, 20, v30
	v_cndmask_b32_e32 v34, v31, v11, vcc
	v_lshlrev_b64 v[10:11], v10, -1
	v_add_u32_e32 v31, 19, v30
	v_lshlrev_b64 v[31:32], v31, 1
	v_bfi_b32 v11, v11, 0, 0
	v_bfi_b32 v10, v10, 0, v34
	v_cmp_eq_u64_e64 s[20:21], v[10:11], v[31:32]
	v_lshrrev_b64 v[10:11], v30, v[34:35]
	v_mov_b32_e32 v55, v11
	v_mov_b32_e32 v54, v10
	s_and_saveexec_b64 s[94:95], s[20:21]
; %bb.5876:                             ;   in Loop: Header=BB4_5324 Depth=2
	v_bfe_u32 v11, v10, 20, 1
	v_add_co_u32_e64 v11, s[20:21], v10, v11
	v_add_co_u32_e64 v54, s[20:21], -1, v11
; %bb.5877:                             ;   in Loop: Header=BB4_5324 Depth=2
	s_or_b64 exec, exec, s[94:95]
	v_add_u32_e32 v11, 0xffffff81, v29
	v_cndmask_b32_e32 v11, v11, v60, vcc
	v_lshrrev_b32_e32 v29, 23, v10
	v_add3_u32 v31, v30, v11, v29
	v_add_u32_e32 v30, 6, v31
	v_and_b32_e32 v11, 0xfffff, v54
	v_add_u32_e32 v34, v11, v10
	v_cmp_ne_u32_e32 vcc, 0, v30
                                        ; implicit-def: $vgpr10_vgpr11
                                        ; implicit-def: $vgpr29
	s_and_saveexec_b64 s[20:21], vcc
	s_xor_b64 s[20:21], exec, s[20:21]
; %bb.5878:                             ;   in Loop: Header=BB4_5324 Depth=2
	v_cmp_lt_u64_e32 vcc, s[58:59], v[34:35]
	v_add_u32_e32 v10, 7, v31
	v_cndmask_b32_e32 v29, v30, v10, vcc
	v_cndmask_b32_e64 v10, 0, 1, vcc
	v_lshrrev_b64 v[10:11], v10, v[34:35]
; %bb.5879:                             ;   in Loop: Header=BB4_5324 Depth=2
	s_andn2_saveexec_b64 s[20:21], s[20:21]
; %bb.5880:                             ;   in Loop: Header=BB4_5324 Depth=2
	v_mov_b32_e32 v10, v34
	v_bfe_u32 v29, v34, 23, 1
	v_mov_b32_e32 v11, v35
; %bb.5881:                             ;   in Loop: Header=BB4_5324 Depth=2
	s_or_b64 exec, exec, s[20:21]
	v_lshrrev_b64 v[10:11], 20, v[10:11]
	v_cmp_gt_i32_e32 vcc, 16, v29
	v_cndmask_b32_e32 v11, 0, v11, vcc
	v_cndmask_b32_e32 v10, 7, v10, vcc
	v_cmp_eq_u64_e64 s[20:21], 0, v[10:11]
	v_min_i32_e32 v11, 15, v29
	v_lshlrev_b32_e32 v11, 3, v11
	v_cmp_eq_u32_e32 vcc, 0, v29
	v_and_b32_e32 v11, 0xf8, v11
	v_and_or_b32 v10, v10, 7, v11
	s_and_b64 s[20:21], vcc, s[20:21]
	v_cndmask_b32_e64 v10, v10, 0, s[20:21]
	v_or_b32_e32 v30, v10, v28
.LBB4_5882:                             ;   in Loop: Header=BB4_5324 Depth=2
	s_or_b64 exec, exec, s[92:93]
                                        ; implicit-def: $vgpr28
.LBB4_5883:                             ;   in Loop: Header=BB4_5324 Depth=2
	s_andn2_saveexec_b64 s[20:21], s[90:91]
; %bb.5884:                             ;   in Loop: Header=BB4_5324 Depth=2
	v_or_b32_e32 v30, 0x7e, v28
; %bb.5885:                             ;   in Loop: Header=BB4_5324 Depth=2
	s_or_b64 exec, exec, s[20:21]
                                        ; implicit-def: $vgpr10
.LBB4_5886:                             ;   in Loop: Header=BB4_5324 Depth=2
	s_andn2_saveexec_b64 s[20:21], s[88:89]
; %bb.5887:                             ;   in Loop: Header=BB4_5324 Depth=2
	v_or_b32_sdwa v30, v10, s39 dst_sel:DWORD dst_unused:UNUSED_PAD src0_sel:BYTE_3 src1_sel:DWORD
; %bb.5888:                             ;   in Loop: Header=BB4_5324 Depth=2
	s_or_b64 exec, exec, s[20:21]
	v_lshl_or_b32 v21, v21, 8, v8
	v_lshlrev_b32_e32 v10, 16, v24
	v_lshlrev_b32_e32 v11, 24, v26
	v_or3_b32 v34, v10, v11, v21
	v_cmp_ne_u32_e32 vcc, 0, v8
	v_mov_b32_e32 v10, 0
	s_and_saveexec_b64 s[20:21], vcc
	s_cbranch_execz .LBB4_5894
; %bb.5889:                             ;   in Loop: Header=BB4_5324 Depth=2
	v_cmp_ne_u32_e32 vcc, s50, v8
	v_bfrev_b32_e32 v10, 1
	s_and_saveexec_b64 s[88:89], vcc
	s_cbranch_execz .LBB4_5893
; %bb.5890:                             ;   in Loop: Header=BB4_5324 Depth=2
	v_and_b32_e32 v11, 0x7f, v8
	v_cmp_ne_u32_e32 vcc, s39, v11
	v_mov_b32_e32 v10, 0x7f800001
	s_and_saveexec_b64 s[90:91], vcc
	s_cbranch_execz .LBB4_5892
; %bb.5891:                             ;   in Loop: Header=BB4_5324 Depth=2
	v_and_b32_e32 v8, 7, v8
	v_ffbh_u32_e32 v8, v8
	v_min_u32_e32 v8, 32, v8
	v_lshrrev_b32_e32 v10, 3, v11
	v_cmp_gt_u32_e32 vcc, 8, v11
	v_subrev_u32_e32 v11, 28, v8
	v_sub_u32_e32 v8, 29, v8
	v_cndmask_b32_e32 v8, v10, v8, vcc
	v_cndmask_b32_e32 v10, 0, v11, vcc
	v_lshlrev_b64 v[10:11], v10, v[34:35]
	v_lshlrev_b32_e32 v11, 24, v34
	v_lshlrev_b32_e32 v10, 20, v10
	v_and_b32_e32 v10, 0x700000, v10
	v_and_b32_e32 v11, 0x80000000, v11
	v_lshl_add_u32 v8, v8, 23, v58
	v_or3_b32 v10, v11, v8, v10
.LBB4_5892:                             ;   in Loop: Header=BB4_5324 Depth=2
	s_or_b64 exec, exec, s[90:91]
.LBB4_5893:                             ;   in Loop: Header=BB4_5324 Depth=2
	s_or_b64 exec, exec, s[88:89]
.LBB4_5894:                             ;   in Loop: Header=BB4_5324 Depth=2
	s_or_b64 exec, exec, s[20:21]
	v_cmp_gt_i16_sdwa s[88:89], v12, s39 src0_sel:BYTE_0 src1_sel:DWORD
	s_mov_b64 s[20:21], 0
	s_and_saveexec_b64 s[90:91], s[88:89]
	s_xor_b64 s[88:89], exec, s[90:91]
	s_cbranch_execnz .LBB4_6112
; %bb.5895:                             ;   in Loop: Header=BB4_5324 Depth=2
	s_or_saveexec_b64 s[88:89], s[88:89]
	v_bfrev_b32_e32 v8, 1
	s_xor_b64 exec, exec, s[88:89]
	s_cbranch_execnz .LBB4_6115
.LBB4_5896:                             ;   in Loop: Header=BB4_5324 Depth=2
	s_or_b64 exec, exec, s[88:89]
	s_and_saveexec_b64 s[88:89], s[20:21]
	s_cbranch_execz .LBB4_5898
.LBB4_5897:                             ;   in Loop: Header=BB4_5324 Depth=2
	v_and_b32_e32 v8, 7, v12
	v_ffbh_u32_e32 v8, v8
	v_and_b32_e32 v11, 0x7f, v12
	v_min_u32_e32 v8, 32, v8
	v_bfe_u32 v24, v12, 3, 4
	v_subrev_u32_e32 v26, 28, v8
	v_sub_u32_e32 v8, 29, v8
	v_cmp_gt_u32_e32 vcc, 8, v11
	v_cndmask_b32_e32 v8, v24, v8, vcc
	v_cndmask_b32_e32 v24, 0, v26, vcc
	v_lshlrev_b64 v[28:29], v24, v[12:13]
	v_lshlrev_b32_e32 v26, 24, v12
	v_lshlrev_b32_e32 v24, 20, v28
	v_and_b32_e32 v24, 0x700000, v24
	v_and_b32_e32 v26, 0x80000000, v26
	v_lshl_add_u32 v8, v8, 23, v58
	v_or3_b32 v8, v26, v8, v24
	v_cmp_ne_u32_e32 vcc, s39, v11
	v_cndmask_b32_e32 v8, v42, v8, vcc
.LBB4_5898:                             ;   in Loop: Header=BB4_5324 Depth=2
	s_or_b64 exec, exec, s[88:89]
	v_add_f32_e32 v10, v10, v8
	v_and_b32_e32 v28, 0x7f800000, v10
	v_mov_b32_e32 v29, v35
	v_cmp_ne_u64_e32 vcc, s[46:47], v[28:29]
                                        ; implicit-def: $vgpr8
	s_and_saveexec_b64 s[20:21], vcc
	s_xor_b64 s[88:89], exec, s[20:21]
	s_cbranch_execz .LBB4_5912
; %bb.5899:                             ;   in Loop: Header=BB4_5324 Depth=2
	v_and_b32_e32 v28, 0x7fffffff, v10
	v_mov_b32_e32 v29, v35
	v_cmp_gt_u64_e32 vcc, s[56:57], v[28:29]
	v_and_b32_sdwa v24, v10, s50 dst_sel:DWORD dst_unused:UNUSED_PAD src0_sel:BYTE_3 src1_sel:DWORD
                                        ; implicit-def: $vgpr8
	s_and_saveexec_b64 s[20:21], vcc
	s_xor_b64 s[90:91], exec, s[20:21]
	s_cbranch_execz .LBB4_5909
; %bb.5900:                             ;   in Loop: Header=BB4_5324 Depth=2
	v_mov_b32_e32 v8, 0
	v_cmp_ne_u32_e32 vcc, 0, v10
	s_and_saveexec_b64 s[92:93], vcc
	s_cbranch_execz .LBB4_5908
; %bb.5901:                             ;   in Loop: Header=BB4_5324 Depth=2
	v_bfe_u32 v8, v10, 23, 8
	v_and_b32_e32 v11, 0x7fffff, v10
	v_cmp_gt_u32_e64 s[20:21], s51, v8
	v_sub_u32_e32 v10, 0x79, v8
	v_cmp_eq_u32_e32 vcc, 0, v8
	v_cndmask_b32_e64 v10, 0, v10, s[20:21]
	v_or_b32_e32 v28, 0x800000, v11
	v_cndmask_b32_e32 v26, v10, v59, vcc
	v_cndmask_b32_e32 v10, v28, v11, vcc
	v_add_u32_e32 v28, 20, v26
	v_lshlrev_b64 v[28:29], v28, -1
	v_mov_b32_e32 v11, v35
	v_add_u32_e32 v31, 19, v26
	v_bfi_b32 v28, v28, 0, v10
	v_lshlrev_b64 v[31:32], v31, 1
	v_lshrrev_b64 v[10:11], v26, v[10:11]
	v_bfi_b32 v29, v29, 0, 0
	v_cmp_eq_u64_e64 s[20:21], v[28:29], v[31:32]
	v_mov_b32_e32 v55, v11
	v_mov_b32_e32 v54, v10
	s_and_saveexec_b64 s[94:95], s[20:21]
; %bb.5902:                             ;   in Loop: Header=BB4_5324 Depth=2
	v_bfe_u32 v11, v10, 20, 1
	v_add_co_u32_e64 v11, s[20:21], v10, v11
	v_add_co_u32_e64 v54, s[20:21], -1, v11
; %bb.5903:                             ;   in Loop: Header=BB4_5324 Depth=2
	s_or_b64 exec, exec, s[94:95]
	v_add_u32_e32 v8, 0xffffff81, v8
	v_cndmask_b32_e32 v8, v8, v60, vcc
	v_lshrrev_b32_e32 v11, 23, v10
	v_add3_u32 v28, v26, v8, v11
	v_add_u32_e32 v26, 6, v28
	v_and_b32_e32 v8, 0xfffff, v54
	v_add_u32_e32 v10, v8, v10
	v_mov_b32_e32 v11, v35
	v_cmp_ne_u32_e32 vcc, 0, v26
                                        ; implicit-def: $vgpr8
	s_and_saveexec_b64 s[20:21], vcc
	s_xor_b64 s[20:21], exec, s[20:21]
; %bb.5904:                             ;   in Loop: Header=BB4_5324 Depth=2
	v_cmp_lt_u64_e32 vcc, s[58:59], v[10:11]
	v_add_u32_e32 v8, 7, v28
	v_cndmask_b32_e32 v8, v26, v8, vcc
	v_cndmask_b32_e64 v26, 0, 1, vcc
	v_lshrrev_b64 v[10:11], v26, v[10:11]
; %bb.5905:                             ;   in Loop: Header=BB4_5324 Depth=2
	s_andn2_saveexec_b64 s[20:21], s[20:21]
; %bb.5906:                             ;   in Loop: Header=BB4_5324 Depth=2
	v_bfe_u32 v8, v10, 23, 1
; %bb.5907:                             ;   in Loop: Header=BB4_5324 Depth=2
	s_or_b64 exec, exec, s[20:21]
	v_lshrrev_b64 v[10:11], 20, v[10:11]
	v_cmp_gt_i32_e32 vcc, 16, v8
	v_cndmask_b32_e32 v11, 0, v11, vcc
	v_cndmask_b32_e32 v10, 7, v10, vcc
	v_cmp_eq_u32_e32 vcc, 0, v8
	v_min_i32_e32 v8, 15, v8
	v_cmp_eq_u64_e64 s[20:21], 0, v[10:11]
	v_lshlrev_b32_e32 v8, 3, v8
	v_and_b32_e32 v8, 0xf8, v8
	v_and_or_b32 v8, v10, 7, v8
	s_and_b64 s[20:21], vcc, s[20:21]
	v_cndmask_b32_e64 v8, v8, 0, s[20:21]
	v_or_b32_e32 v8, v8, v24
.LBB4_5908:                             ;   in Loop: Header=BB4_5324 Depth=2
	s_or_b64 exec, exec, s[92:93]
                                        ; implicit-def: $vgpr24
.LBB4_5909:                             ;   in Loop: Header=BB4_5324 Depth=2
	s_andn2_saveexec_b64 s[20:21], s[90:91]
; %bb.5910:                             ;   in Loop: Header=BB4_5324 Depth=2
	v_or_b32_e32 v8, 0x7e, v24
; %bb.5911:                             ;   in Loop: Header=BB4_5324 Depth=2
	s_or_b64 exec, exec, s[20:21]
                                        ; implicit-def: $vgpr10
.LBB4_5912:                             ;   in Loop: Header=BB4_5324 Depth=2
	s_andn2_saveexec_b64 s[20:21], s[88:89]
; %bb.5913:                             ;   in Loop: Header=BB4_5324 Depth=2
	v_or_b32_sdwa v8, v10, s39 dst_sel:DWORD dst_unused:UNUSED_PAD src0_sel:BYTE_3 src1_sel:DWORD
; %bb.5914:                             ;   in Loop: Header=BB4_5324 Depth=2
	s_or_b64 exec, exec, s[20:21]
	v_lshrrev_b16_e32 v10, 8, v21
	v_cmp_ne_u16_e32 vcc, 0, v10
	v_mov_b32_e32 v24, 0
	s_and_saveexec_b64 s[20:21], vcc
	s_cbranch_execz .LBB4_5920
; %bb.5915:                             ;   in Loop: Header=BB4_5324 Depth=2
	v_cmp_ne_u16_e32 vcc, s50, v10
	v_bfrev_b32_e32 v24, 1
	s_and_saveexec_b64 s[88:89], vcc
	s_cbranch_execz .LBB4_5919
; %bb.5916:                             ;   in Loop: Header=BB4_5324 Depth=2
	v_and_b32_e32 v11, 0x7f, v10
	v_cmp_ne_u32_e32 vcc, s39, v11
	v_mov_b32_e32 v24, 0x7f800001
	s_and_saveexec_b64 s[90:91], vcc
	s_cbranch_execz .LBB4_5918
; %bb.5917:                             ;   in Loop: Header=BB4_5324 Depth=2
	v_and_b32_e32 v24, 7, v10
	v_lshrrev_b32_e32 v26, 3, v11
	v_cmp_gt_u32_e32 vcc, 8, v11
	v_ffbh_u32_e32 v11, v24
	v_min_u32_e32 v28, 32, v11
	v_subrev_u32_e32 v11, 28, v28
	v_lshlrev_b64 v[10:11], v11, v[10:11]
	v_sub_u32_e32 v11, 29, v28
	v_and_b32_e32 v10, 7, v10
	v_cndmask_b32_e32 v11, v26, v11, vcc
	v_cndmask_b32_e32 v10, v24, v10, vcc
	v_lshlrev_b32_e32 v21, 16, v21
	v_lshlrev_b32_e32 v10, 20, v10
	v_and_b32_e32 v21, 0x80000000, v21
	v_lshl_add_u32 v11, v11, 23, v58
	v_or3_b32 v24, v21, v11, v10
.LBB4_5918:                             ;   in Loop: Header=BB4_5324 Depth=2
	s_or_b64 exec, exec, s[90:91]
.LBB4_5919:                             ;   in Loop: Header=BB4_5324 Depth=2
	s_or_b64 exec, exec, s[88:89]
.LBB4_5920:                             ;   in Loop: Header=BB4_5324 Depth=2
	s_or_b64 exec, exec, s[20:21]
	v_lshrrev_b16_e32 v10, 8, v12
	v_cmp_lt_i16_e32 vcc, s39, v10
	s_mov_b64 s[20:21], 0
	s_and_saveexec_b64 s[88:89], vcc
	s_xor_b64 s[88:89], exec, s[88:89]
	s_cbranch_execnz .LBB4_6116
; %bb.5921:                             ;   in Loop: Header=BB4_5324 Depth=2
	s_or_saveexec_b64 s[88:89], s[88:89]
	v_bfrev_b32_e32 v11, 1
	s_xor_b64 exec, exec, s[88:89]
	s_cbranch_execnz .LBB4_6119
.LBB4_5922:                             ;   in Loop: Header=BB4_5324 Depth=2
	s_or_b64 exec, exec, s[88:89]
	s_and_saveexec_b64 s[88:89], s[20:21]
	s_cbranch_execz .LBB4_5924
.LBB4_5923:                             ;   in Loop: Header=BB4_5324 Depth=2
	v_and_b32_e32 v21, 7, v10
	v_ffbh_u32_e32 v28, v21
	v_min_u32_e32 v32, 32, v28
	v_mov_b32_e32 v11, v35
	v_subrev_u32_e32 v28, 28, v32
	v_lshlrev_b64 v[28:29], v28, v[10:11]
	v_and_b32_e32 v26, 0x7f, v10
	v_bfe_u32 v31, v10, 3, 4
	v_sub_u32_e32 v11, 29, v32
	v_and_b32_e32 v28, 7, v28
	v_cmp_gt_u32_e32 vcc, 8, v26
	v_cndmask_b32_e32 v11, v31, v11, vcc
	v_cndmask_b32_e32 v21, v21, v28, vcc
	v_lshlrev_b32_e32 v10, 24, v10
	v_lshlrev_b32_e32 v21, 20, v21
	v_and_b32_e32 v10, 0x80000000, v10
	v_lshl_add_u32 v11, v11, 23, v58
	v_or3_b32 v10, v10, v11, v21
	v_cmp_ne_u32_e32 vcc, s39, v26
	v_cndmask_b32_e32 v11, v42, v10, vcc
.LBB4_5924:                             ;   in Loop: Header=BB4_5324 Depth=2
	s_or_b64 exec, exec, s[88:89]
	v_add_f32_e32 v10, v24, v11
	v_and_b32_e32 v28, 0x7f800000, v10
	v_mov_b32_e32 v29, v35
	v_cmp_ne_u64_e32 vcc, s[46:47], v[28:29]
                                        ; implicit-def: $vgpr21
	s_and_saveexec_b64 s[20:21], vcc
	s_xor_b64 s[88:89], exec, s[20:21]
	s_cbranch_execz .LBB4_5938
; %bb.5925:                             ;   in Loop: Header=BB4_5324 Depth=2
	v_and_b32_e32 v28, 0x7fffffff, v10
	v_mov_b32_e32 v29, v35
	v_cmp_gt_u64_e32 vcc, s[56:57], v[28:29]
	v_and_b32_sdwa v24, v10, s50 dst_sel:DWORD dst_unused:UNUSED_PAD src0_sel:BYTE_3 src1_sel:DWORD
                                        ; implicit-def: $vgpr21
	s_and_saveexec_b64 s[20:21], vcc
	s_xor_b64 s[90:91], exec, s[20:21]
	s_cbranch_execz .LBB4_5935
; %bb.5926:                             ;   in Loop: Header=BB4_5324 Depth=2
	v_mov_b32_e32 v21, 0
	v_cmp_ne_u32_e32 vcc, 0, v10
	s_and_saveexec_b64 s[92:93], vcc
	s_cbranch_execz .LBB4_5934
; %bb.5927:                             ;   in Loop: Header=BB4_5324 Depth=2
	v_bfe_u32 v21, v10, 23, 8
	v_and_b32_e32 v11, 0x7fffff, v10
	v_cmp_gt_u32_e64 s[20:21], s51, v21
	v_sub_u32_e32 v10, 0x79, v21
	v_cmp_eq_u32_e32 vcc, 0, v21
	v_cndmask_b32_e64 v10, 0, v10, s[20:21]
	v_or_b32_e32 v28, 0x800000, v11
	v_cndmask_b32_e32 v26, v10, v59, vcc
	v_cndmask_b32_e32 v10, v28, v11, vcc
	v_add_u32_e32 v28, 20, v26
	v_lshlrev_b64 v[28:29], v28, -1
	v_mov_b32_e32 v11, v35
	v_add_u32_e32 v31, 19, v26
	v_bfi_b32 v28, v28, 0, v10
	v_lshlrev_b64 v[31:32], v31, 1
	v_lshrrev_b64 v[10:11], v26, v[10:11]
	v_bfi_b32 v29, v29, 0, 0
	v_cmp_eq_u64_e64 s[20:21], v[28:29], v[31:32]
	v_mov_b32_e32 v55, v11
	v_mov_b32_e32 v54, v10
	s_and_saveexec_b64 s[94:95], s[20:21]
; %bb.5928:                             ;   in Loop: Header=BB4_5324 Depth=2
	v_bfe_u32 v11, v10, 20, 1
	v_add_co_u32_e64 v11, s[20:21], v10, v11
	v_add_co_u32_e64 v54, s[20:21], -1, v11
; %bb.5929:                             ;   in Loop: Header=BB4_5324 Depth=2
	s_or_b64 exec, exec, s[94:95]
	v_add_u32_e32 v11, 0xffffff81, v21
	v_cndmask_b32_e32 v11, v11, v60, vcc
	v_lshrrev_b32_e32 v21, 23, v10
	v_add3_u32 v28, v26, v11, v21
	v_add_u32_e32 v26, 6, v28
	v_and_b32_e32 v11, 0xfffff, v54
	v_add_u32_e32 v10, v11, v10
	v_mov_b32_e32 v11, v35
	v_cmp_ne_u32_e32 vcc, 0, v26
                                        ; implicit-def: $vgpr21
	s_and_saveexec_b64 s[20:21], vcc
	s_xor_b64 s[20:21], exec, s[20:21]
; %bb.5930:                             ;   in Loop: Header=BB4_5324 Depth=2
	v_cmp_lt_u64_e32 vcc, s[58:59], v[10:11]
	v_add_u32_e32 v21, 7, v28
	v_cndmask_b32_e32 v21, v26, v21, vcc
	v_cndmask_b32_e64 v26, 0, 1, vcc
	v_lshrrev_b64 v[10:11], v26, v[10:11]
; %bb.5931:                             ;   in Loop: Header=BB4_5324 Depth=2
	s_andn2_saveexec_b64 s[20:21], s[20:21]
; %bb.5932:                             ;   in Loop: Header=BB4_5324 Depth=2
	v_bfe_u32 v21, v10, 23, 1
; %bb.5933:                             ;   in Loop: Header=BB4_5324 Depth=2
	s_or_b64 exec, exec, s[20:21]
	v_lshrrev_b64 v[10:11], 20, v[10:11]
	v_cmp_gt_i32_e32 vcc, 16, v21
	v_cndmask_b32_e32 v11, 0, v11, vcc
	v_cndmask_b32_e32 v10, 7, v10, vcc
	v_cmp_eq_u64_e64 s[20:21], 0, v[10:11]
	v_min_i32_e32 v11, 15, v21
	v_lshlrev_b32_e32 v11, 3, v11
	v_cmp_eq_u32_e32 vcc, 0, v21
	v_and_b32_e32 v11, 0xf8, v11
	v_and_or_b32 v10, v10, 7, v11
	s_and_b64 s[20:21], vcc, s[20:21]
	v_cndmask_b32_e64 v10, v10, 0, s[20:21]
	v_or_b32_e32 v21, v10, v24
.LBB4_5934:                             ;   in Loop: Header=BB4_5324 Depth=2
	s_or_b64 exec, exec, s[92:93]
                                        ; implicit-def: $vgpr24
.LBB4_5935:                             ;   in Loop: Header=BB4_5324 Depth=2
	s_andn2_saveexec_b64 s[20:21], s[90:91]
; %bb.5936:                             ;   in Loop: Header=BB4_5324 Depth=2
	v_or_b32_e32 v21, 0x7e, v24
; %bb.5937:                             ;   in Loop: Header=BB4_5324 Depth=2
	s_or_b64 exec, exec, s[20:21]
                                        ; implicit-def: $vgpr10
.LBB4_5938:                             ;   in Loop: Header=BB4_5324 Depth=2
	s_andn2_saveexec_b64 s[20:21], s[88:89]
; %bb.5939:                             ;   in Loop: Header=BB4_5324 Depth=2
	v_or_b32_sdwa v21, v10, s39 dst_sel:DWORD dst_unused:UNUSED_PAD src0_sel:BYTE_3 src1_sel:DWORD
; %bb.5940:                             ;   in Loop: Header=BB4_5324 Depth=2
	s_or_b64 exec, exec, s[20:21]
	v_lshrrev_b32_e32 v10, 16, v34
	v_cmp_ne_u16_sdwa s[88:89], v10, v35 src0_sel:BYTE_0 src1_sel:DWORD
	v_mov_b32_e32 v11, 0
	s_and_saveexec_b64 s[20:21], s[88:89]
	s_cbranch_execz .LBB4_5946
; %bb.5941:                             ;   in Loop: Header=BB4_5324 Depth=2
	v_cmp_ne_u16_sdwa s[90:91], v10, s50 src0_sel:BYTE_0 src1_sel:DWORD
	v_bfrev_b32_e32 v11, 1
	s_and_saveexec_b64 s[88:89], s[90:91]
	s_cbranch_execz .LBB4_5945
; %bb.5942:                             ;   in Loop: Header=BB4_5324 Depth=2
	v_bfe_u32 v24, v34, 16, 7
	v_cmp_ne_u32_e32 vcc, s39, v24
	v_mov_b32_e32 v11, 0x7f800001
	s_and_saveexec_b64 s[90:91], vcc
	s_cbranch_execz .LBB4_5944
; %bb.5943:                             ;   in Loop: Header=BB4_5324 Depth=2
	v_and_b32_e32 v11, 7, v10
	v_lshrrev_b32_e32 v26, 3, v24
	v_cmp_gt_u32_e32 vcc, 8, v24
	v_ffbh_u32_e32 v24, v11
	v_min_u32_e32 v24, 32, v24
	v_subrev_u32_e32 v28, 28, v24
	v_lshlrev_b64 v[28:29], v28, v[10:11]
	v_sub_u32_e32 v24, 29, v24
	v_and_b32_e32 v28, 7, v28
	v_cndmask_b32_e32 v24, v26, v24, vcc
	v_cndmask_b32_e32 v11, v11, v28, vcc
	v_lshlrev_b32_e32 v10, 24, v10
	v_lshlrev_b32_e32 v11, 20, v11
	v_and_b32_e32 v10, 0x80000000, v10
	v_lshl_add_u32 v24, v24, 23, v58
	v_or3_b32 v11, v10, v24, v11
.LBB4_5944:                             ;   in Loop: Header=BB4_5324 Depth=2
	s_or_b64 exec, exec, s[90:91]
.LBB4_5945:                             ;   in Loop: Header=BB4_5324 Depth=2
	s_or_b64 exec, exec, s[88:89]
.LBB4_5946:                             ;   in Loop: Header=BB4_5324 Depth=2
	s_or_b64 exec, exec, s[20:21]
	v_lshrrev_b32_e32 v10, 16, v12
	v_cmp_gt_i16_sdwa s[88:89], v10, s39 src0_sel:BYTE_0 src1_sel:DWORD
	s_mov_b64 s[20:21], 0
	s_and_saveexec_b64 s[90:91], s[88:89]
	s_xor_b64 s[88:89], exec, s[90:91]
	s_cbranch_execnz .LBB4_6120
; %bb.5947:                             ;   in Loop: Header=BB4_5324 Depth=2
	s_or_saveexec_b64 s[88:89], s[88:89]
	v_bfrev_b32_e32 v24, 1
	s_xor_b64 exec, exec, s[88:89]
	s_cbranch_execnz .LBB4_6123
.LBB4_5948:                             ;   in Loop: Header=BB4_5324 Depth=2
	s_or_b64 exec, exec, s[88:89]
	s_and_saveexec_b64 s[88:89], s[20:21]
	s_cbranch_execz .LBB4_5950
.LBB4_5949:                             ;   in Loop: Header=BB4_5324 Depth=2
	v_and_b32_e32 v24, 7, v10
	v_ffbh_u32_e32 v28, v24
	v_min_u32_e32 v32, 32, v28
	v_subrev_u32_e32 v28, 28, v32
	v_lshlrev_b64 v[28:29], v28, v[10:11]
	v_and_b32_e32 v26, 0x7f, v10
	v_bfe_u32 v31, v10, 3, 4
	v_sub_u32_e32 v29, 29, v32
	v_and_b32_e32 v28, 7, v28
	v_cmp_gt_u32_e32 vcc, 8, v26
	v_cndmask_b32_e32 v29, v31, v29, vcc
	v_cndmask_b32_e32 v24, v24, v28, vcc
	v_lshlrev_b32_e32 v10, 24, v10
	v_lshlrev_b32_e32 v24, 20, v24
	v_and_b32_e32 v10, 0x80000000, v10
	v_lshl_add_u32 v28, v29, 23, v58
	v_or3_b32 v10, v10, v28, v24
	v_cmp_ne_u32_e32 vcc, s39, v26
	v_cndmask_b32_e32 v24, v42, v10, vcc
.LBB4_5950:                             ;   in Loop: Header=BB4_5324 Depth=2
	s_or_b64 exec, exec, s[88:89]
	v_add_f32_e32 v10, v11, v24
	v_and_b32_e32 v28, 0x7f800000, v10
	v_mov_b32_e32 v29, v35
	v_cmp_ne_u64_e32 vcc, s[46:47], v[28:29]
                                        ; implicit-def: $vgpr24
	s_and_saveexec_b64 s[20:21], vcc
	s_xor_b64 s[88:89], exec, s[20:21]
	s_cbranch_execz .LBB4_5964
; %bb.5951:                             ;   in Loop: Header=BB4_5324 Depth=2
	v_and_b32_e32 v28, 0x7fffffff, v10
	v_mov_b32_e32 v29, v35
	v_cmp_gt_u64_e32 vcc, s[56:57], v[28:29]
	v_and_b32_sdwa v26, v10, s50 dst_sel:DWORD dst_unused:UNUSED_PAD src0_sel:BYTE_3 src1_sel:DWORD
                                        ; implicit-def: $vgpr24
	s_and_saveexec_b64 s[20:21], vcc
	s_xor_b64 s[90:91], exec, s[20:21]
	s_cbranch_execz .LBB4_5961
; %bb.5952:                             ;   in Loop: Header=BB4_5324 Depth=2
	v_mov_b32_e32 v24, 0
	v_cmp_ne_u32_e32 vcc, 0, v10
	s_and_saveexec_b64 s[92:93], vcc
	s_cbranch_execz .LBB4_5960
; %bb.5953:                             ;   in Loop: Header=BB4_5324 Depth=2
	v_bfe_u32 v24, v10, 23, 8
	v_and_b32_e32 v11, 0x7fffff, v10
	v_cmp_gt_u32_e64 s[20:21], s51, v24
	v_sub_u32_e32 v10, 0x79, v24
	v_cmp_eq_u32_e32 vcc, 0, v24
	v_cndmask_b32_e64 v10, 0, v10, s[20:21]
	v_or_b32_e32 v29, 0x800000, v11
	v_cndmask_b32_e32 v28, v10, v59, vcc
	v_cndmask_b32_e32 v10, v29, v11, vcc
	v_add_u32_e32 v29, 20, v28
	v_lshlrev_b64 v[31:32], v29, -1
	v_mov_b32_e32 v11, v35
	v_add_u32_e32 v29, 19, v28
	v_bfi_b32 v31, v31, 0, v10
	v_lshlrev_b64 v[48:49], v29, 1
	v_lshrrev_b64 v[10:11], v28, v[10:11]
	v_bfi_b32 v32, v32, 0, 0
	v_cmp_eq_u64_e64 s[20:21], v[31:32], v[48:49]
	v_mov_b32_e32 v55, v11
	v_mov_b32_e32 v54, v10
	s_and_saveexec_b64 s[94:95], s[20:21]
; %bb.5954:                             ;   in Loop: Header=BB4_5324 Depth=2
	v_bfe_u32 v11, v10, 20, 1
	v_add_co_u32_e64 v11, s[20:21], v10, v11
	v_add_co_u32_e64 v54, s[20:21], -1, v11
; %bb.5955:                             ;   in Loop: Header=BB4_5324 Depth=2
	s_or_b64 exec, exec, s[94:95]
	v_add_u32_e32 v11, 0xffffff81, v24
	v_cndmask_b32_e32 v11, v11, v60, vcc
	v_lshrrev_b32_e32 v24, 23, v10
	v_add3_u32 v29, v28, v11, v24
	v_add_u32_e32 v28, 6, v29
	v_and_b32_e32 v11, 0xfffff, v54
	v_add_u32_e32 v10, v11, v10
	v_mov_b32_e32 v11, v35
	v_cmp_ne_u32_e32 vcc, 0, v28
                                        ; implicit-def: $vgpr24
	s_and_saveexec_b64 s[20:21], vcc
	s_xor_b64 s[20:21], exec, s[20:21]
; %bb.5956:                             ;   in Loop: Header=BB4_5324 Depth=2
	v_cmp_lt_u64_e32 vcc, s[58:59], v[10:11]
	v_add_u32_e32 v24, 7, v29
	v_cndmask_b32_e32 v24, v28, v24, vcc
	v_cndmask_b32_e64 v28, 0, 1, vcc
	v_lshrrev_b64 v[10:11], v28, v[10:11]
; %bb.5957:                             ;   in Loop: Header=BB4_5324 Depth=2
	s_andn2_saveexec_b64 s[20:21], s[20:21]
; %bb.5958:                             ;   in Loop: Header=BB4_5324 Depth=2
	v_bfe_u32 v24, v10, 23, 1
; %bb.5959:                             ;   in Loop: Header=BB4_5324 Depth=2
	s_or_b64 exec, exec, s[20:21]
	v_lshrrev_b64 v[10:11], 20, v[10:11]
	v_cmp_gt_i32_e32 vcc, 16, v24
	v_cndmask_b32_e32 v11, 0, v11, vcc
	v_cndmask_b32_e32 v10, 7, v10, vcc
	v_cmp_eq_u64_e64 s[20:21], 0, v[10:11]
	v_min_i32_e32 v11, 15, v24
	v_lshlrev_b32_e32 v11, 3, v11
	v_cmp_eq_u32_e32 vcc, 0, v24
	v_and_b32_e32 v11, 0xf8, v11
	v_and_or_b32 v10, v10, 7, v11
	s_and_b64 s[20:21], vcc, s[20:21]
	v_cndmask_b32_e64 v10, v10, 0, s[20:21]
	v_or_b32_e32 v24, v10, v26
.LBB4_5960:                             ;   in Loop: Header=BB4_5324 Depth=2
	s_or_b64 exec, exec, s[92:93]
                                        ; implicit-def: $vgpr26
.LBB4_5961:                             ;   in Loop: Header=BB4_5324 Depth=2
	s_andn2_saveexec_b64 s[20:21], s[90:91]
; %bb.5962:                             ;   in Loop: Header=BB4_5324 Depth=2
	v_or_b32_e32 v24, 0x7e, v26
; %bb.5963:                             ;   in Loop: Header=BB4_5324 Depth=2
	s_or_b64 exec, exec, s[20:21]
                                        ; implicit-def: $vgpr10
.LBB4_5964:                             ;   in Loop: Header=BB4_5324 Depth=2
	s_andn2_saveexec_b64 s[20:21], s[88:89]
; %bb.5965:                             ;   in Loop: Header=BB4_5324 Depth=2
	v_or_b32_sdwa v24, v10, s39 dst_sel:DWORD dst_unused:UNUSED_PAD src0_sel:BYTE_3 src1_sel:DWORD
; %bb.5966:                             ;   in Loop: Header=BB4_5324 Depth=2
	s_or_b64 exec, exec, s[20:21]
	v_cmp_lt_u32_e32 vcc, s61, v34
	v_mov_b32_e32 v11, 0
	s_and_saveexec_b64 s[20:21], vcc
	s_cbranch_execz .LBB4_5972
; %bb.5967:                             ;   in Loop: Header=BB4_5324 Depth=2
	v_lshrrev_b32_e32 v10, 24, v34
	v_cmp_ne_u32_sdwa s[90:91], v34, s50 src0_sel:BYTE_3 src1_sel:DWORD
	v_bfrev_b32_e32 v11, 1
	s_and_saveexec_b64 s[88:89], s[90:91]
	s_cbranch_execz .LBB4_5971
; %bb.5968:                             ;   in Loop: Header=BB4_5324 Depth=2
	v_bfe_u32 v26, v34, 24, 7
	v_cmp_ne_u32_e32 vcc, s39, v26
	v_mov_b32_e32 v11, 0x7f800001
	s_and_saveexec_b64 s[90:91], vcc
	s_cbranch_execz .LBB4_5970
; %bb.5969:                             ;   in Loop: Header=BB4_5324 Depth=2
	v_and_b32_e32 v28, 7, v10
	v_ffbh_u32_e32 v11, v28
	v_lshrrev_b32_e32 v29, 3, v26
	v_cmp_gt_u32_e32 vcc, 8, v26
	v_min_u32_e32 v26, 32, v11
	v_subrev_u32_e32 v11, 28, v26
	v_lshlrev_b64 v[10:11], v11, v[10:11]
	v_sub_u32_e32 v11, 29, v26
	v_and_b32_e32 v10, 7, v10
	v_mov_b32_e32 v26, 24
	v_cndmask_b32_e32 v11, v29, v11, vcc
	v_cndmask_b32_e32 v10, v28, v10, vcc
	v_lshlrev_b32_sdwa v26, v26, v34 dst_sel:DWORD dst_unused:UNUSED_PAD src0_sel:DWORD src1_sel:BYTE_3
	v_lshlrev_b32_e32 v10, 20, v10
	v_and_b32_e32 v26, 0x80000000, v26
	v_lshl_add_u32 v11, v11, 23, v58
	v_or3_b32 v11, v26, v11, v10
.LBB4_5970:                             ;   in Loop: Header=BB4_5324 Depth=2
	s_or_b64 exec, exec, s[90:91]
.LBB4_5971:                             ;   in Loop: Header=BB4_5324 Depth=2
	s_or_b64 exec, exec, s[88:89]
.LBB4_5972:                             ;   in Loop: Header=BB4_5324 Depth=2
	s_or_b64 exec, exec, s[20:21]
	v_bfe_u32 v26, v12, 24, 3
	v_ffbh_u32_e32 v28, v26
	v_min_u32_e32 v33, 32, v28
	v_lshrrev_b32_e32 v10, 24, v12
	v_subrev_u32_e32 v28, 28, v33
	v_lshlrev_b64 v[28:29], v28, v[10:11]
	v_bfe_u32 v31, v12, 24, 7
	v_bfe_u32 v32, v10, 3, 4
	v_sub_u32_e32 v29, 29, v33
	v_and_b32_e32 v28, 7, v28
	v_cmp_gt_u32_e32 vcc, 8, v31
	v_cndmask_b32_e32 v29, v32, v29, vcc
	v_cndmask_b32_e32 v26, v26, v28, vcc
	v_lshlrev_b32_e32 v26, 20, v26
	v_and_b32_e32 v28, 0x80000000, v12
	v_lshl_add_u32 v29, v29, 23, v58
	v_or3_b32 v26, v28, v29, v26
	v_cmp_ne_u32_e32 vcc, s39, v31
	v_cndmask_b32_e32 v26, v42, v26, vcc
	v_cmp_ne_u32_e32 vcc, s50, v10
	v_cndmask_b32_e32 v10, v43, v26, vcc
	v_cmp_lt_u32_e32 vcc, s61, v12
	v_cndmask_b32_e32 v10, 0, v10, vcc
	v_add_f32_e32 v10, v10, v11
	v_and_b32_e32 v34, 0x7f800000, v10
	v_cmp_ne_u64_e32 vcc, s[46:47], v[34:35]
                                        ; implicit-def: $vgpr26
	s_and_saveexec_b64 s[20:21], vcc
	s_xor_b64 s[88:89], exec, s[20:21]
	s_cbranch_execz .LBB4_5986
; %bb.5973:                             ;   in Loop: Header=BB4_5324 Depth=2
	v_and_b32_e32 v34, 0x7fffffff, v10
	v_cmp_gt_u64_e32 vcc, s[56:57], v[34:35]
	v_and_b32_sdwa v28, v10, s50 dst_sel:DWORD dst_unused:UNUSED_PAD src0_sel:BYTE_3 src1_sel:DWORD
                                        ; implicit-def: $vgpr26
	s_and_saveexec_b64 s[20:21], vcc
	s_xor_b64 s[90:91], exec, s[20:21]
	s_cbranch_execz .LBB4_5983
; %bb.5974:                             ;   in Loop: Header=BB4_5324 Depth=2
	v_mov_b32_e32 v26, 0
	v_cmp_ne_u32_e32 vcc, 0, v10
	s_and_saveexec_b64 s[92:93], vcc
	s_cbranch_execz .LBB4_5982
; %bb.5975:                             ;   in Loop: Header=BB4_5324 Depth=2
	v_bfe_u32 v26, v10, 23, 8
	v_and_b32_e32 v11, 0x7fffff, v10
	v_cmp_gt_u32_e64 s[20:21], s51, v26
	v_sub_u32_e32 v10, 0x79, v26
	v_cmp_eq_u32_e32 vcc, 0, v26
	v_cndmask_b32_e64 v10, 0, v10, s[20:21]
	v_cndmask_b32_e32 v29, v10, v59, vcc
	v_or_b32_e32 v31, 0x800000, v11
	v_add_u32_e32 v10, 20, v29
	v_cndmask_b32_e32 v34, v31, v11, vcc
	v_lshlrev_b64 v[10:11], v10, -1
	v_add_u32_e32 v31, 19, v29
	v_lshlrev_b64 v[31:32], v31, 1
	v_bfi_b32 v11, v11, 0, 0
	v_bfi_b32 v10, v10, 0, v34
	v_cmp_eq_u64_e64 s[20:21], v[10:11], v[31:32]
	v_lshrrev_b64 v[10:11], v29, v[34:35]
	v_mov_b32_e32 v55, v11
	v_mov_b32_e32 v54, v10
	s_and_saveexec_b64 s[94:95], s[20:21]
; %bb.5976:                             ;   in Loop: Header=BB4_5324 Depth=2
	v_bfe_u32 v11, v10, 20, 1
	v_add_co_u32_e64 v11, s[20:21], v10, v11
	v_add_co_u32_e64 v54, s[20:21], -1, v11
; %bb.5977:                             ;   in Loop: Header=BB4_5324 Depth=2
	s_or_b64 exec, exec, s[94:95]
	v_add_u32_e32 v11, 0xffffff81, v26
	v_cndmask_b32_e32 v11, v11, v60, vcc
	v_lshrrev_b32_e32 v26, 23, v10
	v_add3_u32 v31, v29, v11, v26
	v_add_u32_e32 v29, 6, v31
	v_and_b32_e32 v11, 0xfffff, v54
	v_add_u32_e32 v34, v11, v10
	v_cmp_ne_u32_e32 vcc, 0, v29
                                        ; implicit-def: $vgpr10_vgpr11
                                        ; implicit-def: $vgpr26
	s_and_saveexec_b64 s[20:21], vcc
	s_xor_b64 s[20:21], exec, s[20:21]
; %bb.5978:                             ;   in Loop: Header=BB4_5324 Depth=2
	v_cmp_lt_u64_e32 vcc, s[58:59], v[34:35]
	v_add_u32_e32 v10, 7, v31
	v_cndmask_b32_e32 v26, v29, v10, vcc
	v_cndmask_b32_e64 v10, 0, 1, vcc
	v_lshrrev_b64 v[10:11], v10, v[34:35]
; %bb.5979:                             ;   in Loop: Header=BB4_5324 Depth=2
	s_andn2_saveexec_b64 s[20:21], s[20:21]
; %bb.5980:                             ;   in Loop: Header=BB4_5324 Depth=2
	v_mov_b32_e32 v10, v34
	v_bfe_u32 v26, v34, 23, 1
	v_mov_b32_e32 v11, v35
; %bb.5981:                             ;   in Loop: Header=BB4_5324 Depth=2
	s_or_b64 exec, exec, s[20:21]
	v_lshrrev_b64 v[10:11], 20, v[10:11]
	v_cmp_gt_i32_e32 vcc, 16, v26
	v_cndmask_b32_e32 v11, 0, v11, vcc
	v_cndmask_b32_e32 v10, 7, v10, vcc
	v_cmp_eq_u64_e64 s[20:21], 0, v[10:11]
	v_min_i32_e32 v11, 15, v26
	v_lshlrev_b32_e32 v11, 3, v11
	v_cmp_eq_u32_e32 vcc, 0, v26
	v_and_b32_e32 v11, 0xf8, v11
	v_and_or_b32 v10, v10, 7, v11
	s_and_b64 s[20:21], vcc, s[20:21]
	v_cndmask_b32_e64 v10, v10, 0, s[20:21]
	v_or_b32_e32 v26, v10, v28
.LBB4_5982:                             ;   in Loop: Header=BB4_5324 Depth=2
	s_or_b64 exec, exec, s[92:93]
                                        ; implicit-def: $vgpr28
.LBB4_5983:                             ;   in Loop: Header=BB4_5324 Depth=2
	s_andn2_saveexec_b64 s[20:21], s[90:91]
; %bb.5984:                             ;   in Loop: Header=BB4_5324 Depth=2
	v_or_b32_e32 v26, 0x7e, v28
; %bb.5985:                             ;   in Loop: Header=BB4_5324 Depth=2
	s_or_b64 exec, exec, s[20:21]
                                        ; implicit-def: $vgpr10
.LBB4_5986:                             ;   in Loop: Header=BB4_5324 Depth=2
	s_andn2_saveexec_b64 s[20:21], s[88:89]
; %bb.5987:                             ;   in Loop: Header=BB4_5324 Depth=2
	v_or_b32_sdwa v26, v10, s39 dst_sel:DWORD dst_unused:UNUSED_PAD src0_sel:BYTE_3 src1_sel:DWORD
; %bb.5988:                             ;   in Loop: Header=BB4_5324 Depth=2
	s_or_b64 exec, exec, s[20:21]
	v_lshlrev_b32_e32 v10, 24, v22
	v_lshlrev_b32_e32 v11, 16, v19
	v_lshl_or_b32 v9, v9, 8, v6
	v_or3_b32 v34, v11, v10, v9
	v_cmp_ne_u32_e32 vcc, 0, v6
	v_mov_b32_e32 v19, 0
	s_and_saveexec_b64 s[20:21], vcc
	s_cbranch_execz .LBB4_5994
; %bb.5989:                             ;   in Loop: Header=BB4_5324 Depth=2
	v_cmp_ne_u32_e32 vcc, s50, v6
	v_bfrev_b32_e32 v19, 1
	s_and_saveexec_b64 s[88:89], vcc
	s_cbranch_execz .LBB4_5993
; %bb.5990:                             ;   in Loop: Header=BB4_5324 Depth=2
	v_and_b32_e32 v10, 0x7f, v6
	v_cmp_ne_u32_e32 vcc, s39, v10
	v_mov_b32_e32 v19, 0x7f800001
	s_and_saveexec_b64 s[90:91], vcc
	s_cbranch_execz .LBB4_5992
; %bb.5991:                             ;   in Loop: Header=BB4_5324 Depth=2
	v_and_b32_e32 v6, 7, v6
	v_ffbh_u32_e32 v6, v6
	v_min_u32_e32 v6, 32, v6
	v_lshrrev_b32_e32 v11, 3, v10
	v_cmp_gt_u32_e32 vcc, 8, v10
	v_subrev_u32_e32 v10, 28, v6
	v_sub_u32_e32 v6, 29, v6
	v_cndmask_b32_e32 v10, 0, v10, vcc
	v_cndmask_b32_e32 v6, v11, v6, vcc
	v_lshlrev_b64 v[10:11], v10, v[34:35]
	v_lshlrev_b32_e32 v11, 24, v34
	v_lshlrev_b32_e32 v10, 20, v10
	v_and_b32_e32 v10, 0x700000, v10
	v_and_b32_e32 v11, 0x80000000, v11
	v_lshl_add_u32 v6, v6, 23, v58
	v_or3_b32 v19, v11, v6, v10
.LBB4_5992:                             ;   in Loop: Header=BB4_5324 Depth=2
	s_or_b64 exec, exec, s[90:91]
.LBB4_5993:                             ;   in Loop: Header=BB4_5324 Depth=2
	s_or_b64 exec, exec, s[88:89]
.LBB4_5994:                             ;   in Loop: Header=BB4_5324 Depth=2
	s_or_b64 exec, exec, s[20:21]
	v_cmp_gt_i16_sdwa s[88:89], v13, s39 src0_sel:BYTE_0 src1_sel:DWORD
	s_mov_b64 s[20:21], 0
	s_and_saveexec_b64 s[90:91], s[88:89]
	s_xor_b64 s[88:89], exec, s[90:91]
	s_cbranch_execz .LBB4_5998
; %bb.5995:                             ;   in Loop: Header=BB4_5324 Depth=2
	v_cmp_eq_u16_sdwa s[92:93], v13, s50 src0_sel:BYTE_0 src1_sel:DWORD
	s_mov_b64 s[20:21], -1
	s_and_saveexec_b64 s[90:91], s[92:93]
; %bb.5996:                             ;   in Loop: Header=BB4_5324 Depth=2
	s_xor_b64 s[20:21], exec, -1
; %bb.5997:                             ;   in Loop: Header=BB4_5324 Depth=2
	s_or_b64 exec, exec, s[90:91]
	s_and_b64 s[20:21], s[20:21], exec
.LBB4_5998:                             ;   in Loop: Header=BB4_5324 Depth=2
	s_or_saveexec_b64 s[88:89], s[88:89]
	v_bfrev_b32_e32 v6, 1
	s_xor_b64 exec, exec, s[88:89]
; %bb.5999:                             ;   in Loop: Header=BB4_5324 Depth=2
	v_cmp_ne_u16_sdwa s[90:91], v13, v35 src0_sel:BYTE_0 src1_sel:DWORD
	s_andn2_b64 s[20:21], s[20:21], exec
	s_and_b64 s[90:91], s[90:91], exec
	v_mov_b32_e32 v6, 0
	s_or_b64 s[20:21], s[20:21], s[90:91]
; %bb.6000:                             ;   in Loop: Header=BB4_5324 Depth=2
	s_or_b64 exec, exec, s[88:89]
	v_mov_b32_e32 v10, v13
	v_mov_b32_e32 v11, v35
	s_and_saveexec_b64 s[88:89], s[20:21]
	s_cbranch_execz .LBB4_6002
; %bb.6001:                             ;   in Loop: Header=BB4_5324 Depth=2
	v_and_b32_e32 v6, 7, v13
	v_ffbh_u32_e32 v6, v6
	v_and_b32_e32 v22, 0x7f, v13
	v_min_u32_e32 v6, 32, v6
	v_bfe_u32 v28, v13, 3, 4
	v_subrev_u32_e32 v29, 28, v6
	v_sub_u32_e32 v6, 29, v6
	v_cmp_gt_u32_e32 vcc, 8, v22
	v_cndmask_b32_e32 v6, v28, v6, vcc
	v_cndmask_b32_e32 v28, 0, v29, vcc
	v_lshlrev_b64 v[28:29], v28, v[10:11]
	v_lshl_add_u32 v6, v6, 23, v58
	v_lshlrev_b32_e32 v11, 20, v28
	v_lshlrev_b32_e32 v28, 24, v10
	v_and_b32_e32 v11, 0x700000, v11
	v_and_b32_e32 v28, 0x80000000, v28
	v_or3_b32 v6, v28, v6, v11
	v_cmp_ne_u32_e32 vcc, s39, v22
	v_cndmask_b32_e32 v6, v42, v6, vcc
.LBB4_6002:                             ;   in Loop: Header=BB4_5324 Depth=2
	s_or_b64 exec, exec, s[88:89]
	v_add_f32_e32 v19, v19, v6
	v_and_b32_e32 v28, 0x7f800000, v19
	v_mov_b32_e32 v29, v35
	v_cmp_ne_u64_e32 vcc, s[46:47], v[28:29]
                                        ; implicit-def: $vgpr6
	s_and_saveexec_b64 s[20:21], vcc
	s_xor_b64 s[88:89], exec, s[20:21]
	s_cbranch_execz .LBB4_6016
; %bb.6003:                             ;   in Loop: Header=BB4_5324 Depth=2
	v_and_b32_e32 v28, 0x7fffffff, v19
	v_mov_b32_e32 v29, v35
	v_cmp_gt_u64_e32 vcc, s[56:57], v[28:29]
	v_and_b32_sdwa v11, v19, s50 dst_sel:DWORD dst_unused:UNUSED_PAD src0_sel:BYTE_3 src1_sel:DWORD
                                        ; implicit-def: $vgpr6
	s_and_saveexec_b64 s[20:21], vcc
	s_xor_b64 s[90:91], exec, s[20:21]
	s_cbranch_execz .LBB4_6013
; %bb.6004:                             ;   in Loop: Header=BB4_5324 Depth=2
	v_mov_b32_e32 v6, 0
	v_cmp_ne_u32_e32 vcc, 0, v19
	s_and_saveexec_b64 s[92:93], vcc
	s_cbranch_execz .LBB4_6012
; %bb.6005:                             ;   in Loop: Header=BB4_5324 Depth=2
	v_bfe_u32 v6, v19, 23, 8
	v_and_b32_e32 v22, 0x7fffff, v19
	v_cmp_gt_u32_e64 s[20:21], s51, v6
	v_sub_u32_e32 v19, 0x79, v6
	v_cmp_eq_u32_e32 vcc, 0, v6
	v_cndmask_b32_e64 v19, 0, v19, s[20:21]
	v_or_b32_e32 v28, 0x800000, v22
	v_cndmask_b32_e32 v19, v19, v59, vcc
	v_cndmask_b32_e32 v28, v28, v22, vcc
	v_add_u32_e32 v22, 20, v19
	v_lshlrev_b64 v[31:32], v22, -1
	v_add_u32_e32 v22, 19, v19
	v_mov_b32_e32 v29, v35
	v_lshlrev_b64 v[48:49], v22, 1
	v_bfi_b32 v32, v32, 0, 0
	v_bfi_b32 v31, v31, 0, v28
	v_lshrrev_b64 v[54:55], v19, v[28:29]
	v_cmp_eq_u64_e64 s[20:21], v[31:32], v[48:49]
	v_mov_b32_e32 v39, v54
	v_mov_b32_e32 v40, v55
	s_and_saveexec_b64 s[94:95], s[20:21]
; %bb.6006:                             ;   in Loop: Header=BB4_5324 Depth=2
	v_bfe_u32 v22, v54, 20, 1
	v_add_co_u32_e64 v22, s[20:21], v54, v22
	v_add_co_u32_e64 v39, s[20:21], -1, v22
; %bb.6007:                             ;   in Loop: Header=BB4_5324 Depth=2
	s_or_b64 exec, exec, s[94:95]
	v_add_u32_e32 v6, 0xffffff81, v6
	v_cndmask_b32_e32 v6, v6, v60, vcc
	v_lshrrev_b32_e32 v22, 23, v54
	v_add3_u32 v22, v19, v6, v22
	v_add_u32_e32 v19, 6, v22
	v_and_b32_e32 v6, 0xfffff, v39
	v_add_u32_e32 v54, v6, v54
	v_mov_b32_e32 v55, v35
	v_cmp_ne_u32_e32 vcc, 0, v19
                                        ; implicit-def: $vgpr6
	s_and_saveexec_b64 s[20:21], vcc
	s_xor_b64 s[20:21], exec, s[20:21]
; %bb.6008:                             ;   in Loop: Header=BB4_5324 Depth=2
	v_cmp_lt_u64_e32 vcc, s[58:59], v[54:55]
	v_add_u32_e32 v6, 7, v22
	v_cndmask_b32_e32 v6, v19, v6, vcc
	v_cndmask_b32_e64 v19, 0, 1, vcc
	v_lshrrev_b64 v[54:55], v19, v[54:55]
; %bb.6009:                             ;   in Loop: Header=BB4_5324 Depth=2
	s_andn2_saveexec_b64 s[20:21], s[20:21]
; %bb.6010:                             ;   in Loop: Header=BB4_5324 Depth=2
	v_bfe_u32 v6, v54, 23, 1
; %bb.6011:                             ;   in Loop: Header=BB4_5324 Depth=2
	s_or_b64 exec, exec, s[20:21]
	v_lshrrev_b64 v[28:29], 20, v[54:55]
	v_cmp_gt_i32_e32 vcc, 16, v6
	v_cndmask_b32_e32 v29, 0, v29, vcc
	v_cndmask_b32_e32 v28, 7, v28, vcc
	v_cmp_eq_u32_e32 vcc, 0, v6
	v_min_i32_e32 v6, 15, v6
	v_cmp_eq_u64_e64 s[20:21], 0, v[28:29]
	v_lshlrev_b32_e32 v6, 3, v6
	v_and_b32_e32 v6, 0xf8, v6
	v_and_or_b32 v6, v28, 7, v6
	s_and_b64 s[20:21], vcc, s[20:21]
	v_cndmask_b32_e64 v6, v6, 0, s[20:21]
	v_or_b32_e32 v6, v6, v11
.LBB4_6012:                             ;   in Loop: Header=BB4_5324 Depth=2
	s_or_b64 exec, exec, s[92:93]
                                        ; implicit-def: $vgpr11
.LBB4_6013:                             ;   in Loop: Header=BB4_5324 Depth=2
	s_andn2_saveexec_b64 s[20:21], s[90:91]
; %bb.6014:                             ;   in Loop: Header=BB4_5324 Depth=2
	v_or_b32_e32 v6, 0x7e, v11
; %bb.6015:                             ;   in Loop: Header=BB4_5324 Depth=2
	s_or_b64 exec, exec, s[20:21]
                                        ; implicit-def: $vgpr19
.LBB4_6016:                             ;   in Loop: Header=BB4_5324 Depth=2
	s_andn2_saveexec_b64 s[20:21], s[88:89]
; %bb.6017:                             ;   in Loop: Header=BB4_5324 Depth=2
	v_or_b32_sdwa v6, v19, s39 dst_sel:DWORD dst_unused:UNUSED_PAD src0_sel:BYTE_3 src1_sel:DWORD
; %bb.6018:                             ;   in Loop: Header=BB4_5324 Depth=2
	s_or_b64 exec, exec, s[20:21]
	v_lshrrev_b16_e32 v11, 8, v9
	v_cmp_ne_u16_e32 vcc, 0, v11
	v_mov_b32_e32 v19, 0
	s_and_saveexec_b64 s[20:21], vcc
	s_cbranch_execz .LBB4_6024
; %bb.6019:                             ;   in Loop: Header=BB4_5324 Depth=2
	v_cmp_ne_u16_e32 vcc, s50, v11
	v_bfrev_b32_e32 v19, 1
	s_and_saveexec_b64 s[88:89], vcc
	s_cbranch_execz .LBB4_6023
; %bb.6020:                             ;   in Loop: Header=BB4_5324 Depth=2
	v_and_b32_e32 v22, 0x7f, v11
	v_cmp_ne_u32_e32 vcc, s39, v22
	v_mov_b32_e32 v19, 0x7f800001
	s_and_saveexec_b64 s[90:91], vcc
	s_cbranch_execz .LBB4_6022
; %bb.6021:                             ;   in Loop: Header=BB4_5324 Depth=2
	v_and_b32_e32 v19, 7, v11
	v_lshrrev_b32_e32 v31, 3, v22
	v_cmp_gt_u32_e32 vcc, 8, v22
	v_ffbh_u32_e32 v22, v19
	v_min_u32_e32 v22, 32, v22
	v_subrev_u32_e32 v28, 28, v22
	v_lshlrev_b64 v[28:29], v28, v[11:12]
	v_sub_u32_e32 v11, 29, v22
	v_and_b32_e32 v22, 7, v28
	v_cndmask_b32_e32 v11, v31, v11, vcc
	v_cndmask_b32_e32 v19, v19, v22, vcc
	v_lshlrev_b32_e32 v9, 16, v9
	v_lshlrev_b32_e32 v19, 20, v19
	v_and_b32_e32 v9, 0x80000000, v9
	v_lshl_add_u32 v11, v11, 23, v58
	v_or3_b32 v19, v9, v11, v19
.LBB4_6022:                             ;   in Loop: Header=BB4_5324 Depth=2
	s_or_b64 exec, exec, s[90:91]
.LBB4_6023:                             ;   in Loop: Header=BB4_5324 Depth=2
	s_or_b64 exec, exec, s[88:89]
.LBB4_6024:                             ;   in Loop: Header=BB4_5324 Depth=2
	s_or_b64 exec, exec, s[20:21]
	v_lshrrev_b16_e32 v10, 8, v10
	v_cmp_lt_i16_e32 vcc, s39, v10
	s_mov_b64 s[20:21], 0
	s_and_saveexec_b64 s[88:89], vcc
	s_xor_b64 s[88:89], exec, s[88:89]
	s_cbranch_execnz .LBB4_6124
; %bb.6025:                             ;   in Loop: Header=BB4_5324 Depth=2
	s_or_saveexec_b64 s[88:89], s[88:89]
	v_bfrev_b32_e32 v9, 1
	s_xor_b64 exec, exec, s[88:89]
	s_cbranch_execnz .LBB4_6127
.LBB4_6026:                             ;   in Loop: Header=BB4_5324 Depth=2
	s_or_b64 exec, exec, s[88:89]
	s_and_saveexec_b64 s[88:89], s[20:21]
	s_cbranch_execz .LBB4_6028
.LBB4_6027:                             ;   in Loop: Header=BB4_5324 Depth=2
	v_and_b32_e32 v9, 7, v10
	v_ffbh_u32_e32 v28, v9
	v_min_u32_e32 v32, 32, v28
	v_mov_b32_e32 v11, v35
	v_subrev_u32_e32 v28, 28, v32
	v_lshlrev_b64 v[28:29], v28, v[10:11]
	v_and_b32_e32 v22, 0x7f, v10
	v_bfe_u32 v31, v10, 3, 4
	v_sub_u32_e32 v11, 29, v32
	v_and_b32_e32 v28, 7, v28
	v_cmp_gt_u32_e32 vcc, 8, v22
	v_cndmask_b32_e32 v11, v31, v11, vcc
	v_cndmask_b32_e32 v9, v9, v28, vcc
	v_lshlrev_b32_e32 v10, 24, v10
	v_lshlrev_b32_e32 v9, 20, v9
	v_and_b32_e32 v10, 0x80000000, v10
	v_lshl_add_u32 v11, v11, 23, v58
	v_or3_b32 v9, v10, v11, v9
	v_cmp_ne_u32_e32 vcc, s39, v22
	v_cndmask_b32_e32 v9, v42, v9, vcc
.LBB4_6028:                             ;   in Loop: Header=BB4_5324 Depth=2
	s_or_b64 exec, exec, s[88:89]
	v_add_f32_e32 v10, v19, v9
	v_and_b32_e32 v28, 0x7f800000, v10
	v_mov_b32_e32 v29, v35
	v_cmp_ne_u64_e32 vcc, s[46:47], v[28:29]
                                        ; implicit-def: $vgpr9
	s_and_saveexec_b64 s[20:21], vcc
	s_xor_b64 s[88:89], exec, s[20:21]
	s_cbranch_execz .LBB4_6042
; %bb.6029:                             ;   in Loop: Header=BB4_5324 Depth=2
	v_and_b32_e32 v28, 0x7fffffff, v10
	v_mov_b32_e32 v29, v35
	v_cmp_gt_u64_e32 vcc, s[56:57], v[28:29]
	v_and_b32_sdwa v19, v10, s50 dst_sel:DWORD dst_unused:UNUSED_PAD src0_sel:BYTE_3 src1_sel:DWORD
                                        ; implicit-def: $vgpr9
	s_and_saveexec_b64 s[20:21], vcc
	s_xor_b64 s[90:91], exec, s[20:21]
	s_cbranch_execz .LBB4_6039
; %bb.6030:                             ;   in Loop: Header=BB4_5324 Depth=2
	v_mov_b32_e32 v9, 0
	v_cmp_ne_u32_e32 vcc, 0, v10
	s_and_saveexec_b64 s[92:93], vcc
	s_cbranch_execz .LBB4_6038
; %bb.6031:                             ;   in Loop: Header=BB4_5324 Depth=2
	v_bfe_u32 v9, v10, 23, 8
	v_and_b32_e32 v11, 0x7fffff, v10
	v_cmp_gt_u32_e64 s[20:21], s51, v9
	v_sub_u32_e32 v10, 0x79, v9
	v_cmp_eq_u32_e32 vcc, 0, v9
	v_cndmask_b32_e64 v10, 0, v10, s[20:21]
	v_or_b32_e32 v28, 0x800000, v11
	v_cndmask_b32_e32 v22, v10, v59, vcc
	v_cndmask_b32_e32 v10, v28, v11, vcc
	v_add_u32_e32 v28, 20, v22
	v_lshlrev_b64 v[28:29], v28, -1
	v_mov_b32_e32 v11, v35
	v_add_u32_e32 v31, 19, v22
	v_bfi_b32 v28, v28, 0, v10
	v_lshlrev_b64 v[31:32], v31, 1
	v_lshrrev_b64 v[10:11], v22, v[10:11]
	v_bfi_b32 v29, v29, 0, 0
	v_cmp_eq_u64_e64 s[20:21], v[28:29], v[31:32]
	v_mov_b32_e32 v55, v11
	v_mov_b32_e32 v54, v10
	s_and_saveexec_b64 s[94:95], s[20:21]
; %bb.6032:                             ;   in Loop: Header=BB4_5324 Depth=2
	v_bfe_u32 v11, v10, 20, 1
	v_add_co_u32_e64 v11, s[20:21], v10, v11
	v_add_co_u32_e64 v54, s[20:21], -1, v11
; %bb.6033:                             ;   in Loop: Header=BB4_5324 Depth=2
	s_or_b64 exec, exec, s[94:95]
	v_add_u32_e32 v9, 0xffffff81, v9
	v_cndmask_b32_e32 v9, v9, v60, vcc
	v_lshrrev_b32_e32 v11, 23, v10
	v_add3_u32 v28, v22, v9, v11
	v_add_u32_e32 v22, 6, v28
	v_and_b32_e32 v9, 0xfffff, v54
	v_add_u32_e32 v10, v9, v10
	v_mov_b32_e32 v11, v35
	v_cmp_ne_u32_e32 vcc, 0, v22
                                        ; implicit-def: $vgpr9
	s_and_saveexec_b64 s[20:21], vcc
	s_xor_b64 s[20:21], exec, s[20:21]
; %bb.6034:                             ;   in Loop: Header=BB4_5324 Depth=2
	v_cmp_lt_u64_e32 vcc, s[58:59], v[10:11]
	v_add_u32_e32 v9, 7, v28
	v_cndmask_b32_e32 v9, v22, v9, vcc
	v_cndmask_b32_e64 v22, 0, 1, vcc
	v_lshrrev_b64 v[10:11], v22, v[10:11]
; %bb.6035:                             ;   in Loop: Header=BB4_5324 Depth=2
	s_andn2_saveexec_b64 s[20:21], s[20:21]
; %bb.6036:                             ;   in Loop: Header=BB4_5324 Depth=2
	v_bfe_u32 v9, v10, 23, 1
; %bb.6037:                             ;   in Loop: Header=BB4_5324 Depth=2
	s_or_b64 exec, exec, s[20:21]
	v_lshrrev_b64 v[10:11], 20, v[10:11]
	v_cmp_gt_i32_e32 vcc, 16, v9
	v_cndmask_b32_e32 v11, 0, v11, vcc
	v_cndmask_b32_e32 v10, 7, v10, vcc
	v_cmp_eq_u32_e32 vcc, 0, v9
	v_min_i32_e32 v9, 15, v9
	v_cmp_eq_u64_e64 s[20:21], 0, v[10:11]
	v_lshlrev_b32_e32 v9, 3, v9
	v_and_b32_e32 v9, 0xf8, v9
	v_and_or_b32 v9, v10, 7, v9
	s_and_b64 s[20:21], vcc, s[20:21]
	v_cndmask_b32_e64 v9, v9, 0, s[20:21]
	v_or_b32_e32 v9, v9, v19
.LBB4_6038:                             ;   in Loop: Header=BB4_5324 Depth=2
	s_or_b64 exec, exec, s[92:93]
                                        ; implicit-def: $vgpr19
.LBB4_6039:                             ;   in Loop: Header=BB4_5324 Depth=2
	s_andn2_saveexec_b64 s[20:21], s[90:91]
; %bb.6040:                             ;   in Loop: Header=BB4_5324 Depth=2
	v_or_b32_e32 v9, 0x7e, v19
; %bb.6041:                             ;   in Loop: Header=BB4_5324 Depth=2
	s_or_b64 exec, exec, s[20:21]
                                        ; implicit-def: $vgpr10
.LBB4_6042:                             ;   in Loop: Header=BB4_5324 Depth=2
	s_andn2_saveexec_b64 s[20:21], s[88:89]
; %bb.6043:                             ;   in Loop: Header=BB4_5324 Depth=2
	v_or_b32_sdwa v9, v10, s39 dst_sel:DWORD dst_unused:UNUSED_PAD src0_sel:BYTE_3 src1_sel:DWORD
; %bb.6044:                             ;   in Loop: Header=BB4_5324 Depth=2
	s_or_b64 exec, exec, s[20:21]
	v_lshrrev_b32_e32 v10, 16, v34
	v_cmp_ne_u16_sdwa s[88:89], v10, v35 src0_sel:BYTE_0 src1_sel:DWORD
	v_mov_b32_e32 v11, 0
	s_and_saveexec_b64 s[20:21], s[88:89]
	s_cbranch_execz .LBB4_6050
; %bb.6045:                             ;   in Loop: Header=BB4_5324 Depth=2
	v_cmp_ne_u16_sdwa s[90:91], v10, s50 src0_sel:BYTE_0 src1_sel:DWORD
	v_bfrev_b32_e32 v11, 1
	s_and_saveexec_b64 s[88:89], s[90:91]
	s_cbranch_execz .LBB4_6049
; %bb.6046:                             ;   in Loop: Header=BB4_5324 Depth=2
	v_bfe_u32 v19, v34, 16, 7
	v_cmp_ne_u32_e32 vcc, s39, v19
	v_mov_b32_e32 v11, 0x7f800001
	s_and_saveexec_b64 s[90:91], vcc
	s_cbranch_execz .LBB4_6048
; %bb.6047:                             ;   in Loop: Header=BB4_5324 Depth=2
	v_and_b32_e32 v11, 7, v10
	v_lshrrev_b32_e32 v22, 3, v19
	v_cmp_gt_u32_e32 vcc, 8, v19
	v_ffbh_u32_e32 v19, v11
	v_min_u32_e32 v19, 32, v19
	v_subrev_u32_e32 v28, 28, v19
	v_lshlrev_b64 v[28:29], v28, v[10:11]
	v_sub_u32_e32 v19, 29, v19
	v_and_b32_e32 v28, 7, v28
	v_cndmask_b32_e32 v19, v22, v19, vcc
	v_cndmask_b32_e32 v11, v11, v28, vcc
	v_lshlrev_b32_e32 v10, 24, v10
	v_lshlrev_b32_e32 v11, 20, v11
	v_and_b32_e32 v10, 0x80000000, v10
	v_lshl_add_u32 v19, v19, 23, v58
	v_or3_b32 v11, v10, v19, v11
.LBB4_6048:                             ;   in Loop: Header=BB4_5324 Depth=2
	s_or_b64 exec, exec, s[90:91]
.LBB4_6049:                             ;   in Loop: Header=BB4_5324 Depth=2
	s_or_b64 exec, exec, s[88:89]
.LBB4_6050:                             ;   in Loop: Header=BB4_5324 Depth=2
	s_or_b64 exec, exec, s[20:21]
	v_lshrrev_b32_e32 v10, 16, v13
	v_cmp_gt_i16_sdwa s[88:89], v10, s39 src0_sel:BYTE_0 src1_sel:DWORD
	s_mov_b64 s[20:21], 0
	s_and_saveexec_b64 s[90:91], s[88:89]
	s_xor_b64 s[88:89], exec, s[90:91]
	s_cbranch_execnz .LBB4_6128
; %bb.6051:                             ;   in Loop: Header=BB4_5324 Depth=2
	s_or_saveexec_b64 s[88:89], s[88:89]
	v_bfrev_b32_e32 v19, 1
	s_xor_b64 exec, exec, s[88:89]
	s_cbranch_execnz .LBB4_6131
.LBB4_6052:                             ;   in Loop: Header=BB4_5324 Depth=2
	s_or_b64 exec, exec, s[88:89]
	s_and_saveexec_b64 s[88:89], s[20:21]
	s_cbranch_execz .LBB4_6054
.LBB4_6053:                             ;   in Loop: Header=BB4_5324 Depth=2
	v_and_b32_e32 v19, 7, v10
	v_ffbh_u32_e32 v28, v19
	v_min_u32_e32 v32, 32, v28
	v_subrev_u32_e32 v28, 28, v32
	v_lshlrev_b64 v[28:29], v28, v[10:11]
	v_and_b32_e32 v22, 0x7f, v10
	v_bfe_u32 v31, v10, 3, 4
	v_sub_u32_e32 v29, 29, v32
	v_and_b32_e32 v28, 7, v28
	v_cmp_gt_u32_e32 vcc, 8, v22
	v_cndmask_b32_e32 v29, v31, v29, vcc
	v_cndmask_b32_e32 v19, v19, v28, vcc
	v_lshlrev_b32_e32 v10, 24, v10
	v_lshlrev_b32_e32 v19, 20, v19
	v_and_b32_e32 v10, 0x80000000, v10
	v_lshl_add_u32 v28, v29, 23, v58
	v_or3_b32 v10, v10, v28, v19
	v_cmp_ne_u32_e32 vcc, s39, v22
	v_cndmask_b32_e32 v19, v42, v10, vcc
.LBB4_6054:                             ;   in Loop: Header=BB4_5324 Depth=2
	s_or_b64 exec, exec, s[88:89]
	v_add_f32_e32 v10, v11, v19
	v_and_b32_e32 v28, 0x7f800000, v10
	v_mov_b32_e32 v29, v35
	v_cmp_ne_u64_e32 vcc, s[46:47], v[28:29]
                                        ; implicit-def: $vgpr19
	s_and_saveexec_b64 s[20:21], vcc
	s_xor_b64 s[88:89], exec, s[20:21]
	s_cbranch_execz .LBB4_6068
; %bb.6055:                             ;   in Loop: Header=BB4_5324 Depth=2
	v_and_b32_e32 v28, 0x7fffffff, v10
	v_mov_b32_e32 v29, v35
	v_cmp_gt_u64_e32 vcc, s[56:57], v[28:29]
	v_and_b32_sdwa v22, v10, s50 dst_sel:DWORD dst_unused:UNUSED_PAD src0_sel:BYTE_3 src1_sel:DWORD
                                        ; implicit-def: $vgpr19
	s_and_saveexec_b64 s[20:21], vcc
	s_xor_b64 s[90:91], exec, s[20:21]
	s_cbranch_execz .LBB4_6065
; %bb.6056:                             ;   in Loop: Header=BB4_5324 Depth=2
	v_mov_b32_e32 v19, 0
	v_cmp_ne_u32_e32 vcc, 0, v10
	s_and_saveexec_b64 s[92:93], vcc
	s_cbranch_execz .LBB4_6064
; %bb.6057:                             ;   in Loop: Header=BB4_5324 Depth=2
	v_bfe_u32 v19, v10, 23, 8
	v_and_b32_e32 v11, 0x7fffff, v10
	v_cmp_gt_u32_e64 s[20:21], s51, v19
	v_sub_u32_e32 v10, 0x79, v19
	v_cmp_eq_u32_e32 vcc, 0, v19
	v_cndmask_b32_e64 v10, 0, v10, s[20:21]
	v_or_b32_e32 v29, 0x800000, v11
	v_cndmask_b32_e32 v28, v10, v59, vcc
	v_cndmask_b32_e32 v10, v29, v11, vcc
	v_add_u32_e32 v29, 20, v28
	v_lshlrev_b64 v[31:32], v29, -1
	v_mov_b32_e32 v11, v35
	v_add_u32_e32 v29, 19, v28
	v_bfi_b32 v31, v31, 0, v10
	v_lshlrev_b64 v[48:49], v29, 1
	v_lshrrev_b64 v[10:11], v28, v[10:11]
	v_bfi_b32 v32, v32, 0, 0
	v_cmp_eq_u64_e64 s[20:21], v[31:32], v[48:49]
	v_mov_b32_e32 v55, v11
	v_mov_b32_e32 v54, v10
	s_and_saveexec_b64 s[94:95], s[20:21]
; %bb.6058:                             ;   in Loop: Header=BB4_5324 Depth=2
	v_bfe_u32 v11, v10, 20, 1
	v_add_co_u32_e64 v11, s[20:21], v10, v11
	v_add_co_u32_e64 v54, s[20:21], -1, v11
; %bb.6059:                             ;   in Loop: Header=BB4_5324 Depth=2
	s_or_b64 exec, exec, s[94:95]
	v_add_u32_e32 v11, 0xffffff81, v19
	v_cndmask_b32_e32 v11, v11, v60, vcc
	v_lshrrev_b32_e32 v19, 23, v10
	v_add3_u32 v29, v28, v11, v19
	v_add_u32_e32 v28, 6, v29
	v_and_b32_e32 v11, 0xfffff, v54
	v_add_u32_e32 v10, v11, v10
	v_mov_b32_e32 v11, v35
	v_cmp_ne_u32_e32 vcc, 0, v28
                                        ; implicit-def: $vgpr19
	s_and_saveexec_b64 s[20:21], vcc
	s_xor_b64 s[20:21], exec, s[20:21]
; %bb.6060:                             ;   in Loop: Header=BB4_5324 Depth=2
	v_cmp_lt_u64_e32 vcc, s[58:59], v[10:11]
	v_add_u32_e32 v19, 7, v29
	v_cndmask_b32_e32 v19, v28, v19, vcc
	v_cndmask_b32_e64 v28, 0, 1, vcc
	v_lshrrev_b64 v[10:11], v28, v[10:11]
; %bb.6061:                             ;   in Loop: Header=BB4_5324 Depth=2
	s_andn2_saveexec_b64 s[20:21], s[20:21]
; %bb.6062:                             ;   in Loop: Header=BB4_5324 Depth=2
	v_bfe_u32 v19, v10, 23, 1
; %bb.6063:                             ;   in Loop: Header=BB4_5324 Depth=2
	s_or_b64 exec, exec, s[20:21]
	v_lshrrev_b64 v[10:11], 20, v[10:11]
	v_cmp_gt_i32_e32 vcc, 16, v19
	v_cndmask_b32_e32 v11, 0, v11, vcc
	v_cndmask_b32_e32 v10, 7, v10, vcc
	v_cmp_eq_u64_e64 s[20:21], 0, v[10:11]
	v_min_i32_e32 v11, 15, v19
	v_lshlrev_b32_e32 v11, 3, v11
	v_cmp_eq_u32_e32 vcc, 0, v19
	v_and_b32_e32 v11, 0xf8, v11
	v_and_or_b32 v10, v10, 7, v11
	s_and_b64 s[20:21], vcc, s[20:21]
	v_cndmask_b32_e64 v10, v10, 0, s[20:21]
	v_or_b32_e32 v19, v10, v22
.LBB4_6064:                             ;   in Loop: Header=BB4_5324 Depth=2
	s_or_b64 exec, exec, s[92:93]
                                        ; implicit-def: $vgpr22
.LBB4_6065:                             ;   in Loop: Header=BB4_5324 Depth=2
	s_andn2_saveexec_b64 s[20:21], s[90:91]
; %bb.6066:                             ;   in Loop: Header=BB4_5324 Depth=2
	v_or_b32_e32 v19, 0x7e, v22
; %bb.6067:                             ;   in Loop: Header=BB4_5324 Depth=2
	s_or_b64 exec, exec, s[20:21]
                                        ; implicit-def: $vgpr10
.LBB4_6068:                             ;   in Loop: Header=BB4_5324 Depth=2
	s_andn2_saveexec_b64 s[20:21], s[88:89]
; %bb.6069:                             ;   in Loop: Header=BB4_5324 Depth=2
	v_or_b32_sdwa v19, v10, s39 dst_sel:DWORD dst_unused:UNUSED_PAD src0_sel:BYTE_3 src1_sel:DWORD
; %bb.6070:                             ;   in Loop: Header=BB4_5324 Depth=2
	s_or_b64 exec, exec, s[20:21]
	v_cmp_lt_u32_e32 vcc, s61, v34
	v_mov_b32_e32 v11, 0
	s_and_saveexec_b64 s[20:21], vcc
	s_cbranch_execz .LBB4_6076
; %bb.6071:                             ;   in Loop: Header=BB4_5324 Depth=2
	v_lshrrev_b32_e32 v10, 24, v34
	v_cmp_ne_u32_sdwa s[90:91], v34, s50 src0_sel:BYTE_3 src1_sel:DWORD
	v_bfrev_b32_e32 v11, 1
	s_and_saveexec_b64 s[88:89], s[90:91]
	s_cbranch_execz .LBB4_6075
; %bb.6072:                             ;   in Loop: Header=BB4_5324 Depth=2
	v_bfe_u32 v22, v34, 24, 7
	v_cmp_ne_u32_e32 vcc, s39, v22
	v_mov_b32_e32 v11, 0x7f800001
	s_and_saveexec_b64 s[90:91], vcc
	s_cbranch_execz .LBB4_6074
; %bb.6073:                             ;   in Loop: Header=BB4_5324 Depth=2
	v_and_b32_e32 v28, 7, v10
	v_ffbh_u32_e32 v11, v28
	v_lshrrev_b32_e32 v29, 3, v22
	v_cmp_gt_u32_e32 vcc, 8, v22
	v_min_u32_e32 v22, 32, v11
	v_subrev_u32_e32 v11, 28, v22
	v_lshlrev_b64 v[10:11], v11, v[10:11]
	v_sub_u32_e32 v11, 29, v22
	v_and_b32_e32 v10, 7, v10
	v_mov_b32_e32 v22, 24
	v_cndmask_b32_e32 v11, v29, v11, vcc
	v_cndmask_b32_e32 v10, v28, v10, vcc
	v_lshlrev_b32_sdwa v22, v22, v34 dst_sel:DWORD dst_unused:UNUSED_PAD src0_sel:DWORD src1_sel:BYTE_3
	v_lshlrev_b32_e32 v10, 20, v10
	v_and_b32_e32 v22, 0x80000000, v22
	v_lshl_add_u32 v11, v11, 23, v58
	v_or3_b32 v11, v22, v11, v10
.LBB4_6074:                             ;   in Loop: Header=BB4_5324 Depth=2
	s_or_b64 exec, exec, s[90:91]
.LBB4_6075:                             ;   in Loop: Header=BB4_5324 Depth=2
	s_or_b64 exec, exec, s[88:89]
.LBB4_6076:                             ;   in Loop: Header=BB4_5324 Depth=2
	s_or_b64 exec, exec, s[20:21]
	v_bfe_u32 v22, v13, 24, 3
	v_ffbh_u32_e32 v28, v22
	v_min_u32_e32 v33, 32, v28
	v_lshrrev_b32_e32 v10, 24, v13
	v_subrev_u32_e32 v28, 28, v33
	v_lshlrev_b64 v[28:29], v28, v[10:11]
	v_bfe_u32 v31, v13, 24, 7
	v_bfe_u32 v32, v10, 3, 4
	v_sub_u32_e32 v29, 29, v33
	v_and_b32_e32 v28, 7, v28
	v_cmp_gt_u32_e32 vcc, 8, v31
	v_cndmask_b32_e32 v29, v32, v29, vcc
	v_cndmask_b32_e32 v22, v22, v28, vcc
	v_lshlrev_b32_e32 v22, 20, v22
	v_and_b32_e32 v28, 0x80000000, v13
	v_lshl_add_u32 v29, v29, 23, v58
	v_or3_b32 v22, v28, v29, v22
	v_cmp_ne_u32_e32 vcc, s39, v31
	v_cndmask_b32_e32 v22, v42, v22, vcc
	v_cmp_ne_u32_e32 vcc, s50, v10
	v_cndmask_b32_e32 v10, v43, v22, vcc
	v_cmp_lt_u64_e32 vcc, s[60:61], v[12:13]
	v_cndmask_b32_e32 v10, 0, v10, vcc
	v_add_f32_e32 v11, v10, v11
	v_and_b32_e32 v34, 0x7f800000, v11
	v_cmp_ne_u64_e32 vcc, s[46:47], v[34:35]
                                        ; implicit-def: $vgpr10
	s_and_saveexec_b64 s[20:21], vcc
	s_xor_b64 s[88:89], exec, s[20:21]
	s_cbranch_execz .LBB4_6090
; %bb.6077:                             ;   in Loop: Header=BB4_5324 Depth=2
	v_and_b32_e32 v34, 0x7fffffff, v11
	v_cmp_gt_u64_e32 vcc, s[56:57], v[34:35]
	v_and_b32_sdwa v13, v11, s50 dst_sel:DWORD dst_unused:UNUSED_PAD src0_sel:BYTE_3 src1_sel:DWORD
                                        ; implicit-def: $vgpr10
	s_and_saveexec_b64 s[20:21], vcc
	s_xor_b64 s[90:91], exec, s[20:21]
	s_cbranch_execz .LBB4_6087
; %bb.6078:                             ;   in Loop: Header=BB4_5324 Depth=2
	v_mov_b32_e32 v10, 0
	v_cmp_ne_u32_e32 vcc, 0, v11
	s_and_saveexec_b64 s[92:93], vcc
	s_cbranch_execz .LBB4_6086
; %bb.6079:                             ;   in Loop: Header=BB4_5324 Depth=2
	v_bfe_u32 v22, v11, 23, 8
	v_and_b32_e32 v10, 0x7fffff, v11
	v_cmp_gt_u32_e64 s[20:21], s51, v22
	v_sub_u32_e32 v11, 0x79, v22
	v_cmp_eq_u32_e32 vcc, 0, v22
	v_cndmask_b32_e64 v11, 0, v11, s[20:21]
	v_or_b32_e32 v12, 0x800000, v10
	v_cndmask_b32_e32 v28, v11, v59, vcc
	v_cndmask_b32_e32 v34, v12, v10, vcc
	v_add_u32_e32 v10, 20, v28
	v_lshlrev_b64 v[10:11], v10, -1
	v_add_u32_e32 v12, 19, v28
	v_lshlrev_b64 v[31:32], v12, 1
	v_bfi_b32 v11, v11, 0, 0
	v_bfi_b32 v10, v10, 0, v34
	v_cmp_eq_u64_e64 s[20:21], v[10:11], v[31:32]
	v_lshrrev_b64 v[10:11], v28, v[34:35]
	v_mov_b32_e32 v12, v11
	v_mov_b32_e32 v11, v10
	s_and_saveexec_b64 s[94:95], s[20:21]
; %bb.6080:                             ;   in Loop: Header=BB4_5324 Depth=2
	v_bfe_u32 v11, v10, 20, 1
	v_add_co_u32_e64 v11, s[20:21], v10, v11
	v_add_co_u32_e64 v11, s[20:21], -1, v11
; %bb.6081:                             ;   in Loop: Header=BB4_5324 Depth=2
	s_or_b64 exec, exec, s[94:95]
	v_add_u32_e32 v12, 0xffffff81, v22
	v_cndmask_b32_e32 v12, v12, v60, vcc
	v_lshrrev_b32_e32 v22, 23, v10
	v_add3_u32 v28, v28, v12, v22
	v_add_u32_e32 v22, 6, v28
	v_and_b32_e32 v11, 0xfffff, v11
	v_add_u32_e32 v34, v11, v10
	v_cmp_ne_u32_e32 vcc, 0, v22
                                        ; implicit-def: $vgpr10_vgpr11
                                        ; implicit-def: $vgpr12
	s_and_saveexec_b64 s[20:21], vcc
	s_xor_b64 s[20:21], exec, s[20:21]
; %bb.6082:                             ;   in Loop: Header=BB4_5324 Depth=2
	v_cmp_lt_u64_e32 vcc, s[58:59], v[34:35]
	v_add_u32_e32 v10, 7, v28
	v_cndmask_b32_e32 v12, v22, v10, vcc
	v_cndmask_b32_e64 v10, 0, 1, vcc
	v_lshrrev_b64 v[10:11], v10, v[34:35]
; %bb.6083:                             ;   in Loop: Header=BB4_5324 Depth=2
	s_andn2_saveexec_b64 s[20:21], s[20:21]
; %bb.6084:                             ;   in Loop: Header=BB4_5324 Depth=2
	v_mov_b32_e32 v10, v34
	v_bfe_u32 v12, v34, 23, 1
	v_mov_b32_e32 v11, v35
; %bb.6085:                             ;   in Loop: Header=BB4_5324 Depth=2
	s_or_b64 exec, exec, s[20:21]
	v_lshrrev_b64 v[10:11], 20, v[10:11]
	v_cmp_gt_i32_e32 vcc, 16, v12
	v_cndmask_b32_e32 v11, 0, v11, vcc
	v_cndmask_b32_e32 v10, 7, v10, vcc
	v_cmp_eq_u64_e64 s[20:21], 0, v[10:11]
	v_min_i32_e32 v11, 15, v12
	v_lshlrev_b32_e32 v11, 3, v11
	v_cmp_eq_u32_e32 vcc, 0, v12
	v_and_b32_e32 v11, 0xf8, v11
	v_and_or_b32 v10, v10, 7, v11
	s_and_b64 s[20:21], vcc, s[20:21]
	v_cndmask_b32_e64 v10, v10, 0, s[20:21]
	v_or_b32_e32 v10, v10, v13
.LBB4_6086:                             ;   in Loop: Header=BB4_5324 Depth=2
	s_or_b64 exec, exec, s[92:93]
                                        ; implicit-def: $vgpr13
.LBB4_6087:                             ;   in Loop: Header=BB4_5324 Depth=2
	s_andn2_saveexec_b64 s[20:21], s[90:91]
; %bb.6088:                             ;   in Loop: Header=BB4_5324 Depth=2
	v_or_b32_e32 v10, 0x7e, v13
; %bb.6089:                             ;   in Loop: Header=BB4_5324 Depth=2
	s_or_b64 exec, exec, s[20:21]
                                        ; implicit-def: $vgpr11
.LBB4_6090:                             ;   in Loop: Header=BB4_5324 Depth=2
	s_andn2_saveexec_b64 s[20:21], s[88:89]
	s_cbranch_execz .LBB4_5323
; %bb.6091:                             ;   in Loop: Header=BB4_5324 Depth=2
	v_or_b32_sdwa v10, v11, s39 dst_sel:DWORD dst_unused:UNUSED_PAD src0_sel:BYTE_3 src1_sel:DWORD
	s_branch .LBB4_5323
.LBB4_6092:                             ;   in Loop: Header=BB4_5324 Depth=2
	v_cmp_eq_u16_sdwa s[92:93], v10, s50 src0_sel:BYTE_0 src1_sel:DWORD
	s_mov_b64 s[20:21], -1
	s_and_saveexec_b64 s[90:91], s[92:93]
; %bb.6093:                             ;   in Loop: Header=BB4_5324 Depth=2
	s_xor_b64 s[20:21], exec, -1
; %bb.6094:                             ;   in Loop: Header=BB4_5324 Depth=2
	s_or_b64 exec, exec, s[90:91]
	s_and_b64 s[20:21], s[20:21], exec
	s_or_saveexec_b64 s[88:89], s[88:89]
	v_bfrev_b32_e32 v2, 1
	s_xor_b64 exec, exec, s[88:89]
	s_cbranch_execz .LBB4_5692
.LBB4_6095:                             ;   in Loop: Header=BB4_5324 Depth=2
	v_cmp_ne_u16_sdwa s[90:91], v10, v35 src0_sel:BYTE_0 src1_sel:DWORD
	s_andn2_b64 s[20:21], s[20:21], exec
	s_and_b64 s[90:91], s[90:91], exec
	v_mov_b32_e32 v2, 0
	s_or_b64 s[20:21], s[20:21], s[90:91]
	s_or_b64 exec, exec, s[88:89]
	s_and_saveexec_b64 s[88:89], s[20:21]
	s_cbranch_execnz .LBB4_5693
	s_branch .LBB4_5694
.LBB4_6096:                             ;   in Loop: Header=BB4_5324 Depth=2
	v_cmp_eq_u16_e32 vcc, s50, v54
	s_mov_b64 s[20:21], -1
	s_and_saveexec_b64 s[90:91], vcc
; %bb.6097:                             ;   in Loop: Header=BB4_5324 Depth=2
	s_xor_b64 s[20:21], exec, -1
; %bb.6098:                             ;   in Loop: Header=BB4_5324 Depth=2
	s_or_b64 exec, exec, s[90:91]
	s_and_b64 s[20:21], s[20:21], exec
	s_or_saveexec_b64 s[88:89], s[88:89]
	v_bfrev_b32_e32 v7, 1
	s_xor_b64 exec, exec, s[88:89]
	s_cbranch_execz .LBB4_5718
.LBB4_6099:                             ;   in Loop: Header=BB4_5324 Depth=2
	v_cmp_ne_u16_e32 vcc, 0, v54
	s_andn2_b64 s[20:21], s[20:21], exec
	s_and_b64 s[90:91], vcc, exec
	v_mov_b32_e32 v7, 0
	s_or_b64 s[20:21], s[20:21], s[90:91]
	s_or_b64 exec, exec, s[88:89]
	s_and_saveexec_b64 s[88:89], s[20:21]
	s_cbranch_execnz .LBB4_5719
	s_branch .LBB4_5720
.LBB4_6100:                             ;   in Loop: Header=BB4_5324 Depth=2
	v_cmp_eq_u16_sdwa s[92:93], v30, s50 src0_sel:BYTE_0 src1_sel:DWORD
	s_mov_b64 s[20:21], -1
	s_and_saveexec_b64 s[90:91], s[92:93]
; %bb.6101:                             ;   in Loop: Header=BB4_5324 Depth=2
	s_xor_b64 s[20:21], exec, -1
; %bb.6102:                             ;   in Loop: Header=BB4_5324 Depth=2
	s_or_b64 exec, exec, s[90:91]
	s_and_b64 s[20:21], s[20:21], exec
	s_or_saveexec_b64 s[88:89], s[88:89]
	v_bfrev_b32_e32 v23, 1
	s_xor_b64 exec, exec, s[88:89]
	s_cbranch_execz .LBB4_5744
.LBB4_6103:                             ;   in Loop: Header=BB4_5324 Depth=2
	v_cmp_ne_u16_sdwa s[90:91], v30, v35 src0_sel:BYTE_0 src1_sel:DWORD
	s_andn2_b64 s[20:21], s[20:21], exec
	s_and_b64 s[90:91], s[90:91], exec
	v_mov_b32_e32 v23, 0
	s_or_b64 s[20:21], s[20:21], s[90:91]
	s_or_b64 exec, exec, s[88:89]
	s_and_saveexec_b64 s[88:89], s[20:21]
	s_cbranch_execnz .LBB4_5745
	s_branch .LBB4_5746
.LBB4_6104:                             ;   in Loop: Header=BB4_5324 Depth=2
	v_cmp_eq_u16_e32 vcc, s50, v54
	s_mov_b64 s[20:21], -1
	s_and_saveexec_b64 s[90:91], vcc
; %bb.6105:                             ;   in Loop: Header=BB4_5324 Depth=2
	s_xor_b64 s[20:21], exec, -1
; %bb.6106:                             ;   in Loop: Header=BB4_5324 Depth=2
	s_or_b64 exec, exec, s[90:91]
	s_and_b64 s[20:21], s[20:21], exec
	s_or_saveexec_b64 s[88:89], s[88:89]
	v_bfrev_b32_e32 v25, 1
	s_xor_b64 exec, exec, s[88:89]
	s_cbranch_execz .LBB4_5822
.LBB4_6107:                             ;   in Loop: Header=BB4_5324 Depth=2
	v_cmp_ne_u16_e32 vcc, 0, v54
	s_andn2_b64 s[20:21], s[20:21], exec
	s_and_b64 s[90:91], vcc, exec
	v_mov_b32_e32 v25, 0
	s_or_b64 s[20:21], s[20:21], s[90:91]
	s_or_b64 exec, exec, s[88:89]
	s_and_saveexec_b64 s[88:89], s[20:21]
	s_cbranch_execnz .LBB4_5823
	s_branch .LBB4_5824
.LBB4_6108:                             ;   in Loop: Header=BB4_5324 Depth=2
	v_cmp_eq_u16_sdwa s[92:93], v30, s50 src0_sel:BYTE_0 src1_sel:DWORD
	s_mov_b64 s[20:21], -1
	s_and_saveexec_b64 s[90:91], s[92:93]
; %bb.6109:                             ;   in Loop: Header=BB4_5324 Depth=2
	s_xor_b64 s[20:21], exec, -1
; %bb.6110:                             ;   in Loop: Header=BB4_5324 Depth=2
	s_or_b64 exec, exec, s[90:91]
	s_and_b64 s[20:21], s[20:21], exec
	s_or_saveexec_b64 s[88:89], s[88:89]
	v_bfrev_b32_e32 v28, 1
	s_xor_b64 exec, exec, s[88:89]
	s_cbranch_execz .LBB4_5848
.LBB4_6111:                             ;   in Loop: Header=BB4_5324 Depth=2
	v_cmp_ne_u16_sdwa s[90:91], v30, v35 src0_sel:BYTE_0 src1_sel:DWORD
	s_andn2_b64 s[20:21], s[20:21], exec
	s_and_b64 s[90:91], s[90:91], exec
	v_mov_b32_e32 v28, 0
	s_or_b64 s[20:21], s[20:21], s[90:91]
	s_or_b64 exec, exec, s[88:89]
	s_and_saveexec_b64 s[88:89], s[20:21]
	s_cbranch_execnz .LBB4_5849
	s_branch .LBB4_5850
.LBB4_6112:                             ;   in Loop: Header=BB4_5324 Depth=2
	v_cmp_eq_u16_sdwa s[92:93], v12, s50 src0_sel:BYTE_0 src1_sel:DWORD
	s_mov_b64 s[20:21], -1
	s_and_saveexec_b64 s[90:91], s[92:93]
; %bb.6113:                             ;   in Loop: Header=BB4_5324 Depth=2
	s_xor_b64 s[20:21], exec, -1
; %bb.6114:                             ;   in Loop: Header=BB4_5324 Depth=2
	s_or_b64 exec, exec, s[90:91]
	s_and_b64 s[20:21], s[20:21], exec
	s_or_saveexec_b64 s[88:89], s[88:89]
	v_bfrev_b32_e32 v8, 1
	s_xor_b64 exec, exec, s[88:89]
	s_cbranch_execz .LBB4_5896
.LBB4_6115:                             ;   in Loop: Header=BB4_5324 Depth=2
	v_cmp_ne_u16_sdwa s[90:91], v12, v35 src0_sel:BYTE_0 src1_sel:DWORD
	s_andn2_b64 s[20:21], s[20:21], exec
	s_and_b64 s[90:91], s[90:91], exec
	v_mov_b32_e32 v8, 0
	s_or_b64 s[20:21], s[20:21], s[90:91]
	s_or_b64 exec, exec, s[88:89]
	s_and_saveexec_b64 s[88:89], s[20:21]
	s_cbranch_execnz .LBB4_5897
	s_branch .LBB4_5898
.LBB4_6116:                             ;   in Loop: Header=BB4_5324 Depth=2
	v_cmp_eq_u16_e32 vcc, s50, v10
	s_mov_b64 s[20:21], -1
	s_and_saveexec_b64 s[90:91], vcc
; %bb.6117:                             ;   in Loop: Header=BB4_5324 Depth=2
	s_xor_b64 s[20:21], exec, -1
; %bb.6118:                             ;   in Loop: Header=BB4_5324 Depth=2
	s_or_b64 exec, exec, s[90:91]
	s_and_b64 s[20:21], s[20:21], exec
	s_or_saveexec_b64 s[88:89], s[88:89]
	v_bfrev_b32_e32 v11, 1
	s_xor_b64 exec, exec, s[88:89]
	s_cbranch_execz .LBB4_5922
.LBB4_6119:                             ;   in Loop: Header=BB4_5324 Depth=2
	v_cmp_ne_u16_e32 vcc, 0, v10
	s_andn2_b64 s[20:21], s[20:21], exec
	s_and_b64 s[90:91], vcc, exec
	v_mov_b32_e32 v11, 0
	s_or_b64 s[20:21], s[20:21], s[90:91]
	s_or_b64 exec, exec, s[88:89]
	s_and_saveexec_b64 s[88:89], s[20:21]
	s_cbranch_execnz .LBB4_5923
	s_branch .LBB4_5924
.LBB4_6120:                             ;   in Loop: Header=BB4_5324 Depth=2
	v_cmp_eq_u16_sdwa s[92:93], v10, s50 src0_sel:BYTE_0 src1_sel:DWORD
	s_mov_b64 s[20:21], -1
	s_and_saveexec_b64 s[90:91], s[92:93]
; %bb.6121:                             ;   in Loop: Header=BB4_5324 Depth=2
	s_xor_b64 s[20:21], exec, -1
; %bb.6122:                             ;   in Loop: Header=BB4_5324 Depth=2
	s_or_b64 exec, exec, s[90:91]
	s_and_b64 s[20:21], s[20:21], exec
	s_or_saveexec_b64 s[88:89], s[88:89]
	v_bfrev_b32_e32 v24, 1
	s_xor_b64 exec, exec, s[88:89]
	s_cbranch_execz .LBB4_5948
.LBB4_6123:                             ;   in Loop: Header=BB4_5324 Depth=2
	v_cmp_ne_u16_sdwa s[90:91], v10, v35 src0_sel:BYTE_0 src1_sel:DWORD
	s_andn2_b64 s[20:21], s[20:21], exec
	s_and_b64 s[90:91], s[90:91], exec
	v_mov_b32_e32 v24, 0
	s_or_b64 s[20:21], s[20:21], s[90:91]
	s_or_b64 exec, exec, s[88:89]
	s_and_saveexec_b64 s[88:89], s[20:21]
	s_cbranch_execnz .LBB4_5949
	s_branch .LBB4_5950
.LBB4_6124:                             ;   in Loop: Header=BB4_5324 Depth=2
	v_cmp_eq_u16_e32 vcc, s50, v10
	s_mov_b64 s[20:21], -1
	s_and_saveexec_b64 s[90:91], vcc
; %bb.6125:                             ;   in Loop: Header=BB4_5324 Depth=2
	s_xor_b64 s[20:21], exec, -1
; %bb.6126:                             ;   in Loop: Header=BB4_5324 Depth=2
	s_or_b64 exec, exec, s[90:91]
	s_and_b64 s[20:21], s[20:21], exec
	s_or_saveexec_b64 s[88:89], s[88:89]
	v_bfrev_b32_e32 v9, 1
	s_xor_b64 exec, exec, s[88:89]
	s_cbranch_execz .LBB4_6026
.LBB4_6127:                             ;   in Loop: Header=BB4_5324 Depth=2
	v_cmp_ne_u16_e32 vcc, 0, v10
	s_andn2_b64 s[20:21], s[20:21], exec
	s_and_b64 s[90:91], vcc, exec
	v_mov_b32_e32 v9, 0
	s_or_b64 s[20:21], s[20:21], s[90:91]
	s_or_b64 exec, exec, s[88:89]
	s_and_saveexec_b64 s[88:89], s[20:21]
	s_cbranch_execnz .LBB4_6027
	s_branch .LBB4_6028
.LBB4_6128:                             ;   in Loop: Header=BB4_5324 Depth=2
	v_cmp_eq_u16_sdwa s[92:93], v10, s50 src0_sel:BYTE_0 src1_sel:DWORD
	s_mov_b64 s[20:21], -1
	s_and_saveexec_b64 s[90:91], s[92:93]
; %bb.6129:                             ;   in Loop: Header=BB4_5324 Depth=2
	s_xor_b64 s[20:21], exec, -1
; %bb.6130:                             ;   in Loop: Header=BB4_5324 Depth=2
	s_or_b64 exec, exec, s[90:91]
	s_and_b64 s[20:21], s[20:21], exec
	s_or_saveexec_b64 s[88:89], s[88:89]
	v_bfrev_b32_e32 v19, 1
	s_xor_b64 exec, exec, s[88:89]
	s_cbranch_execz .LBB4_6052
.LBB4_6131:                             ;   in Loop: Header=BB4_5324 Depth=2
	v_cmp_ne_u16_sdwa s[90:91], v10, v35 src0_sel:BYTE_0 src1_sel:DWORD
	s_andn2_b64 s[20:21], s[20:21], exec
	s_and_b64 s[90:91], s[90:91], exec
	v_mov_b32_e32 v19, 0
	s_or_b64 s[20:21], s[20:21], s[90:91]
	s_or_b64 exec, exec, s[88:89]
	s_and_saveexec_b64 s[88:89], s[20:21]
	s_cbranch_execnz .LBB4_6053
	s_branch .LBB4_6054
.LBB4_6132:                             ;   in Loop: Header=BB4_3637 Depth=1
	s_or_b64 exec, exec, s[78:79]
	v_mov_b32_e32 v18, v44
	v_mov_b32_e32 v10, v46
	;; [unrolled: 1-line block ×4, first 2 shown]
.LBB4_6133:                             ;   in Loop: Header=BB4_3637 Depth=1
	s_or_b64 exec, exec, s[76:77]
	buffer_load_dword v5, off, s[0:3], s33 offset:140 ; 4-byte Folded Reload
	v_cmp_lt_i32_e32 vcc, 0, v4
	s_waitcnt vmcnt(0)
	v_and_b32_e32 v2, 15, v5
	v_and_b32_e32 v0, 0x3f0, v5
	v_cndmask_b32_e64 v1, v1, v2, s[18:19]
	v_cndmask_b32_e32 v2, 0, v50, vcc
	v_cndmask_b32_e64 v0, 0, v0, s[18:19]
	v_sub_u32_e32 v2, v2, v4
	v_cmp_ne_u32_e32 vcc, 0, v1
	v_and_or_b32 v0, v5, s53, v0
	v_lshl_add_u32 v3, v2, 6, v3
	s_and_b64 s[18:19], vcc, exec
.LBB4_6134:                             ;   in Loop: Header=BB4_3637 Depth=1
	s_or_b64 exec, exec, s[74:75]
	buffer_load_dword v47, off, s[0:3], s33 offset:148 ; 4-byte Folded Reload
	buffer_load_dword v56, off, s[0:3], s33 offset:156 ; 4-byte Folded Reload
	;; [unrolled: 1-line block ×3, first 2 shown]
.LBB4_6135:                             ;   in Loop: Header=BB4_3637 Depth=1
	s_mov_b64 s[20:21], exec
	buffer_load_dword v46, off, s[0:3], s33 offset:120 ; 4-byte Folded Reload
	s_and_b64 s[18:19], s[20:21], s[18:19]
	s_mov_b64 exec, s[18:19]
	s_cbranch_execz .LBB4_7140
; %bb.6136:                             ;   in Loop: Header=BB4_3637 Depth=1
	s_waitcnt vmcnt(2)
	v_ashrrev_i32_e32 v2, 31, v3
	v_lshrrev_b32_e32 v2, 26, v2
	v_add_u32_e32 v2, v3, v2
	v_ashrrev_i32_e32 v4, 6, v2
	v_lshrrev_b32_e32 v5, 10, v1
	v_sub_u32_e32 v5, v5, v4
	v_cmp_lt_i32_e32 vcc, 0, v5
	s_and_saveexec_b64 s[74:75], vcc
	s_cbranch_execz .LBB4_7073
; %bb.6137:                             ;   in Loop: Header=BB4_3637 Depth=1
	v_and_b32_e32 v2, 0xffffffc0, v2
	v_sub_u32_e32 v2, v3, v2
	v_lshlrev_b32_e32 v6, 10, v4
	v_add3_u32 v2, v0, v2, v6
	s_trap 2
	ds_read_b64 v[6:7], v0
	v_ashrrev_i32_e32 v8, 31, v2
	v_add_co_u32_e32 v10, vcc, v2, v10
	v_addc_co_u32_e32 v11, vcc, v8, v11, vcc
	s_waitcnt lgkmcnt(0)
	v_add_co_u32_e32 v12, vcc, v6, v2
	v_addc_co_u32_e32 v13, vcc, v7, v8, vcc
	v_add_co_u32_e32 v6, vcc, 0x3c0, v18
	v_addc_co_u32_e32 v7, vcc, 0, v19, vcc
	;; [unrolled: 2-line block ×3, first 2 shown]
	s_mov_b64 s[76:77], 0
	s_branch .LBB4_6139
.LBB4_6138:                             ;   in Loop: Header=BB4_6139 Depth=2
	s_or_b64 exec, exec, s[18:19]
	v_add_co_u32_e32 v16, vcc, 0xfffffc40, v14
	v_addc_co_u32_e32 v17, vcc, -1, v15, vcc
	v_add_co_u32_e32 v6, vcc, 0xfffffc80, v14
	flat_store_byte v[16:17], v7 glc slc
	v_addc_co_u32_e32 v7, vcc, -1, v15, vcc
	flat_store_byte v[6:7], v23 glc slc
	v_add_co_u32_e32 v6, vcc, 0xfffffcc0, v14
	v_addc_co_u32_e32 v7, vcc, -1, v15, vcc
	flat_store_byte v[6:7], v33 glc slc
	v_add_co_u32_e32 v6, vcc, 0xfffffd00, v14
	;; [unrolled: 3-line block ×13, first 2 shown]
	v_addc_co_u32_e32 v7, vcc, -1, v15, vcc
	v_add_co_u32_e32 v10, vcc, v10, v47
	v_addc_co_u32_e32 v11, vcc, 0, v11, vcc
	v_add_co_u32_e32 v12, vcc, v12, v47
	v_addc_co_u32_e32 v13, vcc, 0, v13, vcc
	v_sub_u32_e32 v5, v5, v46
	v_cmp_gt_i32_e32 vcc, 1, v5
	flat_store_byte v[6:7], v8 glc slc
	flat_store_byte v[14:15], v2 glc slc
	s_or_b64 s[76:77], vcc, s[76:77]
	v_add_co_u32_e32 v14, vcc, v14, v47
	v_addc_co_u32_e32 v15, vcc, 0, v15, vcc
	s_andn2_b64 exec, exec, s[76:77]
	s_cbranch_execz .LBB4_7072
.LBB4_6139:                             ;   Parent Loop BB4_3637 Depth=1
                                        ; =>  This Inner Loop Header: Depth=2
	s_trap 2
	ds_read_b64 v[16:17], v0
	s_waitcnt lgkmcnt(0)
	v_cmp_eq_u32_sdwa s[78:79], v16, v35 src0_sel:BYTE_0 src1_sel:DWORD
	v_readfirstlane_b32 s18, v16
	s_and_b64 vcc, exec, s[78:79]
	v_readfirstlane_b32 s19, v17
	s_cbranch_vccnz .LBB4_6143
; %bb.6140:                             ;   in Loop: Header=BB4_6139 Depth=2
	v_cmp_eq_u32_sdwa s[78:79], v16, s50 src0_sel:BYTE_0 src1_sel:DWORD
	s_and_b64 vcc, exec, s[78:79]
	s_brev_b32 s94, 1
	s_cbranch_vccnz .LBB4_6144
; %bb.6141:                             ;   in Loop: Header=BB4_6139 Depth=2
	s_and_b32 s78, s18, 0x7f
	s_cmpk_eq_i32 s78, 0x7f
	s_mov_b32 s94, 0x7f800001
	s_cbranch_scc1 .LBB4_6144
; %bb.6142:                             ;   in Loop: Header=BB4_6139 Depth=2
	s_and_b32 s79, s18, 7
	s_flbit_i32_b32 s79, s79
	s_min_u32 s79, s79, 32
	s_lshr_b32 s88, s78, 3
	s_sub_i32 s89, s79, 28
	s_sub_i32 s79, 29, s79
	s_cmp_lt_u32 s78, 8
	s_cselect_b32 s78, s89, 0
	s_cselect_b32 s88, s79, s88
	s_lshl_b64 s[78:79], s[18:19], s78
	s_lshl_b32 s19, s78, 20
	s_lshl_b32 s18, s18, 24
	;; [unrolled: 1-line block ×3, first 2 shown]
	s_and_b32 s18, s18, 0x80000000
	s_add_i32 s78, s78, 0x3c000000
	s_and_b32 s19, s19, 0x700000
	s_or_b32 s18, s18, s78
	s_or_b32 s94, s18, s19
	s_branch .LBB4_6144
.LBB4_6143:                             ;   in Loop: Header=BB4_6139 Depth=2
	s_mov_b32 s94, 0
.LBB4_6144:                             ;   in Loop: Header=BB4_6139 Depth=2
	flat_load_ubyte v2, v[10:11] glc slc
	v_mov_b32_e32 v6, 0
	s_waitcnt vmcnt(0) lgkmcnt(0)
	v_cmp_ne_u16_e32 vcc, 0, v2
	s_and_saveexec_b64 s[18:19], vcc
	s_cbranch_execz .LBB4_6150
; %bb.6145:                             ;   in Loop: Header=BB4_6139 Depth=2
	v_cmp_ne_u16_e32 vcc, s50, v2
	v_bfrev_b32_e32 v6, 1
	s_and_saveexec_b64 s[78:79], vcc
	s_cbranch_execz .LBB4_6149
; %bb.6146:                             ;   in Loop: Header=BB4_6139 Depth=2
	v_and_b32_e32 v16, 0xffff, v2
	v_and_b32_e32 v7, 0x7f, v16
	v_cmp_ne_u32_e32 vcc, s39, v7
	v_mov_b32_e32 v6, 0x7f800001
	s_and_saveexec_b64 s[88:89], vcc
	s_cbranch_execz .LBB4_6148
; %bb.6147:                             ;   in Loop: Header=BB4_6139 Depth=2
	v_and_b32_e32 v8, 7, v16
	v_ffbh_u32_e32 v6, v8
	v_min_u32_e32 v17, 32, v6
	v_subrev_u32_e32 v6, 28, v17
	v_lshrrev_b32_e32 v9, 3, v7
	v_cmp_gt_u32_e32 vcc, 8, v7
	v_lshlrev_b64 v[6:7], v6, v[16:17]
	v_sub_u32_e32 v7, 29, v17
	v_and_b32_e32 v6, 7, v6
	v_cndmask_b32_e32 v7, v9, v7, vcc
	v_cndmask_b32_e32 v6, v8, v6, vcc
	v_lshlrev_b32_e32 v2, 24, v2
	v_lshlrev_b32_e32 v6, 20, v6
	v_and_b32_e32 v2, 0x80000000, v2
	v_lshl_add_u32 v7, v7, 23, v58
	v_or3_b32 v6, v2, v7, v6
.LBB4_6148:                             ;   in Loop: Header=BB4_6139 Depth=2
	s_or_b64 exec, exec, s[88:89]
.LBB4_6149:                             ;   in Loop: Header=BB4_6139 Depth=2
	s_or_b64 exec, exec, s[78:79]
.LBB4_6150:                             ;   in Loop: Header=BB4_6139 Depth=2
	s_or_b64 exec, exec, s[18:19]
	v_mul_f32_e32 v6, s94, v6
	v_and_b32_e32 v34, 0x7f800000, v6
	v_cmp_ne_u64_e32 vcc, s[46:47], v[34:35]
                                        ; implicit-def: $vgpr7
	s_and_saveexec_b64 s[18:19], vcc
	s_xor_b64 s[78:79], exec, s[18:19]
	s_cbranch_execz .LBB4_6168
; %bb.6151:                             ;   in Loop: Header=BB4_6139 Depth=2
	v_and_b32_e32 v34, 0x7fffffff, v6
	v_cmp_gt_u64_e32 vcc, s[56:57], v[34:35]
	v_and_b32_sdwa v2, v6, s50 dst_sel:DWORD dst_unused:UNUSED_PAD src0_sel:BYTE_3 src1_sel:DWORD
                                        ; implicit-def: $vgpr7
	s_and_saveexec_b64 s[18:19], vcc
	s_xor_b64 s[88:89], exec, s[18:19]
	s_cbranch_execz .LBB4_6165
; %bb.6152:                             ;   in Loop: Header=BB4_6139 Depth=2
	v_cmp_ne_u32_e32 vcc, 0, v6
	v_mov_b32_e32 v7, 0
	s_and_saveexec_b64 s[90:91], vcc
	s_cbranch_execz .LBB4_6164
; %bb.6153:                             ;   in Loop: Header=BB4_6139 Depth=2
	v_and_b32_e32 v8, 0x7fffff, v6
	v_bfe_u32 v6, v6, 23, 8
	v_cmp_gt_u32_e64 s[18:19], s51, v6
	v_sub_u32_e32 v7, 0x79, v6
	v_cmp_eq_u32_e32 vcc, 0, v6
	v_cndmask_b32_e64 v7, 0, v7, s[18:19]
	v_or_b32_e32 v9, 0x800000, v8
	v_cndmask_b32_e32 v7, v7, v59, vcc
	v_cndmask_b32_e32 v34, v9, v8, vcc
	v_add_u32_e32 v8, 20, v7
	v_lshlrev_b64 v[8:9], v8, -1
	v_add_u32_e32 v16, 19, v7
	v_lshlrev_b64 v[16:17], v16, 1
	v_bfi_b32 v9, v9, 0, 0
	v_bfi_b32 v8, v8, 0, v34
	v_cmp_eq_u64_e64 s[18:19], v[8:9], v[16:17]
	v_lshrrev_b64 v[16:17], v7, v[34:35]
	v_mov_b32_e32 v49, v17
	v_mov_b32_e32 v48, v16
	s_and_saveexec_b64 s[92:93], s[18:19]
; %bb.6154:                             ;   in Loop: Header=BB4_6139 Depth=2
	v_bfe_u32 v8, v16, 20, 1
	v_add_co_u32_e64 v8, s[18:19], v16, v8
	v_add_co_u32_e64 v48, s[18:19], -1, v8
; %bb.6155:                             ;   in Loop: Header=BB4_6139 Depth=2
	s_or_b64 exec, exec, s[92:93]
	v_add_u32_e32 v6, 0xffffff81, v6
	v_cndmask_b32_e32 v6, v6, v60, vcc
	v_lshrrev_b32_e32 v8, 23, v16
	v_add3_u32 v8, v7, v6, v8
	v_add_u32_e32 v7, 6, v8
	v_and_b32_e32 v6, 0xfffff, v48
	v_add_u32_e32 v34, v6, v16
	v_cmp_ne_u32_e32 vcc, 0, v7
                                        ; implicit-def: $vgpr16_vgpr17
                                        ; implicit-def: $vgpr6
	s_and_saveexec_b64 s[18:19], vcc
	s_xor_b64 s[18:19], exec, s[18:19]
; %bb.6156:                             ;   in Loop: Header=BB4_6139 Depth=2
	v_cmp_lt_u64_e32 vcc, s[58:59], v[34:35]
	v_add_u32_e32 v6, 7, v8
	v_cndmask_b32_e32 v6, v7, v6, vcc
	v_cndmask_b32_e64 v7, 0, 1, vcc
	v_lshrrev_b64 v[16:17], v7, v[34:35]
; %bb.6157:                             ;   in Loop: Header=BB4_6139 Depth=2
	s_andn2_saveexec_b64 s[18:19], s[18:19]
; %bb.6158:                             ;   in Loop: Header=BB4_6139 Depth=2
	v_mov_b32_e32 v16, v34
	v_bfe_u32 v6, v34, 23, 1
	v_mov_b32_e32 v17, v35
; %bb.6159:                             ;   in Loop: Header=BB4_6139 Depth=2
	s_or_b64 exec, exec, s[18:19]
	v_lshrrev_b64 v[7:8], 20, v[16:17]
	v_cmp_gt_i32_e32 vcc, 16, v6
	v_cndmask_b32_e32 v17, 0, v8, vcc
	v_cndmask_b32_e32 v16, 7, v7, vcc
	v_cmp_ne_u64_e32 vcc, 0, v[16:17]
	v_cmp_ne_u32_e64 s[18:19], 0, v6
	s_or_b64 s[18:19], s[18:19], vcc
                                        ; implicit-def: $vgpr7
	s_and_saveexec_b64 s[92:93], s[18:19]
	s_xor_b64 s[18:19], exec, s[92:93]
; %bb.6160:                             ;   in Loop: Header=BB4_6139 Depth=2
	v_min_i32_e32 v6, 15, v6
	v_lshl_or_b32 v2, v6, 3, v2
	v_and_or_b32 v7, v16, 7, v2
                                        ; implicit-def: $vgpr2
; %bb.6161:                             ;   in Loop: Header=BB4_6139 Depth=2
	s_andn2_saveexec_b64 s[18:19], s[18:19]
; %bb.6162:                             ;   in Loop: Header=BB4_6139 Depth=2
	v_mov_b32_e32 v7, v2
; %bb.6163:                             ;   in Loop: Header=BB4_6139 Depth=2
	s_or_b64 exec, exec, s[18:19]
.LBB4_6164:                             ;   in Loop: Header=BB4_6139 Depth=2
	s_or_b64 exec, exec, s[90:91]
                                        ; implicit-def: $vgpr2
.LBB4_6165:                             ;   in Loop: Header=BB4_6139 Depth=2
	s_andn2_saveexec_b64 s[18:19], s[88:89]
; %bb.6166:                             ;   in Loop: Header=BB4_6139 Depth=2
	v_or_b32_e32 v7, 0x7e, v2
; %bb.6167:                             ;   in Loop: Header=BB4_6139 Depth=2
	s_or_b64 exec, exec, s[18:19]
                                        ; implicit-def: $vgpr6
.LBB4_6168:                             ;   in Loop: Header=BB4_6139 Depth=2
	s_andn2_saveexec_b64 s[18:19], s[78:79]
; %bb.6169:                             ;   in Loop: Header=BB4_6139 Depth=2
	v_or_b32_sdwa v7, v6, s39 dst_sel:DWORD dst_unused:UNUSED_PAD src0_sel:BYTE_3 src1_sel:DWORD
; %bb.6170:                             ;   in Loop: Header=BB4_6139 Depth=2
	s_or_b64 exec, exec, s[18:19]
	flat_load_ubyte v2, v[10:11] offset:64 glc slc
	v_mov_b32_e32 v6, 0
	s_waitcnt vmcnt(0) lgkmcnt(0)
	v_cmp_ne_u16_e32 vcc, 0, v2
	s_and_saveexec_b64 s[18:19], vcc
	s_cbranch_execz .LBB4_6176
; %bb.6171:                             ;   in Loop: Header=BB4_6139 Depth=2
	v_cmp_ne_u16_e32 vcc, s50, v2
	v_bfrev_b32_e32 v6, 1
	s_and_saveexec_b64 s[78:79], vcc
	s_cbranch_execz .LBB4_6175
; %bb.6172:                             ;   in Loop: Header=BB4_6139 Depth=2
	v_and_b32_e32 v16, 0xffff, v2
	v_and_b32_e32 v8, 0x7f, v16
	v_cmp_ne_u32_e32 vcc, s39, v8
	v_mov_b32_e32 v6, 0x7f800001
	s_and_saveexec_b64 s[88:89], vcc
	s_cbranch_execz .LBB4_6174
; %bb.6173:                             ;   in Loop: Header=BB4_6139 Depth=2
	v_and_b32_e32 v6, 7, v16
	v_lshrrev_b32_e32 v17, 3, v8
	v_cmp_gt_u32_e32 vcc, 8, v8
	v_ffbh_u32_e32 v8, v6
	v_min_u32_e32 v18, 32, v8
	v_subrev_u32_e32 v8, 28, v18
	v_lshlrev_b64 v[8:9], v8, v[16:17]
	v_sub_u32_e32 v9, 29, v18
	v_and_b32_e32 v8, 7, v8
	v_cndmask_b32_e32 v9, v17, v9, vcc
	v_cndmask_b32_e32 v6, v6, v8, vcc
	v_lshlrev_b32_e32 v2, 24, v2
	v_lshlrev_b32_e32 v6, 20, v6
	v_and_b32_e32 v2, 0x80000000, v2
	v_lshl_add_u32 v8, v9, 23, v58
	v_or3_b32 v6, v2, v8, v6
.LBB4_6174:                             ;   in Loop: Header=BB4_6139 Depth=2
	s_or_b64 exec, exec, s[88:89]
.LBB4_6175:                             ;   in Loop: Header=BB4_6139 Depth=2
	s_or_b64 exec, exec, s[78:79]
.LBB4_6176:                             ;   in Loop: Header=BB4_6139 Depth=2
	s_or_b64 exec, exec, s[18:19]
	v_mul_f32_e32 v6, s94, v6
	v_and_b32_e32 v34, 0x7f800000, v6
	v_cmp_ne_u64_e32 vcc, s[46:47], v[34:35]
                                        ; implicit-def: $vgpr23
	s_and_saveexec_b64 s[18:19], vcc
	s_xor_b64 s[78:79], exec, s[18:19]
	s_cbranch_execz .LBB4_6194
; %bb.6177:                             ;   in Loop: Header=BB4_6139 Depth=2
	v_and_b32_e32 v34, 0x7fffffff, v6
	v_cmp_gt_u64_e32 vcc, s[56:57], v[34:35]
	v_and_b32_sdwa v2, v6, s50 dst_sel:DWORD dst_unused:UNUSED_PAD src0_sel:BYTE_3 src1_sel:DWORD
                                        ; implicit-def: $vgpr23
	s_and_saveexec_b64 s[18:19], vcc
	s_xor_b64 s[88:89], exec, s[18:19]
	s_cbranch_execz .LBB4_6191
; %bb.6178:                             ;   in Loop: Header=BB4_6139 Depth=2
	v_cmp_ne_u32_e32 vcc, 0, v6
	v_mov_b32_e32 v23, 0
	s_and_saveexec_b64 s[90:91], vcc
	s_cbranch_execz .LBB4_6190
; %bb.6179:                             ;   in Loop: Header=BB4_6139 Depth=2
	v_and_b32_e32 v9, 0x7fffff, v6
	v_bfe_u32 v6, v6, 23, 8
	v_cmp_gt_u32_e64 s[18:19], s51, v6
	v_sub_u32_e32 v8, 0x79, v6
	v_cmp_eq_u32_e32 vcc, 0, v6
	v_cndmask_b32_e64 v8, 0, v8, s[18:19]
	v_or_b32_e32 v16, 0x800000, v9
	v_cndmask_b32_e32 v8, v8, v59, vcc
	v_cndmask_b32_e32 v34, v16, v9, vcc
	v_add_u32_e32 v9, 20, v8
	v_lshlrev_b64 v[16:17], v9, -1
	v_add_u32_e32 v9, 19, v8
	v_lshlrev_b64 v[18:19], v9, 1
	v_bfi_b32 v17, v17, 0, 0
	v_bfi_b32 v16, v16, 0, v34
	v_cmp_eq_u64_e64 s[18:19], v[16:17], v[18:19]
	v_lshrrev_b64 v[16:17], v8, v[34:35]
	v_mov_b32_e32 v49, v17
	v_mov_b32_e32 v48, v16
	s_and_saveexec_b64 s[92:93], s[18:19]
; %bb.6180:                             ;   in Loop: Header=BB4_6139 Depth=2
	v_bfe_u32 v9, v16, 20, 1
	v_add_co_u32_e64 v9, s[18:19], v16, v9
	v_add_co_u32_e64 v48, s[18:19], -1, v9
; %bb.6181:                             ;   in Loop: Header=BB4_6139 Depth=2
	s_or_b64 exec, exec, s[92:93]
	v_add_u32_e32 v6, 0xffffff81, v6
	v_cndmask_b32_e32 v6, v6, v60, vcc
	v_lshrrev_b32_e32 v9, 23, v16
	v_add3_u32 v9, v8, v6, v9
	v_add_u32_e32 v8, 6, v9
	v_and_b32_e32 v6, 0xfffff, v48
	v_add_u32_e32 v34, v6, v16
	v_cmp_ne_u32_e32 vcc, 0, v8
                                        ; implicit-def: $vgpr16_vgpr17
                                        ; implicit-def: $vgpr6
	s_and_saveexec_b64 s[18:19], vcc
	s_xor_b64 s[18:19], exec, s[18:19]
; %bb.6182:                             ;   in Loop: Header=BB4_6139 Depth=2
	v_cmp_lt_u64_e32 vcc, s[58:59], v[34:35]
	v_add_u32_e32 v6, 7, v9
	v_cndmask_b32_e32 v6, v8, v6, vcc
	v_cndmask_b32_e64 v8, 0, 1, vcc
	v_lshrrev_b64 v[16:17], v8, v[34:35]
; %bb.6183:                             ;   in Loop: Header=BB4_6139 Depth=2
	s_andn2_saveexec_b64 s[18:19], s[18:19]
; %bb.6184:                             ;   in Loop: Header=BB4_6139 Depth=2
	v_mov_b32_e32 v16, v34
	v_bfe_u32 v6, v34, 23, 1
	v_mov_b32_e32 v17, v35
; %bb.6185:                             ;   in Loop: Header=BB4_6139 Depth=2
	s_or_b64 exec, exec, s[18:19]
	v_lshrrev_b64 v[8:9], 20, v[16:17]
	v_cmp_gt_i32_e32 vcc, 16, v6
	v_cndmask_b32_e32 v17, 0, v9, vcc
	v_cndmask_b32_e32 v16, 7, v8, vcc
	v_cmp_ne_u64_e32 vcc, 0, v[16:17]
	v_cmp_ne_u32_e64 s[18:19], 0, v6
	s_or_b64 s[18:19], s[18:19], vcc
                                        ; implicit-def: $vgpr23
	s_and_saveexec_b64 s[92:93], s[18:19]
	s_xor_b64 s[18:19], exec, s[92:93]
; %bb.6186:                             ;   in Loop: Header=BB4_6139 Depth=2
	v_min_i32_e32 v6, 15, v6
	v_lshl_or_b32 v2, v6, 3, v2
	v_and_or_b32 v23, v16, 7, v2
                                        ; implicit-def: $vgpr2
; %bb.6187:                             ;   in Loop: Header=BB4_6139 Depth=2
	s_andn2_saveexec_b64 s[18:19], s[18:19]
; %bb.6188:                             ;   in Loop: Header=BB4_6139 Depth=2
	v_mov_b32_e32 v23, v2
; %bb.6189:                             ;   in Loop: Header=BB4_6139 Depth=2
	s_or_b64 exec, exec, s[18:19]
.LBB4_6190:                             ;   in Loop: Header=BB4_6139 Depth=2
	s_or_b64 exec, exec, s[90:91]
                                        ; implicit-def: $vgpr2
.LBB4_6191:                             ;   in Loop: Header=BB4_6139 Depth=2
	s_andn2_saveexec_b64 s[18:19], s[88:89]
; %bb.6192:                             ;   in Loop: Header=BB4_6139 Depth=2
	v_or_b32_e32 v23, 0x7e, v2
; %bb.6193:                             ;   in Loop: Header=BB4_6139 Depth=2
	s_or_b64 exec, exec, s[18:19]
                                        ; implicit-def: $vgpr6
.LBB4_6194:                             ;   in Loop: Header=BB4_6139 Depth=2
	s_andn2_saveexec_b64 s[18:19], s[78:79]
; %bb.6195:                             ;   in Loop: Header=BB4_6139 Depth=2
	v_or_b32_sdwa v23, v6, s39 dst_sel:DWORD dst_unused:UNUSED_PAD src0_sel:BYTE_3 src1_sel:DWORD
; %bb.6196:                             ;   in Loop: Header=BB4_6139 Depth=2
	s_or_b64 exec, exec, s[18:19]
	flat_load_ubyte v2, v[10:11] offset:128 glc slc
	v_mov_b32_e32 v6, 0
	s_waitcnt vmcnt(0) lgkmcnt(0)
	v_cmp_ne_u16_e32 vcc, 0, v2
	s_and_saveexec_b64 s[18:19], vcc
	s_cbranch_execz .LBB4_6202
; %bb.6197:                             ;   in Loop: Header=BB4_6139 Depth=2
	v_cmp_ne_u16_e32 vcc, s50, v2
	v_bfrev_b32_e32 v6, 1
	s_and_saveexec_b64 s[78:79], vcc
	s_cbranch_execz .LBB4_6201
; %bb.6198:                             ;   in Loop: Header=BB4_6139 Depth=2
	v_and_b32_e32 v16, 0xffff, v2
	v_and_b32_e32 v8, 0x7f, v16
	v_cmp_ne_u32_e32 vcc, s39, v8
	v_mov_b32_e32 v6, 0x7f800001
	s_and_saveexec_b64 s[88:89], vcc
	s_cbranch_execz .LBB4_6200
; %bb.6199:                             ;   in Loop: Header=BB4_6139 Depth=2
	v_and_b32_e32 v6, 7, v16
	v_lshrrev_b32_e32 v17, 3, v8
	v_cmp_gt_u32_e32 vcc, 8, v8
	v_ffbh_u32_e32 v8, v6
	v_min_u32_e32 v18, 32, v8
	v_subrev_u32_e32 v8, 28, v18
	v_lshlrev_b64 v[8:9], v8, v[16:17]
	v_sub_u32_e32 v9, 29, v18
	v_and_b32_e32 v8, 7, v8
	v_cndmask_b32_e32 v9, v17, v9, vcc
	v_cndmask_b32_e32 v6, v6, v8, vcc
	v_lshlrev_b32_e32 v2, 24, v2
	v_lshlrev_b32_e32 v6, 20, v6
	v_and_b32_e32 v2, 0x80000000, v2
	v_lshl_add_u32 v8, v9, 23, v58
	v_or3_b32 v6, v2, v8, v6
.LBB4_6200:                             ;   in Loop: Header=BB4_6139 Depth=2
	s_or_b64 exec, exec, s[88:89]
.LBB4_6201:                             ;   in Loop: Header=BB4_6139 Depth=2
	s_or_b64 exec, exec, s[78:79]
.LBB4_6202:                             ;   in Loop: Header=BB4_6139 Depth=2
	s_or_b64 exec, exec, s[18:19]
	v_mul_f32_e32 v6, s94, v6
	v_and_b32_e32 v34, 0x7f800000, v6
	v_cmp_ne_u64_e32 vcc, s[46:47], v[34:35]
                                        ; implicit-def: $vgpr33
	s_and_saveexec_b64 s[18:19], vcc
	s_xor_b64 s[78:79], exec, s[18:19]
	s_cbranch_execz .LBB4_6220
; %bb.6203:                             ;   in Loop: Header=BB4_6139 Depth=2
	v_and_b32_e32 v34, 0x7fffffff, v6
	v_cmp_gt_u64_e32 vcc, s[56:57], v[34:35]
	v_and_b32_sdwa v2, v6, s50 dst_sel:DWORD dst_unused:UNUSED_PAD src0_sel:BYTE_3 src1_sel:DWORD
                                        ; implicit-def: $vgpr33
	s_and_saveexec_b64 s[18:19], vcc
	s_xor_b64 s[88:89], exec, s[18:19]
	s_cbranch_execz .LBB4_6217
; %bb.6204:                             ;   in Loop: Header=BB4_6139 Depth=2
	v_cmp_ne_u32_e32 vcc, 0, v6
	v_mov_b32_e32 v33, 0
	s_and_saveexec_b64 s[90:91], vcc
	s_cbranch_execz .LBB4_6216
; %bb.6205:                             ;   in Loop: Header=BB4_6139 Depth=2
	v_and_b32_e32 v9, 0x7fffff, v6
	v_bfe_u32 v6, v6, 23, 8
	v_cmp_gt_u32_e64 s[18:19], s51, v6
	v_sub_u32_e32 v8, 0x79, v6
	v_cmp_eq_u32_e32 vcc, 0, v6
	v_cndmask_b32_e64 v8, 0, v8, s[18:19]
	v_or_b32_e32 v16, 0x800000, v9
	v_cndmask_b32_e32 v8, v8, v59, vcc
	v_cndmask_b32_e32 v34, v16, v9, vcc
	v_add_u32_e32 v9, 20, v8
	v_lshlrev_b64 v[16:17], v9, -1
	v_add_u32_e32 v9, 19, v8
	v_lshlrev_b64 v[18:19], v9, 1
	v_bfi_b32 v17, v17, 0, 0
	v_bfi_b32 v16, v16, 0, v34
	v_cmp_eq_u64_e64 s[18:19], v[16:17], v[18:19]
	v_lshrrev_b64 v[16:17], v8, v[34:35]
	v_mov_b32_e32 v49, v17
	v_mov_b32_e32 v48, v16
	s_and_saveexec_b64 s[92:93], s[18:19]
; %bb.6206:                             ;   in Loop: Header=BB4_6139 Depth=2
	v_bfe_u32 v9, v16, 20, 1
	v_add_co_u32_e64 v9, s[18:19], v16, v9
	v_add_co_u32_e64 v48, s[18:19], -1, v9
; %bb.6207:                             ;   in Loop: Header=BB4_6139 Depth=2
	s_or_b64 exec, exec, s[92:93]
	v_add_u32_e32 v6, 0xffffff81, v6
	v_cndmask_b32_e32 v6, v6, v60, vcc
	v_lshrrev_b32_e32 v9, 23, v16
	v_add3_u32 v9, v8, v6, v9
	v_add_u32_e32 v8, 6, v9
	v_and_b32_e32 v6, 0xfffff, v48
	v_add_u32_e32 v34, v6, v16
	v_cmp_ne_u32_e32 vcc, 0, v8
                                        ; implicit-def: $vgpr16_vgpr17
                                        ; implicit-def: $vgpr6
	s_and_saveexec_b64 s[18:19], vcc
	s_xor_b64 s[18:19], exec, s[18:19]
; %bb.6208:                             ;   in Loop: Header=BB4_6139 Depth=2
	v_cmp_lt_u64_e32 vcc, s[58:59], v[34:35]
	v_add_u32_e32 v6, 7, v9
	v_cndmask_b32_e32 v6, v8, v6, vcc
	v_cndmask_b32_e64 v8, 0, 1, vcc
	v_lshrrev_b64 v[16:17], v8, v[34:35]
; %bb.6209:                             ;   in Loop: Header=BB4_6139 Depth=2
	s_andn2_saveexec_b64 s[18:19], s[18:19]
; %bb.6210:                             ;   in Loop: Header=BB4_6139 Depth=2
	v_mov_b32_e32 v16, v34
	v_bfe_u32 v6, v34, 23, 1
	v_mov_b32_e32 v17, v35
; %bb.6211:                             ;   in Loop: Header=BB4_6139 Depth=2
	s_or_b64 exec, exec, s[18:19]
	v_lshrrev_b64 v[8:9], 20, v[16:17]
	v_cmp_gt_i32_e32 vcc, 16, v6
	v_cndmask_b32_e32 v17, 0, v9, vcc
	v_cndmask_b32_e32 v16, 7, v8, vcc
	v_cmp_ne_u64_e32 vcc, 0, v[16:17]
	v_cmp_ne_u32_e64 s[18:19], 0, v6
	s_or_b64 s[18:19], s[18:19], vcc
                                        ; implicit-def: $vgpr33
	s_and_saveexec_b64 s[92:93], s[18:19]
	s_xor_b64 s[18:19], exec, s[92:93]
; %bb.6212:                             ;   in Loop: Header=BB4_6139 Depth=2
	v_min_i32_e32 v6, 15, v6
	v_lshl_or_b32 v2, v6, 3, v2
	v_and_or_b32 v33, v16, 7, v2
                                        ; implicit-def: $vgpr2
; %bb.6213:                             ;   in Loop: Header=BB4_6139 Depth=2
	s_andn2_saveexec_b64 s[18:19], s[18:19]
; %bb.6214:                             ;   in Loop: Header=BB4_6139 Depth=2
	v_mov_b32_e32 v33, v2
; %bb.6215:                             ;   in Loop: Header=BB4_6139 Depth=2
	s_or_b64 exec, exec, s[18:19]
.LBB4_6216:                             ;   in Loop: Header=BB4_6139 Depth=2
	s_or_b64 exec, exec, s[90:91]
                                        ; implicit-def: $vgpr2
.LBB4_6217:                             ;   in Loop: Header=BB4_6139 Depth=2
	s_andn2_saveexec_b64 s[18:19], s[88:89]
; %bb.6218:                             ;   in Loop: Header=BB4_6139 Depth=2
	v_or_b32_e32 v33, 0x7e, v2
; %bb.6219:                             ;   in Loop: Header=BB4_6139 Depth=2
	s_or_b64 exec, exec, s[18:19]
                                        ; implicit-def: $vgpr6
.LBB4_6220:                             ;   in Loop: Header=BB4_6139 Depth=2
	s_andn2_saveexec_b64 s[18:19], s[78:79]
; %bb.6221:                             ;   in Loop: Header=BB4_6139 Depth=2
	v_or_b32_sdwa v33, v6, s39 dst_sel:DWORD dst_unused:UNUSED_PAD src0_sel:BYTE_3 src1_sel:DWORD
; %bb.6222:                             ;   in Loop: Header=BB4_6139 Depth=2
	s_or_b64 exec, exec, s[18:19]
	flat_load_ubyte v2, v[10:11] offset:192 glc slc
	v_mov_b32_e32 v6, 0
	s_waitcnt vmcnt(0) lgkmcnt(0)
	v_cmp_ne_u16_e32 vcc, 0, v2
	s_and_saveexec_b64 s[18:19], vcc
	s_cbranch_execz .LBB4_6228
; %bb.6223:                             ;   in Loop: Header=BB4_6139 Depth=2
	v_cmp_ne_u16_e32 vcc, s50, v2
	v_bfrev_b32_e32 v6, 1
	s_and_saveexec_b64 s[78:79], vcc
	s_cbranch_execz .LBB4_6227
; %bb.6224:                             ;   in Loop: Header=BB4_6139 Depth=2
	v_and_b32_e32 v16, 0xffff, v2
	v_and_b32_e32 v8, 0x7f, v16
	v_cmp_ne_u32_e32 vcc, s39, v8
	v_mov_b32_e32 v6, 0x7f800001
	s_and_saveexec_b64 s[88:89], vcc
	s_cbranch_execz .LBB4_6226
; %bb.6225:                             ;   in Loop: Header=BB4_6139 Depth=2
	v_and_b32_e32 v6, 7, v16
	v_lshrrev_b32_e32 v17, 3, v8
	v_cmp_gt_u32_e32 vcc, 8, v8
	v_ffbh_u32_e32 v8, v6
	v_min_u32_e32 v18, 32, v8
	v_subrev_u32_e32 v8, 28, v18
	v_lshlrev_b64 v[8:9], v8, v[16:17]
	v_sub_u32_e32 v9, 29, v18
	v_and_b32_e32 v8, 7, v8
	v_cndmask_b32_e32 v9, v17, v9, vcc
	v_cndmask_b32_e32 v6, v6, v8, vcc
	v_lshlrev_b32_e32 v2, 24, v2
	v_lshlrev_b32_e32 v6, 20, v6
	v_and_b32_e32 v2, 0x80000000, v2
	v_lshl_add_u32 v8, v9, 23, v58
	v_or3_b32 v6, v2, v8, v6
.LBB4_6226:                             ;   in Loop: Header=BB4_6139 Depth=2
	s_or_b64 exec, exec, s[88:89]
.LBB4_6227:                             ;   in Loop: Header=BB4_6139 Depth=2
	s_or_b64 exec, exec, s[78:79]
.LBB4_6228:                             ;   in Loop: Header=BB4_6139 Depth=2
	s_or_b64 exec, exec, s[18:19]
	v_mul_f32_e32 v6, s94, v6
	v_and_b32_e32 v34, 0x7f800000, v6
	v_cmp_ne_u64_e32 vcc, s[46:47], v[34:35]
                                        ; implicit-def: $vgpr31
	s_and_saveexec_b64 s[18:19], vcc
	s_xor_b64 s[78:79], exec, s[18:19]
	s_cbranch_execz .LBB4_6246
; %bb.6229:                             ;   in Loop: Header=BB4_6139 Depth=2
	v_and_b32_e32 v34, 0x7fffffff, v6
	v_cmp_gt_u64_e32 vcc, s[56:57], v[34:35]
	v_and_b32_sdwa v2, v6, s50 dst_sel:DWORD dst_unused:UNUSED_PAD src0_sel:BYTE_3 src1_sel:DWORD
                                        ; implicit-def: $vgpr31
	s_and_saveexec_b64 s[18:19], vcc
	s_xor_b64 s[88:89], exec, s[18:19]
	s_cbranch_execz .LBB4_6243
; %bb.6230:                             ;   in Loop: Header=BB4_6139 Depth=2
	v_cmp_ne_u32_e32 vcc, 0, v6
	v_mov_b32_e32 v31, 0
	s_and_saveexec_b64 s[90:91], vcc
	s_cbranch_execz .LBB4_6242
; %bb.6231:                             ;   in Loop: Header=BB4_6139 Depth=2
	v_and_b32_e32 v9, 0x7fffff, v6
	v_bfe_u32 v6, v6, 23, 8
	v_cmp_gt_u32_e64 s[18:19], s51, v6
	v_sub_u32_e32 v8, 0x79, v6
	v_cmp_eq_u32_e32 vcc, 0, v6
	v_cndmask_b32_e64 v8, 0, v8, s[18:19]
	v_or_b32_e32 v16, 0x800000, v9
	v_cndmask_b32_e32 v8, v8, v59, vcc
	v_cndmask_b32_e32 v34, v16, v9, vcc
	v_add_u32_e32 v9, 20, v8
	v_lshlrev_b64 v[16:17], v9, -1
	v_add_u32_e32 v9, 19, v8
	v_lshlrev_b64 v[18:19], v9, 1
	v_bfi_b32 v17, v17, 0, 0
	v_bfi_b32 v16, v16, 0, v34
	v_cmp_eq_u64_e64 s[18:19], v[16:17], v[18:19]
	v_lshrrev_b64 v[16:17], v8, v[34:35]
	v_mov_b32_e32 v49, v17
	v_mov_b32_e32 v48, v16
	s_and_saveexec_b64 s[92:93], s[18:19]
; %bb.6232:                             ;   in Loop: Header=BB4_6139 Depth=2
	v_bfe_u32 v9, v16, 20, 1
	v_add_co_u32_e64 v9, s[18:19], v16, v9
	v_add_co_u32_e64 v48, s[18:19], -1, v9
; %bb.6233:                             ;   in Loop: Header=BB4_6139 Depth=2
	s_or_b64 exec, exec, s[92:93]
	v_add_u32_e32 v6, 0xffffff81, v6
	v_cndmask_b32_e32 v6, v6, v60, vcc
	v_lshrrev_b32_e32 v9, 23, v16
	v_add3_u32 v9, v8, v6, v9
	v_add_u32_e32 v8, 6, v9
	v_and_b32_e32 v6, 0xfffff, v48
	v_add_u32_e32 v34, v6, v16
	v_cmp_ne_u32_e32 vcc, 0, v8
                                        ; implicit-def: $vgpr16_vgpr17
                                        ; implicit-def: $vgpr6
	s_and_saveexec_b64 s[18:19], vcc
	s_xor_b64 s[18:19], exec, s[18:19]
; %bb.6234:                             ;   in Loop: Header=BB4_6139 Depth=2
	v_cmp_lt_u64_e32 vcc, s[58:59], v[34:35]
	v_add_u32_e32 v6, 7, v9
	v_cndmask_b32_e32 v6, v8, v6, vcc
	v_cndmask_b32_e64 v8, 0, 1, vcc
	v_lshrrev_b64 v[16:17], v8, v[34:35]
; %bb.6235:                             ;   in Loop: Header=BB4_6139 Depth=2
	s_andn2_saveexec_b64 s[18:19], s[18:19]
; %bb.6236:                             ;   in Loop: Header=BB4_6139 Depth=2
	v_mov_b32_e32 v16, v34
	v_bfe_u32 v6, v34, 23, 1
	v_mov_b32_e32 v17, v35
; %bb.6237:                             ;   in Loop: Header=BB4_6139 Depth=2
	s_or_b64 exec, exec, s[18:19]
	v_lshrrev_b64 v[8:9], 20, v[16:17]
	v_cmp_gt_i32_e32 vcc, 16, v6
	v_cndmask_b32_e32 v17, 0, v9, vcc
	v_cndmask_b32_e32 v16, 7, v8, vcc
	v_cmp_ne_u64_e32 vcc, 0, v[16:17]
	v_cmp_ne_u32_e64 s[18:19], 0, v6
	s_or_b64 s[18:19], s[18:19], vcc
                                        ; implicit-def: $vgpr31
	s_and_saveexec_b64 s[92:93], s[18:19]
	s_xor_b64 s[18:19], exec, s[92:93]
; %bb.6238:                             ;   in Loop: Header=BB4_6139 Depth=2
	v_min_i32_e32 v6, 15, v6
	v_lshl_or_b32 v2, v6, 3, v2
	v_and_or_b32 v31, v16, 7, v2
                                        ; implicit-def: $vgpr2
; %bb.6239:                             ;   in Loop: Header=BB4_6139 Depth=2
	s_andn2_saveexec_b64 s[18:19], s[18:19]
; %bb.6240:                             ;   in Loop: Header=BB4_6139 Depth=2
	v_mov_b32_e32 v31, v2
; %bb.6241:                             ;   in Loop: Header=BB4_6139 Depth=2
	s_or_b64 exec, exec, s[18:19]
.LBB4_6242:                             ;   in Loop: Header=BB4_6139 Depth=2
	s_or_b64 exec, exec, s[90:91]
                                        ; implicit-def: $vgpr2
.LBB4_6243:                             ;   in Loop: Header=BB4_6139 Depth=2
	s_andn2_saveexec_b64 s[18:19], s[88:89]
; %bb.6244:                             ;   in Loop: Header=BB4_6139 Depth=2
	v_or_b32_e32 v31, 0x7e, v2
; %bb.6245:                             ;   in Loop: Header=BB4_6139 Depth=2
	s_or_b64 exec, exec, s[18:19]
                                        ; implicit-def: $vgpr6
.LBB4_6246:                             ;   in Loop: Header=BB4_6139 Depth=2
	s_andn2_saveexec_b64 s[18:19], s[78:79]
; %bb.6247:                             ;   in Loop: Header=BB4_6139 Depth=2
	v_or_b32_sdwa v31, v6, s39 dst_sel:DWORD dst_unused:UNUSED_PAD src0_sel:BYTE_3 src1_sel:DWORD
; %bb.6248:                             ;   in Loop: Header=BB4_6139 Depth=2
	s_or_b64 exec, exec, s[18:19]
	flat_load_ubyte v2, v[10:11] offset:256 glc slc
	v_mov_b32_e32 v6, 0
	s_waitcnt vmcnt(0) lgkmcnt(0)
	v_cmp_ne_u16_e32 vcc, 0, v2
	s_and_saveexec_b64 s[18:19], vcc
	s_cbranch_execz .LBB4_6254
; %bb.6249:                             ;   in Loop: Header=BB4_6139 Depth=2
	v_cmp_ne_u16_e32 vcc, s50, v2
	v_bfrev_b32_e32 v6, 1
	s_and_saveexec_b64 s[78:79], vcc
	s_cbranch_execz .LBB4_6253
; %bb.6250:                             ;   in Loop: Header=BB4_6139 Depth=2
	v_and_b32_e32 v16, 0xffff, v2
	v_and_b32_e32 v8, 0x7f, v16
	v_cmp_ne_u32_e32 vcc, s39, v8
	v_mov_b32_e32 v6, 0x7f800001
	s_and_saveexec_b64 s[88:89], vcc
	s_cbranch_execz .LBB4_6252
; %bb.6251:                             ;   in Loop: Header=BB4_6139 Depth=2
	v_and_b32_e32 v6, 7, v16
	v_lshrrev_b32_e32 v17, 3, v8
	v_cmp_gt_u32_e32 vcc, 8, v8
	v_ffbh_u32_e32 v8, v6
	v_min_u32_e32 v18, 32, v8
	v_subrev_u32_e32 v8, 28, v18
	v_lshlrev_b64 v[8:9], v8, v[16:17]
	v_sub_u32_e32 v9, 29, v18
	v_and_b32_e32 v8, 7, v8
	v_cndmask_b32_e32 v9, v17, v9, vcc
	v_cndmask_b32_e32 v6, v6, v8, vcc
	v_lshlrev_b32_e32 v2, 24, v2
	v_lshlrev_b32_e32 v6, 20, v6
	v_and_b32_e32 v2, 0x80000000, v2
	v_lshl_add_u32 v8, v9, 23, v58
	v_or3_b32 v6, v2, v8, v6
.LBB4_6252:                             ;   in Loop: Header=BB4_6139 Depth=2
	s_or_b64 exec, exec, s[88:89]
.LBB4_6253:                             ;   in Loop: Header=BB4_6139 Depth=2
	s_or_b64 exec, exec, s[78:79]
.LBB4_6254:                             ;   in Loop: Header=BB4_6139 Depth=2
	s_or_b64 exec, exec, s[18:19]
	v_mul_f32_e32 v6, s94, v6
	v_and_b32_e32 v34, 0x7f800000, v6
	v_cmp_ne_u64_e32 vcc, s[46:47], v[34:35]
                                        ; implicit-def: $vgpr30
	s_and_saveexec_b64 s[18:19], vcc
	s_xor_b64 s[78:79], exec, s[18:19]
	s_cbranch_execz .LBB4_6272
; %bb.6255:                             ;   in Loop: Header=BB4_6139 Depth=2
	v_and_b32_e32 v34, 0x7fffffff, v6
	v_cmp_gt_u64_e32 vcc, s[56:57], v[34:35]
	v_and_b32_sdwa v2, v6, s50 dst_sel:DWORD dst_unused:UNUSED_PAD src0_sel:BYTE_3 src1_sel:DWORD
                                        ; implicit-def: $vgpr30
	s_and_saveexec_b64 s[18:19], vcc
	s_xor_b64 s[88:89], exec, s[18:19]
	s_cbranch_execz .LBB4_6269
; %bb.6256:                             ;   in Loop: Header=BB4_6139 Depth=2
	v_cmp_ne_u32_e32 vcc, 0, v6
	v_mov_b32_e32 v30, 0
	s_and_saveexec_b64 s[90:91], vcc
	s_cbranch_execz .LBB4_6268
; %bb.6257:                             ;   in Loop: Header=BB4_6139 Depth=2
	v_and_b32_e32 v9, 0x7fffff, v6
	v_bfe_u32 v6, v6, 23, 8
	v_cmp_gt_u32_e64 s[18:19], s51, v6
	v_sub_u32_e32 v8, 0x79, v6
	v_cmp_eq_u32_e32 vcc, 0, v6
	v_cndmask_b32_e64 v8, 0, v8, s[18:19]
	v_or_b32_e32 v16, 0x800000, v9
	v_cndmask_b32_e32 v8, v8, v59, vcc
	v_cndmask_b32_e32 v34, v16, v9, vcc
	v_add_u32_e32 v9, 20, v8
	v_lshlrev_b64 v[16:17], v9, -1
	v_add_u32_e32 v9, 19, v8
	v_lshlrev_b64 v[18:19], v9, 1
	v_bfi_b32 v17, v17, 0, 0
	v_bfi_b32 v16, v16, 0, v34
	v_cmp_eq_u64_e64 s[18:19], v[16:17], v[18:19]
	v_lshrrev_b64 v[16:17], v8, v[34:35]
	v_mov_b32_e32 v49, v17
	v_mov_b32_e32 v48, v16
	s_and_saveexec_b64 s[92:93], s[18:19]
; %bb.6258:                             ;   in Loop: Header=BB4_6139 Depth=2
	v_bfe_u32 v9, v16, 20, 1
	v_add_co_u32_e64 v9, s[18:19], v16, v9
	v_add_co_u32_e64 v48, s[18:19], -1, v9
; %bb.6259:                             ;   in Loop: Header=BB4_6139 Depth=2
	s_or_b64 exec, exec, s[92:93]
	v_add_u32_e32 v6, 0xffffff81, v6
	v_cndmask_b32_e32 v6, v6, v60, vcc
	v_lshrrev_b32_e32 v9, 23, v16
	v_add3_u32 v9, v8, v6, v9
	v_add_u32_e32 v8, 6, v9
	v_and_b32_e32 v6, 0xfffff, v48
	v_add_u32_e32 v34, v6, v16
	v_cmp_ne_u32_e32 vcc, 0, v8
                                        ; implicit-def: $vgpr16_vgpr17
                                        ; implicit-def: $vgpr6
	s_and_saveexec_b64 s[18:19], vcc
	s_xor_b64 s[18:19], exec, s[18:19]
; %bb.6260:                             ;   in Loop: Header=BB4_6139 Depth=2
	v_cmp_lt_u64_e32 vcc, s[58:59], v[34:35]
	v_add_u32_e32 v6, 7, v9
	v_cndmask_b32_e32 v6, v8, v6, vcc
	v_cndmask_b32_e64 v8, 0, 1, vcc
	v_lshrrev_b64 v[16:17], v8, v[34:35]
; %bb.6261:                             ;   in Loop: Header=BB4_6139 Depth=2
	s_andn2_saveexec_b64 s[18:19], s[18:19]
; %bb.6262:                             ;   in Loop: Header=BB4_6139 Depth=2
	v_mov_b32_e32 v16, v34
	v_bfe_u32 v6, v34, 23, 1
	v_mov_b32_e32 v17, v35
; %bb.6263:                             ;   in Loop: Header=BB4_6139 Depth=2
	s_or_b64 exec, exec, s[18:19]
	v_lshrrev_b64 v[8:9], 20, v[16:17]
	v_cmp_gt_i32_e32 vcc, 16, v6
	v_cndmask_b32_e32 v17, 0, v9, vcc
	v_cndmask_b32_e32 v16, 7, v8, vcc
	v_cmp_ne_u64_e32 vcc, 0, v[16:17]
	v_cmp_ne_u32_e64 s[18:19], 0, v6
	s_or_b64 s[18:19], s[18:19], vcc
                                        ; implicit-def: $vgpr30
	s_and_saveexec_b64 s[92:93], s[18:19]
	s_xor_b64 s[18:19], exec, s[92:93]
; %bb.6264:                             ;   in Loop: Header=BB4_6139 Depth=2
	v_min_i32_e32 v6, 15, v6
	v_lshl_or_b32 v2, v6, 3, v2
	v_and_or_b32 v30, v16, 7, v2
                                        ; implicit-def: $vgpr2
; %bb.6265:                             ;   in Loop: Header=BB4_6139 Depth=2
	s_andn2_saveexec_b64 s[18:19], s[18:19]
; %bb.6266:                             ;   in Loop: Header=BB4_6139 Depth=2
	v_mov_b32_e32 v30, v2
; %bb.6267:                             ;   in Loop: Header=BB4_6139 Depth=2
	s_or_b64 exec, exec, s[18:19]
.LBB4_6268:                             ;   in Loop: Header=BB4_6139 Depth=2
	s_or_b64 exec, exec, s[90:91]
                                        ; implicit-def: $vgpr2
.LBB4_6269:                             ;   in Loop: Header=BB4_6139 Depth=2
	s_andn2_saveexec_b64 s[18:19], s[88:89]
; %bb.6270:                             ;   in Loop: Header=BB4_6139 Depth=2
	v_or_b32_e32 v30, 0x7e, v2
; %bb.6271:                             ;   in Loop: Header=BB4_6139 Depth=2
	s_or_b64 exec, exec, s[18:19]
                                        ; implicit-def: $vgpr6
.LBB4_6272:                             ;   in Loop: Header=BB4_6139 Depth=2
	s_andn2_saveexec_b64 s[18:19], s[78:79]
; %bb.6273:                             ;   in Loop: Header=BB4_6139 Depth=2
	v_or_b32_sdwa v30, v6, s39 dst_sel:DWORD dst_unused:UNUSED_PAD src0_sel:BYTE_3 src1_sel:DWORD
; %bb.6274:                             ;   in Loop: Header=BB4_6139 Depth=2
	s_or_b64 exec, exec, s[18:19]
	flat_load_ubyte v2, v[10:11] offset:320 glc slc
	v_mov_b32_e32 v6, 0
	s_waitcnt vmcnt(0) lgkmcnt(0)
	v_cmp_ne_u16_e32 vcc, 0, v2
	s_and_saveexec_b64 s[18:19], vcc
	s_cbranch_execz .LBB4_6280
; %bb.6275:                             ;   in Loop: Header=BB4_6139 Depth=2
	v_cmp_ne_u16_e32 vcc, s50, v2
	v_bfrev_b32_e32 v6, 1
	s_and_saveexec_b64 s[78:79], vcc
	s_cbranch_execz .LBB4_6279
; %bb.6276:                             ;   in Loop: Header=BB4_6139 Depth=2
	v_and_b32_e32 v16, 0xffff, v2
	v_and_b32_e32 v8, 0x7f, v16
	v_cmp_ne_u32_e32 vcc, s39, v8
	v_mov_b32_e32 v6, 0x7f800001
	s_and_saveexec_b64 s[88:89], vcc
	s_cbranch_execz .LBB4_6278
; %bb.6277:                             ;   in Loop: Header=BB4_6139 Depth=2
	v_and_b32_e32 v6, 7, v16
	v_lshrrev_b32_e32 v17, 3, v8
	v_cmp_gt_u32_e32 vcc, 8, v8
	v_ffbh_u32_e32 v8, v6
	v_min_u32_e32 v18, 32, v8
	v_subrev_u32_e32 v8, 28, v18
	v_lshlrev_b64 v[8:9], v8, v[16:17]
	v_sub_u32_e32 v9, 29, v18
	v_and_b32_e32 v8, 7, v8
	v_cndmask_b32_e32 v9, v17, v9, vcc
	v_cndmask_b32_e32 v6, v6, v8, vcc
	v_lshlrev_b32_e32 v2, 24, v2
	v_lshlrev_b32_e32 v6, 20, v6
	v_and_b32_e32 v2, 0x80000000, v2
	v_lshl_add_u32 v8, v9, 23, v58
	v_or3_b32 v6, v2, v8, v6
.LBB4_6278:                             ;   in Loop: Header=BB4_6139 Depth=2
	s_or_b64 exec, exec, s[88:89]
.LBB4_6279:                             ;   in Loop: Header=BB4_6139 Depth=2
	s_or_b64 exec, exec, s[78:79]
.LBB4_6280:                             ;   in Loop: Header=BB4_6139 Depth=2
	s_or_b64 exec, exec, s[18:19]
	v_mul_f32_e32 v6, s94, v6
	v_and_b32_e32 v34, 0x7f800000, v6
	v_cmp_ne_u64_e32 vcc, s[46:47], v[34:35]
                                        ; implicit-def: $vgpr27
	s_and_saveexec_b64 s[18:19], vcc
	s_xor_b64 s[78:79], exec, s[18:19]
	s_cbranch_execz .LBB4_6298
; %bb.6281:                             ;   in Loop: Header=BB4_6139 Depth=2
	v_and_b32_e32 v34, 0x7fffffff, v6
	v_cmp_gt_u64_e32 vcc, s[56:57], v[34:35]
	v_and_b32_sdwa v2, v6, s50 dst_sel:DWORD dst_unused:UNUSED_PAD src0_sel:BYTE_3 src1_sel:DWORD
                                        ; implicit-def: $vgpr27
	s_and_saveexec_b64 s[18:19], vcc
	s_xor_b64 s[88:89], exec, s[18:19]
	s_cbranch_execz .LBB4_6295
; %bb.6282:                             ;   in Loop: Header=BB4_6139 Depth=2
	v_cmp_ne_u32_e32 vcc, 0, v6
	v_mov_b32_e32 v27, 0
	s_and_saveexec_b64 s[90:91], vcc
	s_cbranch_execz .LBB4_6294
; %bb.6283:                             ;   in Loop: Header=BB4_6139 Depth=2
	v_and_b32_e32 v9, 0x7fffff, v6
	v_bfe_u32 v6, v6, 23, 8
	v_cmp_gt_u32_e64 s[18:19], s51, v6
	v_sub_u32_e32 v8, 0x79, v6
	v_cmp_eq_u32_e32 vcc, 0, v6
	v_cndmask_b32_e64 v8, 0, v8, s[18:19]
	v_or_b32_e32 v16, 0x800000, v9
	v_cndmask_b32_e32 v8, v8, v59, vcc
	v_cndmask_b32_e32 v34, v16, v9, vcc
	v_add_u32_e32 v9, 20, v8
	v_lshlrev_b64 v[16:17], v9, -1
	v_add_u32_e32 v9, 19, v8
	v_lshlrev_b64 v[18:19], v9, 1
	v_bfi_b32 v17, v17, 0, 0
	v_bfi_b32 v16, v16, 0, v34
	v_cmp_eq_u64_e64 s[18:19], v[16:17], v[18:19]
	v_lshrrev_b64 v[16:17], v8, v[34:35]
	v_mov_b32_e32 v49, v17
	v_mov_b32_e32 v48, v16
	s_and_saveexec_b64 s[92:93], s[18:19]
; %bb.6284:                             ;   in Loop: Header=BB4_6139 Depth=2
	v_bfe_u32 v9, v16, 20, 1
	v_add_co_u32_e64 v9, s[18:19], v16, v9
	v_add_co_u32_e64 v48, s[18:19], -1, v9
; %bb.6285:                             ;   in Loop: Header=BB4_6139 Depth=2
	s_or_b64 exec, exec, s[92:93]
	v_add_u32_e32 v6, 0xffffff81, v6
	v_cndmask_b32_e32 v6, v6, v60, vcc
	v_lshrrev_b32_e32 v9, 23, v16
	v_add3_u32 v9, v8, v6, v9
	v_add_u32_e32 v8, 6, v9
	v_and_b32_e32 v6, 0xfffff, v48
	v_add_u32_e32 v34, v6, v16
	v_cmp_ne_u32_e32 vcc, 0, v8
                                        ; implicit-def: $vgpr16_vgpr17
                                        ; implicit-def: $vgpr6
	s_and_saveexec_b64 s[18:19], vcc
	s_xor_b64 s[18:19], exec, s[18:19]
; %bb.6286:                             ;   in Loop: Header=BB4_6139 Depth=2
	v_cmp_lt_u64_e32 vcc, s[58:59], v[34:35]
	v_add_u32_e32 v6, 7, v9
	v_cndmask_b32_e32 v6, v8, v6, vcc
	v_cndmask_b32_e64 v8, 0, 1, vcc
	v_lshrrev_b64 v[16:17], v8, v[34:35]
; %bb.6287:                             ;   in Loop: Header=BB4_6139 Depth=2
	s_andn2_saveexec_b64 s[18:19], s[18:19]
; %bb.6288:                             ;   in Loop: Header=BB4_6139 Depth=2
	v_mov_b32_e32 v16, v34
	v_bfe_u32 v6, v34, 23, 1
	v_mov_b32_e32 v17, v35
; %bb.6289:                             ;   in Loop: Header=BB4_6139 Depth=2
	s_or_b64 exec, exec, s[18:19]
	v_lshrrev_b64 v[8:9], 20, v[16:17]
	v_cmp_gt_i32_e32 vcc, 16, v6
	v_cndmask_b32_e32 v17, 0, v9, vcc
	v_cndmask_b32_e32 v16, 7, v8, vcc
	v_cmp_ne_u64_e32 vcc, 0, v[16:17]
	v_cmp_ne_u32_e64 s[18:19], 0, v6
	s_or_b64 s[18:19], s[18:19], vcc
                                        ; implicit-def: $vgpr27
	s_and_saveexec_b64 s[92:93], s[18:19]
	s_xor_b64 s[18:19], exec, s[92:93]
; %bb.6290:                             ;   in Loop: Header=BB4_6139 Depth=2
	v_min_i32_e32 v6, 15, v6
	v_lshl_or_b32 v2, v6, 3, v2
	v_and_or_b32 v27, v16, 7, v2
                                        ; implicit-def: $vgpr2
; %bb.6291:                             ;   in Loop: Header=BB4_6139 Depth=2
	s_andn2_saveexec_b64 s[18:19], s[18:19]
; %bb.6292:                             ;   in Loop: Header=BB4_6139 Depth=2
	v_mov_b32_e32 v27, v2
; %bb.6293:                             ;   in Loop: Header=BB4_6139 Depth=2
	s_or_b64 exec, exec, s[18:19]
.LBB4_6294:                             ;   in Loop: Header=BB4_6139 Depth=2
	s_or_b64 exec, exec, s[90:91]
                                        ; implicit-def: $vgpr2
.LBB4_6295:                             ;   in Loop: Header=BB4_6139 Depth=2
	s_andn2_saveexec_b64 s[18:19], s[88:89]
; %bb.6296:                             ;   in Loop: Header=BB4_6139 Depth=2
	v_or_b32_e32 v27, 0x7e, v2
; %bb.6297:                             ;   in Loop: Header=BB4_6139 Depth=2
	s_or_b64 exec, exec, s[18:19]
                                        ; implicit-def: $vgpr6
.LBB4_6298:                             ;   in Loop: Header=BB4_6139 Depth=2
	s_andn2_saveexec_b64 s[18:19], s[78:79]
; %bb.6299:                             ;   in Loop: Header=BB4_6139 Depth=2
	v_or_b32_sdwa v27, v6, s39 dst_sel:DWORD dst_unused:UNUSED_PAD src0_sel:BYTE_3 src1_sel:DWORD
; %bb.6300:                             ;   in Loop: Header=BB4_6139 Depth=2
	s_or_b64 exec, exec, s[18:19]
	flat_load_ubyte v2, v[10:11] offset:384 glc slc
	v_mov_b32_e32 v6, 0
	s_waitcnt vmcnt(0) lgkmcnt(0)
	v_cmp_ne_u16_e32 vcc, 0, v2
	s_and_saveexec_b64 s[18:19], vcc
	s_cbranch_execz .LBB4_6306
; %bb.6301:                             ;   in Loop: Header=BB4_6139 Depth=2
	v_cmp_ne_u16_e32 vcc, s50, v2
	v_bfrev_b32_e32 v6, 1
	s_and_saveexec_b64 s[78:79], vcc
	s_cbranch_execz .LBB4_6305
; %bb.6302:                             ;   in Loop: Header=BB4_6139 Depth=2
	v_and_b32_e32 v16, 0xffff, v2
	v_and_b32_e32 v8, 0x7f, v16
	v_cmp_ne_u32_e32 vcc, s39, v8
	v_mov_b32_e32 v6, 0x7f800001
	s_and_saveexec_b64 s[88:89], vcc
	s_cbranch_execz .LBB4_6304
; %bb.6303:                             ;   in Loop: Header=BB4_6139 Depth=2
	v_and_b32_e32 v6, 7, v16
	v_lshrrev_b32_e32 v17, 3, v8
	v_cmp_gt_u32_e32 vcc, 8, v8
	v_ffbh_u32_e32 v8, v6
	v_min_u32_e32 v18, 32, v8
	v_subrev_u32_e32 v8, 28, v18
	v_lshlrev_b64 v[8:9], v8, v[16:17]
	v_sub_u32_e32 v9, 29, v18
	v_and_b32_e32 v8, 7, v8
	v_cndmask_b32_e32 v9, v17, v9, vcc
	v_cndmask_b32_e32 v6, v6, v8, vcc
	v_lshlrev_b32_e32 v2, 24, v2
	v_lshlrev_b32_e32 v6, 20, v6
	v_and_b32_e32 v2, 0x80000000, v2
	v_lshl_add_u32 v8, v9, 23, v58
	v_or3_b32 v6, v2, v8, v6
.LBB4_6304:                             ;   in Loop: Header=BB4_6139 Depth=2
	s_or_b64 exec, exec, s[88:89]
.LBB4_6305:                             ;   in Loop: Header=BB4_6139 Depth=2
	s_or_b64 exec, exec, s[78:79]
.LBB4_6306:                             ;   in Loop: Header=BB4_6139 Depth=2
	s_or_b64 exec, exec, s[18:19]
	v_mul_f32_e32 v6, s94, v6
	v_and_b32_e32 v34, 0x7f800000, v6
	v_cmp_ne_u64_e32 vcc, s[46:47], v[34:35]
                                        ; implicit-def: $vgpr26
	s_and_saveexec_b64 s[18:19], vcc
	s_xor_b64 s[78:79], exec, s[18:19]
	s_cbranch_execz .LBB4_6324
; %bb.6307:                             ;   in Loop: Header=BB4_6139 Depth=2
	v_and_b32_e32 v34, 0x7fffffff, v6
	v_cmp_gt_u64_e32 vcc, s[56:57], v[34:35]
	v_and_b32_sdwa v2, v6, s50 dst_sel:DWORD dst_unused:UNUSED_PAD src0_sel:BYTE_3 src1_sel:DWORD
                                        ; implicit-def: $vgpr26
	s_and_saveexec_b64 s[18:19], vcc
	s_xor_b64 s[88:89], exec, s[18:19]
	s_cbranch_execz .LBB4_6321
; %bb.6308:                             ;   in Loop: Header=BB4_6139 Depth=2
	v_cmp_ne_u32_e32 vcc, 0, v6
	v_mov_b32_e32 v26, 0
	s_and_saveexec_b64 s[90:91], vcc
	s_cbranch_execz .LBB4_6320
; %bb.6309:                             ;   in Loop: Header=BB4_6139 Depth=2
	v_and_b32_e32 v9, 0x7fffff, v6
	v_bfe_u32 v6, v6, 23, 8
	v_cmp_gt_u32_e64 s[18:19], s51, v6
	v_sub_u32_e32 v8, 0x79, v6
	v_cmp_eq_u32_e32 vcc, 0, v6
	v_cndmask_b32_e64 v8, 0, v8, s[18:19]
	v_or_b32_e32 v16, 0x800000, v9
	v_cndmask_b32_e32 v8, v8, v59, vcc
	v_cndmask_b32_e32 v34, v16, v9, vcc
	v_add_u32_e32 v9, 20, v8
	v_lshlrev_b64 v[16:17], v9, -1
	v_add_u32_e32 v9, 19, v8
	v_lshlrev_b64 v[18:19], v9, 1
	v_bfi_b32 v17, v17, 0, 0
	v_bfi_b32 v16, v16, 0, v34
	v_cmp_eq_u64_e64 s[18:19], v[16:17], v[18:19]
	v_lshrrev_b64 v[16:17], v8, v[34:35]
	v_mov_b32_e32 v49, v17
	v_mov_b32_e32 v48, v16
	s_and_saveexec_b64 s[92:93], s[18:19]
; %bb.6310:                             ;   in Loop: Header=BB4_6139 Depth=2
	v_bfe_u32 v9, v16, 20, 1
	v_add_co_u32_e64 v9, s[18:19], v16, v9
	v_add_co_u32_e64 v48, s[18:19], -1, v9
; %bb.6311:                             ;   in Loop: Header=BB4_6139 Depth=2
	s_or_b64 exec, exec, s[92:93]
	v_add_u32_e32 v6, 0xffffff81, v6
	v_cndmask_b32_e32 v6, v6, v60, vcc
	v_lshrrev_b32_e32 v9, 23, v16
	v_add3_u32 v9, v8, v6, v9
	v_add_u32_e32 v8, 6, v9
	v_and_b32_e32 v6, 0xfffff, v48
	v_add_u32_e32 v34, v6, v16
	v_cmp_ne_u32_e32 vcc, 0, v8
                                        ; implicit-def: $vgpr16_vgpr17
                                        ; implicit-def: $vgpr6
	s_and_saveexec_b64 s[18:19], vcc
	s_xor_b64 s[18:19], exec, s[18:19]
; %bb.6312:                             ;   in Loop: Header=BB4_6139 Depth=2
	v_cmp_lt_u64_e32 vcc, s[58:59], v[34:35]
	v_add_u32_e32 v6, 7, v9
	v_cndmask_b32_e32 v6, v8, v6, vcc
	v_cndmask_b32_e64 v8, 0, 1, vcc
	v_lshrrev_b64 v[16:17], v8, v[34:35]
; %bb.6313:                             ;   in Loop: Header=BB4_6139 Depth=2
	s_andn2_saveexec_b64 s[18:19], s[18:19]
; %bb.6314:                             ;   in Loop: Header=BB4_6139 Depth=2
	v_mov_b32_e32 v16, v34
	v_bfe_u32 v6, v34, 23, 1
	v_mov_b32_e32 v17, v35
; %bb.6315:                             ;   in Loop: Header=BB4_6139 Depth=2
	s_or_b64 exec, exec, s[18:19]
	v_lshrrev_b64 v[8:9], 20, v[16:17]
	v_cmp_gt_i32_e32 vcc, 16, v6
	v_cndmask_b32_e32 v17, 0, v9, vcc
	v_cndmask_b32_e32 v16, 7, v8, vcc
	v_cmp_ne_u64_e32 vcc, 0, v[16:17]
	v_cmp_ne_u32_e64 s[18:19], 0, v6
	s_or_b64 s[18:19], s[18:19], vcc
                                        ; implicit-def: $vgpr26
	s_and_saveexec_b64 s[92:93], s[18:19]
	s_xor_b64 s[18:19], exec, s[92:93]
; %bb.6316:                             ;   in Loop: Header=BB4_6139 Depth=2
	v_min_i32_e32 v6, 15, v6
	v_lshl_or_b32 v2, v6, 3, v2
	v_and_or_b32 v26, v16, 7, v2
                                        ; implicit-def: $vgpr2
; %bb.6317:                             ;   in Loop: Header=BB4_6139 Depth=2
	s_andn2_saveexec_b64 s[18:19], s[18:19]
; %bb.6318:                             ;   in Loop: Header=BB4_6139 Depth=2
	v_mov_b32_e32 v26, v2
; %bb.6319:                             ;   in Loop: Header=BB4_6139 Depth=2
	s_or_b64 exec, exec, s[18:19]
.LBB4_6320:                             ;   in Loop: Header=BB4_6139 Depth=2
	s_or_b64 exec, exec, s[90:91]
                                        ; implicit-def: $vgpr2
.LBB4_6321:                             ;   in Loop: Header=BB4_6139 Depth=2
	s_andn2_saveexec_b64 s[18:19], s[88:89]
; %bb.6322:                             ;   in Loop: Header=BB4_6139 Depth=2
	v_or_b32_e32 v26, 0x7e, v2
; %bb.6323:                             ;   in Loop: Header=BB4_6139 Depth=2
	s_or_b64 exec, exec, s[18:19]
                                        ; implicit-def: $vgpr6
.LBB4_6324:                             ;   in Loop: Header=BB4_6139 Depth=2
	s_andn2_saveexec_b64 s[18:19], s[78:79]
; %bb.6325:                             ;   in Loop: Header=BB4_6139 Depth=2
	v_or_b32_sdwa v26, v6, s39 dst_sel:DWORD dst_unused:UNUSED_PAD src0_sel:BYTE_3 src1_sel:DWORD
; %bb.6326:                             ;   in Loop: Header=BB4_6139 Depth=2
	s_or_b64 exec, exec, s[18:19]
	flat_load_ubyte v2, v[10:11] offset:448 glc slc
	v_mov_b32_e32 v6, 0
	s_waitcnt vmcnt(0) lgkmcnt(0)
	v_cmp_ne_u16_e32 vcc, 0, v2
	s_and_saveexec_b64 s[18:19], vcc
	s_cbranch_execz .LBB4_6332
; %bb.6327:                             ;   in Loop: Header=BB4_6139 Depth=2
	v_cmp_ne_u16_e32 vcc, s50, v2
	v_bfrev_b32_e32 v6, 1
	s_and_saveexec_b64 s[78:79], vcc
	s_cbranch_execz .LBB4_6331
; %bb.6328:                             ;   in Loop: Header=BB4_6139 Depth=2
	v_and_b32_e32 v16, 0xffff, v2
	v_and_b32_e32 v8, 0x7f, v16
	v_cmp_ne_u32_e32 vcc, s39, v8
	v_mov_b32_e32 v6, 0x7f800001
	s_and_saveexec_b64 s[88:89], vcc
	s_cbranch_execz .LBB4_6330
; %bb.6329:                             ;   in Loop: Header=BB4_6139 Depth=2
	v_and_b32_e32 v6, 7, v16
	v_lshrrev_b32_e32 v17, 3, v8
	v_cmp_gt_u32_e32 vcc, 8, v8
	v_ffbh_u32_e32 v8, v6
	v_min_u32_e32 v18, 32, v8
	v_subrev_u32_e32 v8, 28, v18
	v_lshlrev_b64 v[8:9], v8, v[16:17]
	v_sub_u32_e32 v9, 29, v18
	v_and_b32_e32 v8, 7, v8
	v_cndmask_b32_e32 v9, v17, v9, vcc
	v_cndmask_b32_e32 v6, v6, v8, vcc
	v_lshlrev_b32_e32 v2, 24, v2
	v_lshlrev_b32_e32 v6, 20, v6
	v_and_b32_e32 v2, 0x80000000, v2
	v_lshl_add_u32 v8, v9, 23, v58
	v_or3_b32 v6, v2, v8, v6
.LBB4_6330:                             ;   in Loop: Header=BB4_6139 Depth=2
	s_or_b64 exec, exec, s[88:89]
.LBB4_6331:                             ;   in Loop: Header=BB4_6139 Depth=2
	s_or_b64 exec, exec, s[78:79]
.LBB4_6332:                             ;   in Loop: Header=BB4_6139 Depth=2
	s_or_b64 exec, exec, s[18:19]
	v_mul_f32_e32 v6, s94, v6
	v_and_b32_e32 v34, 0x7f800000, v6
	v_cmp_ne_u64_e32 vcc, s[46:47], v[34:35]
                                        ; implicit-def: $vgpr25
	s_and_saveexec_b64 s[18:19], vcc
	s_xor_b64 s[78:79], exec, s[18:19]
	s_cbranch_execz .LBB4_6350
; %bb.6333:                             ;   in Loop: Header=BB4_6139 Depth=2
	v_and_b32_e32 v34, 0x7fffffff, v6
	v_cmp_gt_u64_e32 vcc, s[56:57], v[34:35]
	v_and_b32_sdwa v2, v6, s50 dst_sel:DWORD dst_unused:UNUSED_PAD src0_sel:BYTE_3 src1_sel:DWORD
                                        ; implicit-def: $vgpr25
	s_and_saveexec_b64 s[18:19], vcc
	s_xor_b64 s[88:89], exec, s[18:19]
	s_cbranch_execz .LBB4_6347
; %bb.6334:                             ;   in Loop: Header=BB4_6139 Depth=2
	v_cmp_ne_u32_e32 vcc, 0, v6
	v_mov_b32_e32 v25, 0
	s_and_saveexec_b64 s[90:91], vcc
	s_cbranch_execz .LBB4_6346
; %bb.6335:                             ;   in Loop: Header=BB4_6139 Depth=2
	v_and_b32_e32 v9, 0x7fffff, v6
	v_bfe_u32 v6, v6, 23, 8
	v_cmp_gt_u32_e64 s[18:19], s51, v6
	v_sub_u32_e32 v8, 0x79, v6
	v_cmp_eq_u32_e32 vcc, 0, v6
	v_cndmask_b32_e64 v8, 0, v8, s[18:19]
	v_or_b32_e32 v16, 0x800000, v9
	v_cndmask_b32_e32 v8, v8, v59, vcc
	v_cndmask_b32_e32 v34, v16, v9, vcc
	v_add_u32_e32 v9, 20, v8
	v_lshlrev_b64 v[16:17], v9, -1
	v_add_u32_e32 v9, 19, v8
	v_lshlrev_b64 v[18:19], v9, 1
	v_bfi_b32 v17, v17, 0, 0
	v_bfi_b32 v16, v16, 0, v34
	v_cmp_eq_u64_e64 s[18:19], v[16:17], v[18:19]
	v_lshrrev_b64 v[16:17], v8, v[34:35]
	v_mov_b32_e32 v49, v17
	v_mov_b32_e32 v48, v16
	s_and_saveexec_b64 s[92:93], s[18:19]
; %bb.6336:                             ;   in Loop: Header=BB4_6139 Depth=2
	v_bfe_u32 v9, v16, 20, 1
	v_add_co_u32_e64 v9, s[18:19], v16, v9
	v_add_co_u32_e64 v48, s[18:19], -1, v9
; %bb.6337:                             ;   in Loop: Header=BB4_6139 Depth=2
	s_or_b64 exec, exec, s[92:93]
	v_add_u32_e32 v6, 0xffffff81, v6
	v_cndmask_b32_e32 v6, v6, v60, vcc
	v_lshrrev_b32_e32 v9, 23, v16
	v_add3_u32 v9, v8, v6, v9
	v_add_u32_e32 v8, 6, v9
	v_and_b32_e32 v6, 0xfffff, v48
	v_add_u32_e32 v34, v6, v16
	v_cmp_ne_u32_e32 vcc, 0, v8
                                        ; implicit-def: $vgpr16_vgpr17
                                        ; implicit-def: $vgpr6
	s_and_saveexec_b64 s[18:19], vcc
	s_xor_b64 s[18:19], exec, s[18:19]
; %bb.6338:                             ;   in Loop: Header=BB4_6139 Depth=2
	v_cmp_lt_u64_e32 vcc, s[58:59], v[34:35]
	v_add_u32_e32 v6, 7, v9
	v_cndmask_b32_e32 v6, v8, v6, vcc
	v_cndmask_b32_e64 v8, 0, 1, vcc
	v_lshrrev_b64 v[16:17], v8, v[34:35]
; %bb.6339:                             ;   in Loop: Header=BB4_6139 Depth=2
	s_andn2_saveexec_b64 s[18:19], s[18:19]
; %bb.6340:                             ;   in Loop: Header=BB4_6139 Depth=2
	v_mov_b32_e32 v16, v34
	v_bfe_u32 v6, v34, 23, 1
	v_mov_b32_e32 v17, v35
; %bb.6341:                             ;   in Loop: Header=BB4_6139 Depth=2
	s_or_b64 exec, exec, s[18:19]
	v_lshrrev_b64 v[8:9], 20, v[16:17]
	v_cmp_gt_i32_e32 vcc, 16, v6
	v_cndmask_b32_e32 v17, 0, v9, vcc
	v_cndmask_b32_e32 v16, 7, v8, vcc
	v_cmp_ne_u64_e32 vcc, 0, v[16:17]
	v_cmp_ne_u32_e64 s[18:19], 0, v6
	s_or_b64 s[18:19], s[18:19], vcc
                                        ; implicit-def: $vgpr25
	s_and_saveexec_b64 s[92:93], s[18:19]
	s_xor_b64 s[18:19], exec, s[92:93]
; %bb.6342:                             ;   in Loop: Header=BB4_6139 Depth=2
	v_min_i32_e32 v6, 15, v6
	v_lshl_or_b32 v2, v6, 3, v2
	v_and_or_b32 v25, v16, 7, v2
                                        ; implicit-def: $vgpr2
; %bb.6343:                             ;   in Loop: Header=BB4_6139 Depth=2
	s_andn2_saveexec_b64 s[18:19], s[18:19]
; %bb.6344:                             ;   in Loop: Header=BB4_6139 Depth=2
	v_mov_b32_e32 v25, v2
; %bb.6345:                             ;   in Loop: Header=BB4_6139 Depth=2
	s_or_b64 exec, exec, s[18:19]
.LBB4_6346:                             ;   in Loop: Header=BB4_6139 Depth=2
	s_or_b64 exec, exec, s[90:91]
                                        ; implicit-def: $vgpr2
.LBB4_6347:                             ;   in Loop: Header=BB4_6139 Depth=2
	s_andn2_saveexec_b64 s[18:19], s[88:89]
; %bb.6348:                             ;   in Loop: Header=BB4_6139 Depth=2
	v_or_b32_e32 v25, 0x7e, v2
; %bb.6349:                             ;   in Loop: Header=BB4_6139 Depth=2
	s_or_b64 exec, exec, s[18:19]
                                        ; implicit-def: $vgpr6
.LBB4_6350:                             ;   in Loop: Header=BB4_6139 Depth=2
	s_andn2_saveexec_b64 s[18:19], s[78:79]
; %bb.6351:                             ;   in Loop: Header=BB4_6139 Depth=2
	v_or_b32_sdwa v25, v6, s39 dst_sel:DWORD dst_unused:UNUSED_PAD src0_sel:BYTE_3 src1_sel:DWORD
; %bb.6352:                             ;   in Loop: Header=BB4_6139 Depth=2
	s_or_b64 exec, exec, s[18:19]
	flat_load_ubyte v2, v[10:11] offset:512 glc slc
	v_mov_b32_e32 v6, 0
	s_waitcnt vmcnt(0) lgkmcnt(0)
	v_cmp_ne_u16_e32 vcc, 0, v2
	s_and_saveexec_b64 s[18:19], vcc
	s_cbranch_execz .LBB4_6358
; %bb.6353:                             ;   in Loop: Header=BB4_6139 Depth=2
	v_cmp_ne_u16_e32 vcc, s50, v2
	v_bfrev_b32_e32 v6, 1
	s_and_saveexec_b64 s[78:79], vcc
	s_cbranch_execz .LBB4_6357
; %bb.6354:                             ;   in Loop: Header=BB4_6139 Depth=2
	v_and_b32_e32 v16, 0xffff, v2
	v_and_b32_e32 v8, 0x7f, v16
	v_cmp_ne_u32_e32 vcc, s39, v8
	v_mov_b32_e32 v6, 0x7f800001
	s_and_saveexec_b64 s[88:89], vcc
	s_cbranch_execz .LBB4_6356
; %bb.6355:                             ;   in Loop: Header=BB4_6139 Depth=2
	v_and_b32_e32 v6, 7, v16
	v_lshrrev_b32_e32 v17, 3, v8
	v_cmp_gt_u32_e32 vcc, 8, v8
	v_ffbh_u32_e32 v8, v6
	v_min_u32_e32 v18, 32, v8
	v_subrev_u32_e32 v8, 28, v18
	v_lshlrev_b64 v[8:9], v8, v[16:17]
	v_sub_u32_e32 v9, 29, v18
	v_and_b32_e32 v8, 7, v8
	v_cndmask_b32_e32 v9, v17, v9, vcc
	v_cndmask_b32_e32 v6, v6, v8, vcc
	v_lshlrev_b32_e32 v2, 24, v2
	v_lshlrev_b32_e32 v6, 20, v6
	v_and_b32_e32 v2, 0x80000000, v2
	v_lshl_add_u32 v8, v9, 23, v58
	v_or3_b32 v6, v2, v8, v6
.LBB4_6356:                             ;   in Loop: Header=BB4_6139 Depth=2
	s_or_b64 exec, exec, s[88:89]
.LBB4_6357:                             ;   in Loop: Header=BB4_6139 Depth=2
	s_or_b64 exec, exec, s[78:79]
.LBB4_6358:                             ;   in Loop: Header=BB4_6139 Depth=2
	s_or_b64 exec, exec, s[18:19]
	v_mul_f32_e32 v6, s94, v6
	v_and_b32_e32 v34, 0x7f800000, v6
	v_cmp_ne_u64_e32 vcc, s[46:47], v[34:35]
                                        ; implicit-def: $vgpr24
	s_and_saveexec_b64 s[18:19], vcc
	s_xor_b64 s[78:79], exec, s[18:19]
	s_cbranch_execz .LBB4_6376
; %bb.6359:                             ;   in Loop: Header=BB4_6139 Depth=2
	v_and_b32_e32 v34, 0x7fffffff, v6
	v_cmp_gt_u64_e32 vcc, s[56:57], v[34:35]
	v_and_b32_sdwa v2, v6, s50 dst_sel:DWORD dst_unused:UNUSED_PAD src0_sel:BYTE_3 src1_sel:DWORD
                                        ; implicit-def: $vgpr24
	s_and_saveexec_b64 s[18:19], vcc
	s_xor_b64 s[88:89], exec, s[18:19]
	s_cbranch_execz .LBB4_6373
; %bb.6360:                             ;   in Loop: Header=BB4_6139 Depth=2
	v_cmp_ne_u32_e32 vcc, 0, v6
	v_mov_b32_e32 v24, 0
	s_and_saveexec_b64 s[90:91], vcc
	s_cbranch_execz .LBB4_6372
; %bb.6361:                             ;   in Loop: Header=BB4_6139 Depth=2
	v_and_b32_e32 v9, 0x7fffff, v6
	v_bfe_u32 v6, v6, 23, 8
	v_cmp_gt_u32_e64 s[18:19], s51, v6
	v_sub_u32_e32 v8, 0x79, v6
	v_cmp_eq_u32_e32 vcc, 0, v6
	v_cndmask_b32_e64 v8, 0, v8, s[18:19]
	v_or_b32_e32 v16, 0x800000, v9
	v_cndmask_b32_e32 v8, v8, v59, vcc
	v_cndmask_b32_e32 v34, v16, v9, vcc
	v_add_u32_e32 v9, 20, v8
	v_lshlrev_b64 v[16:17], v9, -1
	v_add_u32_e32 v9, 19, v8
	v_lshlrev_b64 v[18:19], v9, 1
	v_bfi_b32 v17, v17, 0, 0
	v_bfi_b32 v16, v16, 0, v34
	v_cmp_eq_u64_e64 s[18:19], v[16:17], v[18:19]
	v_lshrrev_b64 v[16:17], v8, v[34:35]
	v_mov_b32_e32 v49, v17
	v_mov_b32_e32 v48, v16
	s_and_saveexec_b64 s[92:93], s[18:19]
; %bb.6362:                             ;   in Loop: Header=BB4_6139 Depth=2
	v_bfe_u32 v9, v16, 20, 1
	v_add_co_u32_e64 v9, s[18:19], v16, v9
	v_add_co_u32_e64 v48, s[18:19], -1, v9
; %bb.6363:                             ;   in Loop: Header=BB4_6139 Depth=2
	s_or_b64 exec, exec, s[92:93]
	v_add_u32_e32 v6, 0xffffff81, v6
	v_cndmask_b32_e32 v6, v6, v60, vcc
	v_lshrrev_b32_e32 v9, 23, v16
	v_add3_u32 v9, v8, v6, v9
	v_add_u32_e32 v8, 6, v9
	v_and_b32_e32 v6, 0xfffff, v48
	v_add_u32_e32 v34, v6, v16
	v_cmp_ne_u32_e32 vcc, 0, v8
                                        ; implicit-def: $vgpr16_vgpr17
                                        ; implicit-def: $vgpr6
	s_and_saveexec_b64 s[18:19], vcc
	s_xor_b64 s[18:19], exec, s[18:19]
; %bb.6364:                             ;   in Loop: Header=BB4_6139 Depth=2
	v_cmp_lt_u64_e32 vcc, s[58:59], v[34:35]
	v_add_u32_e32 v6, 7, v9
	v_cndmask_b32_e32 v6, v8, v6, vcc
	v_cndmask_b32_e64 v8, 0, 1, vcc
	v_lshrrev_b64 v[16:17], v8, v[34:35]
; %bb.6365:                             ;   in Loop: Header=BB4_6139 Depth=2
	s_andn2_saveexec_b64 s[18:19], s[18:19]
; %bb.6366:                             ;   in Loop: Header=BB4_6139 Depth=2
	v_mov_b32_e32 v16, v34
	v_bfe_u32 v6, v34, 23, 1
	v_mov_b32_e32 v17, v35
; %bb.6367:                             ;   in Loop: Header=BB4_6139 Depth=2
	s_or_b64 exec, exec, s[18:19]
	v_lshrrev_b64 v[8:9], 20, v[16:17]
	v_cmp_gt_i32_e32 vcc, 16, v6
	v_cndmask_b32_e32 v17, 0, v9, vcc
	v_cndmask_b32_e32 v16, 7, v8, vcc
	v_cmp_ne_u64_e32 vcc, 0, v[16:17]
	v_cmp_ne_u32_e64 s[18:19], 0, v6
	s_or_b64 s[18:19], s[18:19], vcc
                                        ; implicit-def: $vgpr24
	s_and_saveexec_b64 s[92:93], s[18:19]
	s_xor_b64 s[18:19], exec, s[92:93]
; %bb.6368:                             ;   in Loop: Header=BB4_6139 Depth=2
	v_min_i32_e32 v6, 15, v6
	v_lshl_or_b32 v2, v6, 3, v2
	v_and_or_b32 v24, v16, 7, v2
                                        ; implicit-def: $vgpr2
; %bb.6369:                             ;   in Loop: Header=BB4_6139 Depth=2
	s_andn2_saveexec_b64 s[18:19], s[18:19]
; %bb.6370:                             ;   in Loop: Header=BB4_6139 Depth=2
	v_mov_b32_e32 v24, v2
; %bb.6371:                             ;   in Loop: Header=BB4_6139 Depth=2
	s_or_b64 exec, exec, s[18:19]
.LBB4_6372:                             ;   in Loop: Header=BB4_6139 Depth=2
	s_or_b64 exec, exec, s[90:91]
                                        ; implicit-def: $vgpr2
.LBB4_6373:                             ;   in Loop: Header=BB4_6139 Depth=2
	s_andn2_saveexec_b64 s[18:19], s[88:89]
; %bb.6374:                             ;   in Loop: Header=BB4_6139 Depth=2
	v_or_b32_e32 v24, 0x7e, v2
; %bb.6375:                             ;   in Loop: Header=BB4_6139 Depth=2
	s_or_b64 exec, exec, s[18:19]
                                        ; implicit-def: $vgpr6
.LBB4_6376:                             ;   in Loop: Header=BB4_6139 Depth=2
	s_andn2_saveexec_b64 s[18:19], s[78:79]
; %bb.6377:                             ;   in Loop: Header=BB4_6139 Depth=2
	v_or_b32_sdwa v24, v6, s39 dst_sel:DWORD dst_unused:UNUSED_PAD src0_sel:BYTE_3 src1_sel:DWORD
; %bb.6378:                             ;   in Loop: Header=BB4_6139 Depth=2
	s_or_b64 exec, exec, s[18:19]
	flat_load_ubyte v2, v[10:11] offset:576 glc slc
	v_mov_b32_e32 v6, 0
	s_waitcnt vmcnt(0) lgkmcnt(0)
	v_cmp_ne_u16_e32 vcc, 0, v2
	s_and_saveexec_b64 s[18:19], vcc
	s_cbranch_execz .LBB4_6384
; %bb.6379:                             ;   in Loop: Header=BB4_6139 Depth=2
	v_cmp_ne_u16_e32 vcc, s50, v2
	v_bfrev_b32_e32 v6, 1
	s_and_saveexec_b64 s[78:79], vcc
	s_cbranch_execz .LBB4_6383
; %bb.6380:                             ;   in Loop: Header=BB4_6139 Depth=2
	v_and_b32_e32 v16, 0xffff, v2
	v_and_b32_e32 v8, 0x7f, v16
	v_cmp_ne_u32_e32 vcc, s39, v8
	v_mov_b32_e32 v6, 0x7f800001
	s_and_saveexec_b64 s[88:89], vcc
	s_cbranch_execz .LBB4_6382
; %bb.6381:                             ;   in Loop: Header=BB4_6139 Depth=2
	v_and_b32_e32 v6, 7, v16
	v_lshrrev_b32_e32 v17, 3, v8
	v_cmp_gt_u32_e32 vcc, 8, v8
	v_ffbh_u32_e32 v8, v6
	v_min_u32_e32 v18, 32, v8
	v_subrev_u32_e32 v8, 28, v18
	v_lshlrev_b64 v[8:9], v8, v[16:17]
	v_sub_u32_e32 v9, 29, v18
	v_and_b32_e32 v8, 7, v8
	v_cndmask_b32_e32 v9, v17, v9, vcc
	v_cndmask_b32_e32 v6, v6, v8, vcc
	v_lshlrev_b32_e32 v2, 24, v2
	v_lshlrev_b32_e32 v6, 20, v6
	v_and_b32_e32 v2, 0x80000000, v2
	v_lshl_add_u32 v8, v9, 23, v58
	v_or3_b32 v6, v2, v8, v6
.LBB4_6382:                             ;   in Loop: Header=BB4_6139 Depth=2
	s_or_b64 exec, exec, s[88:89]
.LBB4_6383:                             ;   in Loop: Header=BB4_6139 Depth=2
	s_or_b64 exec, exec, s[78:79]
.LBB4_6384:                             ;   in Loop: Header=BB4_6139 Depth=2
	s_or_b64 exec, exec, s[18:19]
	v_mul_f32_e32 v6, s94, v6
	v_and_b32_e32 v34, 0x7f800000, v6
	v_cmp_ne_u64_e32 vcc, s[46:47], v[34:35]
                                        ; implicit-def: $vgpr21
	s_and_saveexec_b64 s[18:19], vcc
	s_xor_b64 s[78:79], exec, s[18:19]
	s_cbranch_execz .LBB4_6402
; %bb.6385:                             ;   in Loop: Header=BB4_6139 Depth=2
	v_and_b32_e32 v34, 0x7fffffff, v6
	v_cmp_gt_u64_e32 vcc, s[56:57], v[34:35]
	v_and_b32_sdwa v2, v6, s50 dst_sel:DWORD dst_unused:UNUSED_PAD src0_sel:BYTE_3 src1_sel:DWORD
                                        ; implicit-def: $vgpr21
	s_and_saveexec_b64 s[18:19], vcc
	s_xor_b64 s[88:89], exec, s[18:19]
	s_cbranch_execz .LBB4_6399
; %bb.6386:                             ;   in Loop: Header=BB4_6139 Depth=2
	v_cmp_ne_u32_e32 vcc, 0, v6
	v_mov_b32_e32 v21, 0
	s_and_saveexec_b64 s[90:91], vcc
	s_cbranch_execz .LBB4_6398
; %bb.6387:                             ;   in Loop: Header=BB4_6139 Depth=2
	v_and_b32_e32 v9, 0x7fffff, v6
	v_bfe_u32 v6, v6, 23, 8
	v_cmp_gt_u32_e64 s[18:19], s51, v6
	v_sub_u32_e32 v8, 0x79, v6
	v_cmp_eq_u32_e32 vcc, 0, v6
	v_cndmask_b32_e64 v8, 0, v8, s[18:19]
	v_or_b32_e32 v16, 0x800000, v9
	v_cndmask_b32_e32 v8, v8, v59, vcc
	v_cndmask_b32_e32 v34, v16, v9, vcc
	v_add_u32_e32 v9, 20, v8
	v_lshlrev_b64 v[16:17], v9, -1
	v_add_u32_e32 v9, 19, v8
	v_lshlrev_b64 v[18:19], v9, 1
	v_bfi_b32 v17, v17, 0, 0
	v_bfi_b32 v16, v16, 0, v34
	v_cmp_eq_u64_e64 s[18:19], v[16:17], v[18:19]
	v_lshrrev_b64 v[16:17], v8, v[34:35]
	v_mov_b32_e32 v49, v17
	v_mov_b32_e32 v48, v16
	s_and_saveexec_b64 s[92:93], s[18:19]
; %bb.6388:                             ;   in Loop: Header=BB4_6139 Depth=2
	v_bfe_u32 v9, v16, 20, 1
	v_add_co_u32_e64 v9, s[18:19], v16, v9
	v_add_co_u32_e64 v48, s[18:19], -1, v9
; %bb.6389:                             ;   in Loop: Header=BB4_6139 Depth=2
	s_or_b64 exec, exec, s[92:93]
	v_add_u32_e32 v6, 0xffffff81, v6
	v_cndmask_b32_e32 v6, v6, v60, vcc
	v_lshrrev_b32_e32 v9, 23, v16
	v_add3_u32 v9, v8, v6, v9
	v_add_u32_e32 v8, 6, v9
	v_and_b32_e32 v6, 0xfffff, v48
	v_add_u32_e32 v34, v6, v16
	v_cmp_ne_u32_e32 vcc, 0, v8
                                        ; implicit-def: $vgpr16_vgpr17
                                        ; implicit-def: $vgpr6
	s_and_saveexec_b64 s[18:19], vcc
	s_xor_b64 s[18:19], exec, s[18:19]
; %bb.6390:                             ;   in Loop: Header=BB4_6139 Depth=2
	v_cmp_lt_u64_e32 vcc, s[58:59], v[34:35]
	v_add_u32_e32 v6, 7, v9
	v_cndmask_b32_e32 v6, v8, v6, vcc
	v_cndmask_b32_e64 v8, 0, 1, vcc
	v_lshrrev_b64 v[16:17], v8, v[34:35]
; %bb.6391:                             ;   in Loop: Header=BB4_6139 Depth=2
	s_andn2_saveexec_b64 s[18:19], s[18:19]
; %bb.6392:                             ;   in Loop: Header=BB4_6139 Depth=2
	v_mov_b32_e32 v16, v34
	v_bfe_u32 v6, v34, 23, 1
	v_mov_b32_e32 v17, v35
; %bb.6393:                             ;   in Loop: Header=BB4_6139 Depth=2
	s_or_b64 exec, exec, s[18:19]
	v_lshrrev_b64 v[8:9], 20, v[16:17]
	v_cmp_gt_i32_e32 vcc, 16, v6
	v_cndmask_b32_e32 v17, 0, v9, vcc
	v_cndmask_b32_e32 v16, 7, v8, vcc
	v_cmp_ne_u64_e32 vcc, 0, v[16:17]
	v_cmp_ne_u32_e64 s[18:19], 0, v6
	s_or_b64 s[18:19], s[18:19], vcc
                                        ; implicit-def: $vgpr21
	s_and_saveexec_b64 s[92:93], s[18:19]
	s_xor_b64 s[18:19], exec, s[92:93]
; %bb.6394:                             ;   in Loop: Header=BB4_6139 Depth=2
	v_min_i32_e32 v6, 15, v6
	v_lshl_or_b32 v2, v6, 3, v2
	v_and_or_b32 v21, v16, 7, v2
                                        ; implicit-def: $vgpr2
; %bb.6395:                             ;   in Loop: Header=BB4_6139 Depth=2
	s_andn2_saveexec_b64 s[18:19], s[18:19]
; %bb.6396:                             ;   in Loop: Header=BB4_6139 Depth=2
	v_mov_b32_e32 v21, v2
; %bb.6397:                             ;   in Loop: Header=BB4_6139 Depth=2
	s_or_b64 exec, exec, s[18:19]
.LBB4_6398:                             ;   in Loop: Header=BB4_6139 Depth=2
	s_or_b64 exec, exec, s[90:91]
                                        ; implicit-def: $vgpr2
.LBB4_6399:                             ;   in Loop: Header=BB4_6139 Depth=2
	s_andn2_saveexec_b64 s[18:19], s[88:89]
; %bb.6400:                             ;   in Loop: Header=BB4_6139 Depth=2
	v_or_b32_e32 v21, 0x7e, v2
; %bb.6401:                             ;   in Loop: Header=BB4_6139 Depth=2
	s_or_b64 exec, exec, s[18:19]
                                        ; implicit-def: $vgpr6
.LBB4_6402:                             ;   in Loop: Header=BB4_6139 Depth=2
	s_andn2_saveexec_b64 s[18:19], s[78:79]
; %bb.6403:                             ;   in Loop: Header=BB4_6139 Depth=2
	v_or_b32_sdwa v21, v6, s39 dst_sel:DWORD dst_unused:UNUSED_PAD src0_sel:BYTE_3 src1_sel:DWORD
; %bb.6404:                             ;   in Loop: Header=BB4_6139 Depth=2
	s_or_b64 exec, exec, s[18:19]
	flat_load_ubyte v2, v[10:11] offset:640 glc slc
	v_mov_b32_e32 v6, 0
	s_waitcnt vmcnt(0) lgkmcnt(0)
	v_cmp_ne_u16_e32 vcc, 0, v2
	s_and_saveexec_b64 s[18:19], vcc
	s_cbranch_execz .LBB4_6410
; %bb.6405:                             ;   in Loop: Header=BB4_6139 Depth=2
	v_cmp_ne_u16_e32 vcc, s50, v2
	v_bfrev_b32_e32 v6, 1
	s_and_saveexec_b64 s[78:79], vcc
	s_cbranch_execz .LBB4_6409
; %bb.6406:                             ;   in Loop: Header=BB4_6139 Depth=2
	v_and_b32_e32 v16, 0xffff, v2
	v_and_b32_e32 v8, 0x7f, v16
	v_cmp_ne_u32_e32 vcc, s39, v8
	v_mov_b32_e32 v6, 0x7f800001
	s_and_saveexec_b64 s[88:89], vcc
	s_cbranch_execz .LBB4_6408
; %bb.6407:                             ;   in Loop: Header=BB4_6139 Depth=2
	v_and_b32_e32 v6, 7, v16
	v_lshrrev_b32_e32 v17, 3, v8
	v_cmp_gt_u32_e32 vcc, 8, v8
	v_ffbh_u32_e32 v8, v6
	v_min_u32_e32 v18, 32, v8
	v_subrev_u32_e32 v8, 28, v18
	v_lshlrev_b64 v[8:9], v8, v[16:17]
	v_sub_u32_e32 v9, 29, v18
	v_and_b32_e32 v8, 7, v8
	v_cndmask_b32_e32 v9, v17, v9, vcc
	v_cndmask_b32_e32 v6, v6, v8, vcc
	v_lshlrev_b32_e32 v2, 24, v2
	v_lshlrev_b32_e32 v6, 20, v6
	v_and_b32_e32 v2, 0x80000000, v2
	v_lshl_add_u32 v8, v9, 23, v58
	v_or3_b32 v6, v2, v8, v6
.LBB4_6408:                             ;   in Loop: Header=BB4_6139 Depth=2
	s_or_b64 exec, exec, s[88:89]
.LBB4_6409:                             ;   in Loop: Header=BB4_6139 Depth=2
	s_or_b64 exec, exec, s[78:79]
.LBB4_6410:                             ;   in Loop: Header=BB4_6139 Depth=2
	s_or_b64 exec, exec, s[18:19]
	v_mul_f32_e32 v6, s94, v6
	v_and_b32_e32 v34, 0x7f800000, v6
	v_cmp_ne_u64_e32 vcc, s[46:47], v[34:35]
                                        ; implicit-def: $vgpr20
	s_and_saveexec_b64 s[18:19], vcc
	s_xor_b64 s[78:79], exec, s[18:19]
	s_cbranch_execz .LBB4_6428
; %bb.6411:                             ;   in Loop: Header=BB4_6139 Depth=2
	v_and_b32_e32 v34, 0x7fffffff, v6
	v_cmp_gt_u64_e32 vcc, s[56:57], v[34:35]
	v_and_b32_sdwa v2, v6, s50 dst_sel:DWORD dst_unused:UNUSED_PAD src0_sel:BYTE_3 src1_sel:DWORD
                                        ; implicit-def: $vgpr20
	s_and_saveexec_b64 s[18:19], vcc
	s_xor_b64 s[88:89], exec, s[18:19]
	s_cbranch_execz .LBB4_6425
; %bb.6412:                             ;   in Loop: Header=BB4_6139 Depth=2
	v_cmp_ne_u32_e32 vcc, 0, v6
	v_mov_b32_e32 v20, 0
	s_and_saveexec_b64 s[90:91], vcc
	s_cbranch_execz .LBB4_6424
; %bb.6413:                             ;   in Loop: Header=BB4_6139 Depth=2
	v_and_b32_e32 v9, 0x7fffff, v6
	v_bfe_u32 v6, v6, 23, 8
	v_cmp_gt_u32_e64 s[18:19], s51, v6
	v_sub_u32_e32 v8, 0x79, v6
	v_cmp_eq_u32_e32 vcc, 0, v6
	v_cndmask_b32_e64 v8, 0, v8, s[18:19]
	v_or_b32_e32 v16, 0x800000, v9
	v_cndmask_b32_e32 v8, v8, v59, vcc
	v_cndmask_b32_e32 v34, v16, v9, vcc
	v_add_u32_e32 v9, 20, v8
	v_lshlrev_b64 v[16:17], v9, -1
	v_add_u32_e32 v9, 19, v8
	v_lshlrev_b64 v[18:19], v9, 1
	v_bfi_b32 v17, v17, 0, 0
	v_bfi_b32 v16, v16, 0, v34
	v_cmp_eq_u64_e64 s[18:19], v[16:17], v[18:19]
	v_lshrrev_b64 v[16:17], v8, v[34:35]
	v_mov_b32_e32 v49, v17
	v_mov_b32_e32 v48, v16
	s_and_saveexec_b64 s[92:93], s[18:19]
; %bb.6414:                             ;   in Loop: Header=BB4_6139 Depth=2
	v_bfe_u32 v9, v16, 20, 1
	v_add_co_u32_e64 v9, s[18:19], v16, v9
	v_add_co_u32_e64 v48, s[18:19], -1, v9
; %bb.6415:                             ;   in Loop: Header=BB4_6139 Depth=2
	s_or_b64 exec, exec, s[92:93]
	v_add_u32_e32 v6, 0xffffff81, v6
	v_cndmask_b32_e32 v6, v6, v60, vcc
	v_lshrrev_b32_e32 v9, 23, v16
	v_add3_u32 v9, v8, v6, v9
	v_add_u32_e32 v8, 6, v9
	v_and_b32_e32 v6, 0xfffff, v48
	v_add_u32_e32 v34, v6, v16
	v_cmp_ne_u32_e32 vcc, 0, v8
                                        ; implicit-def: $vgpr16_vgpr17
                                        ; implicit-def: $vgpr6
	s_and_saveexec_b64 s[18:19], vcc
	s_xor_b64 s[18:19], exec, s[18:19]
; %bb.6416:                             ;   in Loop: Header=BB4_6139 Depth=2
	v_cmp_lt_u64_e32 vcc, s[58:59], v[34:35]
	v_add_u32_e32 v6, 7, v9
	v_cndmask_b32_e32 v6, v8, v6, vcc
	v_cndmask_b32_e64 v8, 0, 1, vcc
	v_lshrrev_b64 v[16:17], v8, v[34:35]
; %bb.6417:                             ;   in Loop: Header=BB4_6139 Depth=2
	s_andn2_saveexec_b64 s[18:19], s[18:19]
; %bb.6418:                             ;   in Loop: Header=BB4_6139 Depth=2
	v_mov_b32_e32 v16, v34
	v_bfe_u32 v6, v34, 23, 1
	v_mov_b32_e32 v17, v35
; %bb.6419:                             ;   in Loop: Header=BB4_6139 Depth=2
	s_or_b64 exec, exec, s[18:19]
	v_lshrrev_b64 v[8:9], 20, v[16:17]
	v_cmp_gt_i32_e32 vcc, 16, v6
	v_cndmask_b32_e32 v17, 0, v9, vcc
	v_cndmask_b32_e32 v16, 7, v8, vcc
	v_cmp_ne_u64_e32 vcc, 0, v[16:17]
	v_cmp_ne_u32_e64 s[18:19], 0, v6
	s_or_b64 s[18:19], s[18:19], vcc
                                        ; implicit-def: $vgpr20
	s_and_saveexec_b64 s[92:93], s[18:19]
	s_xor_b64 s[18:19], exec, s[92:93]
; %bb.6420:                             ;   in Loop: Header=BB4_6139 Depth=2
	v_min_i32_e32 v6, 15, v6
	v_lshl_or_b32 v2, v6, 3, v2
	v_and_or_b32 v20, v16, 7, v2
                                        ; implicit-def: $vgpr2
; %bb.6421:                             ;   in Loop: Header=BB4_6139 Depth=2
	s_andn2_saveexec_b64 s[18:19], s[18:19]
; %bb.6422:                             ;   in Loop: Header=BB4_6139 Depth=2
	v_mov_b32_e32 v20, v2
; %bb.6423:                             ;   in Loop: Header=BB4_6139 Depth=2
	s_or_b64 exec, exec, s[18:19]
.LBB4_6424:                             ;   in Loop: Header=BB4_6139 Depth=2
	s_or_b64 exec, exec, s[90:91]
                                        ; implicit-def: $vgpr2
.LBB4_6425:                             ;   in Loop: Header=BB4_6139 Depth=2
	s_andn2_saveexec_b64 s[18:19], s[88:89]
; %bb.6426:                             ;   in Loop: Header=BB4_6139 Depth=2
	v_or_b32_e32 v20, 0x7e, v2
; %bb.6427:                             ;   in Loop: Header=BB4_6139 Depth=2
	s_or_b64 exec, exec, s[18:19]
                                        ; implicit-def: $vgpr6
.LBB4_6428:                             ;   in Loop: Header=BB4_6139 Depth=2
	s_andn2_saveexec_b64 s[18:19], s[78:79]
; %bb.6429:                             ;   in Loop: Header=BB4_6139 Depth=2
	v_or_b32_sdwa v20, v6, s39 dst_sel:DWORD dst_unused:UNUSED_PAD src0_sel:BYTE_3 src1_sel:DWORD
; %bb.6430:                             ;   in Loop: Header=BB4_6139 Depth=2
	s_or_b64 exec, exec, s[18:19]
	flat_load_ubyte v2, v[10:11] offset:704 glc slc
	v_mov_b32_e32 v6, 0
	s_waitcnt vmcnt(0) lgkmcnt(0)
	v_cmp_ne_u16_e32 vcc, 0, v2
	s_and_saveexec_b64 s[18:19], vcc
	s_cbranch_execz .LBB4_6436
; %bb.6431:                             ;   in Loop: Header=BB4_6139 Depth=2
	v_cmp_ne_u16_e32 vcc, s50, v2
	v_bfrev_b32_e32 v6, 1
	s_and_saveexec_b64 s[78:79], vcc
	s_cbranch_execz .LBB4_6435
; %bb.6432:                             ;   in Loop: Header=BB4_6139 Depth=2
	v_and_b32_e32 v16, 0xffff, v2
	v_and_b32_e32 v8, 0x7f, v16
	v_cmp_ne_u32_e32 vcc, s39, v8
	v_mov_b32_e32 v6, 0x7f800001
	s_and_saveexec_b64 s[88:89], vcc
	s_cbranch_execz .LBB4_6434
; %bb.6433:                             ;   in Loop: Header=BB4_6139 Depth=2
	v_and_b32_e32 v6, 7, v16
	v_lshrrev_b32_e32 v17, 3, v8
	v_cmp_gt_u32_e32 vcc, 8, v8
	v_ffbh_u32_e32 v8, v6
	v_min_u32_e32 v18, 32, v8
	v_subrev_u32_e32 v8, 28, v18
	v_lshlrev_b64 v[8:9], v8, v[16:17]
	v_sub_u32_e32 v9, 29, v18
	v_and_b32_e32 v8, 7, v8
	v_cndmask_b32_e32 v9, v17, v9, vcc
	v_cndmask_b32_e32 v6, v6, v8, vcc
	v_lshlrev_b32_e32 v2, 24, v2
	v_lshlrev_b32_e32 v6, 20, v6
	v_and_b32_e32 v2, 0x80000000, v2
	v_lshl_add_u32 v8, v9, 23, v58
	v_or3_b32 v6, v2, v8, v6
.LBB4_6434:                             ;   in Loop: Header=BB4_6139 Depth=2
	s_or_b64 exec, exec, s[88:89]
.LBB4_6435:                             ;   in Loop: Header=BB4_6139 Depth=2
	s_or_b64 exec, exec, s[78:79]
.LBB4_6436:                             ;   in Loop: Header=BB4_6139 Depth=2
	s_or_b64 exec, exec, s[18:19]
	v_mul_f32_e32 v6, s94, v6
	v_and_b32_e32 v34, 0x7f800000, v6
	v_cmp_ne_u64_e32 vcc, s[46:47], v[34:35]
                                        ; implicit-def: $vgpr19
	s_and_saveexec_b64 s[18:19], vcc
	s_xor_b64 s[78:79], exec, s[18:19]
	s_cbranch_execz .LBB4_6454
; %bb.6437:                             ;   in Loop: Header=BB4_6139 Depth=2
	v_and_b32_e32 v34, 0x7fffffff, v6
	v_cmp_gt_u64_e32 vcc, s[56:57], v[34:35]
	v_and_b32_sdwa v2, v6, s50 dst_sel:DWORD dst_unused:UNUSED_PAD src0_sel:BYTE_3 src1_sel:DWORD
                                        ; implicit-def: $vgpr19
	s_and_saveexec_b64 s[18:19], vcc
	s_xor_b64 s[88:89], exec, s[18:19]
	s_cbranch_execz .LBB4_6451
; %bb.6438:                             ;   in Loop: Header=BB4_6139 Depth=2
	v_cmp_ne_u32_e32 vcc, 0, v6
	v_mov_b32_e32 v19, 0
	s_and_saveexec_b64 s[90:91], vcc
	s_cbranch_execz .LBB4_6450
; %bb.6439:                             ;   in Loop: Header=BB4_6139 Depth=2
	v_and_b32_e32 v9, 0x7fffff, v6
	v_bfe_u32 v6, v6, 23, 8
	v_cmp_gt_u32_e64 s[18:19], s51, v6
	v_sub_u32_e32 v8, 0x79, v6
	v_cmp_eq_u32_e32 vcc, 0, v6
	v_cndmask_b32_e64 v8, 0, v8, s[18:19]
	v_or_b32_e32 v16, 0x800000, v9
	v_cndmask_b32_e32 v8, v8, v59, vcc
	v_cndmask_b32_e32 v34, v16, v9, vcc
	v_add_u32_e32 v9, 20, v8
	v_lshlrev_b64 v[16:17], v9, -1
	v_add_u32_e32 v9, 19, v8
	v_lshlrev_b64 v[18:19], v9, 1
	v_bfi_b32 v17, v17, 0, 0
	v_bfi_b32 v16, v16, 0, v34
	v_cmp_eq_u64_e64 s[18:19], v[16:17], v[18:19]
	v_lshrrev_b64 v[16:17], v8, v[34:35]
	v_mov_b32_e32 v49, v17
	v_mov_b32_e32 v48, v16
	s_and_saveexec_b64 s[92:93], s[18:19]
; %bb.6440:                             ;   in Loop: Header=BB4_6139 Depth=2
	v_bfe_u32 v9, v16, 20, 1
	v_add_co_u32_e64 v9, s[18:19], v16, v9
	v_add_co_u32_e64 v48, s[18:19], -1, v9
; %bb.6441:                             ;   in Loop: Header=BB4_6139 Depth=2
	s_or_b64 exec, exec, s[92:93]
	v_add_u32_e32 v6, 0xffffff81, v6
	v_cndmask_b32_e32 v6, v6, v60, vcc
	v_lshrrev_b32_e32 v9, 23, v16
	v_add3_u32 v9, v8, v6, v9
	v_add_u32_e32 v8, 6, v9
	v_and_b32_e32 v6, 0xfffff, v48
	v_add_u32_e32 v34, v6, v16
	v_cmp_ne_u32_e32 vcc, 0, v8
                                        ; implicit-def: $vgpr16_vgpr17
                                        ; implicit-def: $vgpr6
	s_and_saveexec_b64 s[18:19], vcc
	s_xor_b64 s[18:19], exec, s[18:19]
; %bb.6442:                             ;   in Loop: Header=BB4_6139 Depth=2
	v_cmp_lt_u64_e32 vcc, s[58:59], v[34:35]
	v_add_u32_e32 v6, 7, v9
	v_cndmask_b32_e32 v6, v8, v6, vcc
	v_cndmask_b32_e64 v8, 0, 1, vcc
	v_lshrrev_b64 v[16:17], v8, v[34:35]
; %bb.6443:                             ;   in Loop: Header=BB4_6139 Depth=2
	s_andn2_saveexec_b64 s[18:19], s[18:19]
; %bb.6444:                             ;   in Loop: Header=BB4_6139 Depth=2
	v_mov_b32_e32 v16, v34
	v_bfe_u32 v6, v34, 23, 1
	v_mov_b32_e32 v17, v35
; %bb.6445:                             ;   in Loop: Header=BB4_6139 Depth=2
	s_or_b64 exec, exec, s[18:19]
	v_lshrrev_b64 v[8:9], 20, v[16:17]
	v_cmp_gt_i32_e32 vcc, 16, v6
	v_cndmask_b32_e32 v17, 0, v9, vcc
	v_cndmask_b32_e32 v16, 7, v8, vcc
	v_cmp_ne_u64_e32 vcc, 0, v[16:17]
	v_cmp_ne_u32_e64 s[18:19], 0, v6
	s_or_b64 s[18:19], s[18:19], vcc
                                        ; implicit-def: $vgpr19
	s_and_saveexec_b64 s[92:93], s[18:19]
	s_xor_b64 s[18:19], exec, s[92:93]
; %bb.6446:                             ;   in Loop: Header=BB4_6139 Depth=2
	v_min_i32_e32 v6, 15, v6
	v_lshl_or_b32 v2, v6, 3, v2
	v_and_or_b32 v19, v16, 7, v2
                                        ; implicit-def: $vgpr2
; %bb.6447:                             ;   in Loop: Header=BB4_6139 Depth=2
	s_andn2_saveexec_b64 s[18:19], s[18:19]
; %bb.6448:                             ;   in Loop: Header=BB4_6139 Depth=2
	v_mov_b32_e32 v19, v2
; %bb.6449:                             ;   in Loop: Header=BB4_6139 Depth=2
	s_or_b64 exec, exec, s[18:19]
.LBB4_6450:                             ;   in Loop: Header=BB4_6139 Depth=2
	s_or_b64 exec, exec, s[90:91]
                                        ; implicit-def: $vgpr2
.LBB4_6451:                             ;   in Loop: Header=BB4_6139 Depth=2
	s_andn2_saveexec_b64 s[18:19], s[88:89]
; %bb.6452:                             ;   in Loop: Header=BB4_6139 Depth=2
	v_or_b32_e32 v19, 0x7e, v2
; %bb.6453:                             ;   in Loop: Header=BB4_6139 Depth=2
	s_or_b64 exec, exec, s[18:19]
                                        ; implicit-def: $vgpr6
.LBB4_6454:                             ;   in Loop: Header=BB4_6139 Depth=2
	s_andn2_saveexec_b64 s[18:19], s[78:79]
; %bb.6455:                             ;   in Loop: Header=BB4_6139 Depth=2
	v_or_b32_sdwa v19, v6, s39 dst_sel:DWORD dst_unused:UNUSED_PAD src0_sel:BYTE_3 src1_sel:DWORD
; %bb.6456:                             ;   in Loop: Header=BB4_6139 Depth=2
	s_or_b64 exec, exec, s[18:19]
	flat_load_ubyte v2, v[10:11] offset:768 glc slc
	v_mov_b32_e32 v6, 0
	s_waitcnt vmcnt(0) lgkmcnt(0)
	v_cmp_ne_u16_e32 vcc, 0, v2
	s_and_saveexec_b64 s[18:19], vcc
	s_cbranch_execz .LBB4_6462
; %bb.6457:                             ;   in Loop: Header=BB4_6139 Depth=2
	v_cmp_ne_u16_e32 vcc, s50, v2
	v_bfrev_b32_e32 v6, 1
	s_and_saveexec_b64 s[78:79], vcc
	s_cbranch_execz .LBB4_6461
; %bb.6458:                             ;   in Loop: Header=BB4_6139 Depth=2
	v_and_b32_e32 v16, 0xffff, v2
	v_and_b32_e32 v8, 0x7f, v16
	v_cmp_ne_u32_e32 vcc, s39, v8
	v_mov_b32_e32 v6, 0x7f800001
	s_and_saveexec_b64 s[88:89], vcc
	s_cbranch_execz .LBB4_6460
; %bb.6459:                             ;   in Loop: Header=BB4_6139 Depth=2
	v_and_b32_e32 v6, 7, v16
	v_lshrrev_b32_e32 v17, 3, v8
	v_cmp_gt_u32_e32 vcc, 8, v8
	v_ffbh_u32_e32 v8, v6
	v_min_u32_e32 v18, 32, v8
	v_subrev_u32_e32 v8, 28, v18
	v_lshlrev_b64 v[8:9], v8, v[16:17]
	v_sub_u32_e32 v9, 29, v18
	v_and_b32_e32 v8, 7, v8
	v_cndmask_b32_e32 v9, v17, v9, vcc
	v_cndmask_b32_e32 v6, v6, v8, vcc
	v_lshlrev_b32_e32 v2, 24, v2
	v_lshlrev_b32_e32 v6, 20, v6
	v_and_b32_e32 v2, 0x80000000, v2
	v_lshl_add_u32 v8, v9, 23, v58
	v_or3_b32 v6, v2, v8, v6
.LBB4_6460:                             ;   in Loop: Header=BB4_6139 Depth=2
	s_or_b64 exec, exec, s[88:89]
.LBB4_6461:                             ;   in Loop: Header=BB4_6139 Depth=2
	s_or_b64 exec, exec, s[78:79]
.LBB4_6462:                             ;   in Loop: Header=BB4_6139 Depth=2
	s_or_b64 exec, exec, s[18:19]
	v_mul_f32_e32 v6, s94, v6
	v_and_b32_e32 v34, 0x7f800000, v6
	v_cmp_ne_u64_e32 vcc, s[46:47], v[34:35]
                                        ; implicit-def: $vgpr18
	s_and_saveexec_b64 s[18:19], vcc
	s_xor_b64 s[78:79], exec, s[18:19]
	s_cbranch_execz .LBB4_6480
; %bb.6463:                             ;   in Loop: Header=BB4_6139 Depth=2
	v_and_b32_e32 v34, 0x7fffffff, v6
	v_cmp_gt_u64_e32 vcc, s[56:57], v[34:35]
	v_and_b32_sdwa v2, v6, s50 dst_sel:DWORD dst_unused:UNUSED_PAD src0_sel:BYTE_3 src1_sel:DWORD
                                        ; implicit-def: $vgpr18
	s_and_saveexec_b64 s[18:19], vcc
	s_xor_b64 s[88:89], exec, s[18:19]
	s_cbranch_execz .LBB4_6477
; %bb.6464:                             ;   in Loop: Header=BB4_6139 Depth=2
	v_cmp_ne_u32_e32 vcc, 0, v6
	v_mov_b32_e32 v18, 0
	s_and_saveexec_b64 s[90:91], vcc
	s_cbranch_execz .LBB4_6476
; %bb.6465:                             ;   in Loop: Header=BB4_6139 Depth=2
	v_and_b32_e32 v9, 0x7fffff, v6
	v_bfe_u32 v6, v6, 23, 8
	v_cmp_gt_u32_e64 s[18:19], s51, v6
	v_sub_u32_e32 v8, 0x79, v6
	v_cmp_eq_u32_e32 vcc, 0, v6
	v_cndmask_b32_e64 v8, 0, v8, s[18:19]
	v_or_b32_e32 v16, 0x800000, v9
	v_cndmask_b32_e32 v8, v8, v59, vcc
	v_cndmask_b32_e32 v34, v16, v9, vcc
	v_add_u32_e32 v9, 20, v8
	v_lshlrev_b64 v[16:17], v9, -1
	v_add_u32_e32 v9, 19, v8
	v_lshlrev_b64 v[28:29], v9, 1
	v_bfi_b32 v17, v17, 0, 0
	v_bfi_b32 v16, v16, 0, v34
	v_cmp_eq_u64_e64 s[18:19], v[16:17], v[28:29]
	v_lshrrev_b64 v[16:17], v8, v[34:35]
	v_mov_b32_e32 v49, v17
	v_mov_b32_e32 v48, v16
	s_and_saveexec_b64 s[92:93], s[18:19]
; %bb.6466:                             ;   in Loop: Header=BB4_6139 Depth=2
	v_bfe_u32 v9, v16, 20, 1
	v_add_co_u32_e64 v9, s[18:19], v16, v9
	v_add_co_u32_e64 v48, s[18:19], -1, v9
; %bb.6467:                             ;   in Loop: Header=BB4_6139 Depth=2
	s_or_b64 exec, exec, s[92:93]
	v_add_u32_e32 v6, 0xffffff81, v6
	v_cndmask_b32_e32 v6, v6, v60, vcc
	v_lshrrev_b32_e32 v9, 23, v16
	v_add3_u32 v9, v8, v6, v9
	v_add_u32_e32 v8, 6, v9
	v_and_b32_e32 v6, 0xfffff, v48
	v_add_u32_e32 v34, v6, v16
	v_cmp_ne_u32_e32 vcc, 0, v8
                                        ; implicit-def: $vgpr16_vgpr17
                                        ; implicit-def: $vgpr6
	s_and_saveexec_b64 s[18:19], vcc
	s_xor_b64 s[18:19], exec, s[18:19]
; %bb.6468:                             ;   in Loop: Header=BB4_6139 Depth=2
	v_cmp_lt_u64_e32 vcc, s[58:59], v[34:35]
	v_add_u32_e32 v6, 7, v9
	v_cndmask_b32_e32 v6, v8, v6, vcc
	v_cndmask_b32_e64 v8, 0, 1, vcc
	v_lshrrev_b64 v[16:17], v8, v[34:35]
; %bb.6469:                             ;   in Loop: Header=BB4_6139 Depth=2
	s_andn2_saveexec_b64 s[18:19], s[18:19]
; %bb.6470:                             ;   in Loop: Header=BB4_6139 Depth=2
	v_mov_b32_e32 v16, v34
	v_bfe_u32 v6, v34, 23, 1
	v_mov_b32_e32 v17, v35
; %bb.6471:                             ;   in Loop: Header=BB4_6139 Depth=2
	s_or_b64 exec, exec, s[18:19]
	v_lshrrev_b64 v[8:9], 20, v[16:17]
	v_cmp_gt_i32_e32 vcc, 16, v6
	v_cndmask_b32_e32 v17, 0, v9, vcc
	v_cndmask_b32_e32 v16, 7, v8, vcc
	v_cmp_ne_u64_e32 vcc, 0, v[16:17]
	v_cmp_ne_u32_e64 s[18:19], 0, v6
	s_or_b64 s[18:19], s[18:19], vcc
                                        ; implicit-def: $vgpr18
	s_and_saveexec_b64 s[92:93], s[18:19]
	s_xor_b64 s[18:19], exec, s[92:93]
; %bb.6472:                             ;   in Loop: Header=BB4_6139 Depth=2
	v_min_i32_e32 v6, 15, v6
	v_lshl_or_b32 v2, v6, 3, v2
	v_and_or_b32 v18, v16, 7, v2
                                        ; implicit-def: $vgpr2
; %bb.6473:                             ;   in Loop: Header=BB4_6139 Depth=2
	s_andn2_saveexec_b64 s[18:19], s[18:19]
; %bb.6474:                             ;   in Loop: Header=BB4_6139 Depth=2
	v_mov_b32_e32 v18, v2
; %bb.6475:                             ;   in Loop: Header=BB4_6139 Depth=2
	s_or_b64 exec, exec, s[18:19]
.LBB4_6476:                             ;   in Loop: Header=BB4_6139 Depth=2
	s_or_b64 exec, exec, s[90:91]
                                        ; implicit-def: $vgpr2
.LBB4_6477:                             ;   in Loop: Header=BB4_6139 Depth=2
	s_andn2_saveexec_b64 s[18:19], s[88:89]
; %bb.6478:                             ;   in Loop: Header=BB4_6139 Depth=2
	v_or_b32_e32 v18, 0x7e, v2
; %bb.6479:                             ;   in Loop: Header=BB4_6139 Depth=2
	s_or_b64 exec, exec, s[18:19]
                                        ; implicit-def: $vgpr6
.LBB4_6480:                             ;   in Loop: Header=BB4_6139 Depth=2
	s_andn2_saveexec_b64 s[18:19], s[78:79]
; %bb.6481:                             ;   in Loop: Header=BB4_6139 Depth=2
	v_or_b32_sdwa v18, v6, s39 dst_sel:DWORD dst_unused:UNUSED_PAD src0_sel:BYTE_3 src1_sel:DWORD
; %bb.6482:                             ;   in Loop: Header=BB4_6139 Depth=2
	s_or_b64 exec, exec, s[18:19]
	flat_load_ubyte v2, v[10:11] offset:832 glc slc
	v_mov_b32_e32 v6, 0
	s_waitcnt vmcnt(0) lgkmcnt(0)
	v_cmp_ne_u16_e32 vcc, 0, v2
	s_and_saveexec_b64 s[18:19], vcc
	s_cbranch_execz .LBB4_6488
; %bb.6483:                             ;   in Loop: Header=BB4_6139 Depth=2
	v_cmp_ne_u16_e32 vcc, s50, v2
	v_bfrev_b32_e32 v6, 1
	s_and_saveexec_b64 s[78:79], vcc
	s_cbranch_execz .LBB4_6487
; %bb.6484:                             ;   in Loop: Header=BB4_6139 Depth=2
	v_and_b32_e32 v16, 0xffff, v2
	v_and_b32_e32 v8, 0x7f, v16
	v_cmp_ne_u32_e32 vcc, s39, v8
	v_mov_b32_e32 v6, 0x7f800001
	s_and_saveexec_b64 s[88:89], vcc
	s_cbranch_execz .LBB4_6486
; %bb.6485:                             ;   in Loop: Header=BB4_6139 Depth=2
	v_and_b32_e32 v6, 7, v16
	v_lshrrev_b32_e32 v17, 3, v8
	v_cmp_gt_u32_e32 vcc, 8, v8
	v_ffbh_u32_e32 v8, v6
	v_min_u32_e32 v22, 32, v8
	v_subrev_u32_e32 v8, 28, v22
	v_lshlrev_b64 v[8:9], v8, v[16:17]
	v_sub_u32_e32 v9, 29, v22
	v_and_b32_e32 v8, 7, v8
	v_cndmask_b32_e32 v9, v17, v9, vcc
	v_cndmask_b32_e32 v6, v6, v8, vcc
	v_lshlrev_b32_e32 v2, 24, v2
	v_lshlrev_b32_e32 v6, 20, v6
	v_and_b32_e32 v2, 0x80000000, v2
	v_lshl_add_u32 v8, v9, 23, v58
	v_or3_b32 v6, v2, v8, v6
.LBB4_6486:                             ;   in Loop: Header=BB4_6139 Depth=2
	s_or_b64 exec, exec, s[88:89]
.LBB4_6487:                             ;   in Loop: Header=BB4_6139 Depth=2
	s_or_b64 exec, exec, s[78:79]
.LBB4_6488:                             ;   in Loop: Header=BB4_6139 Depth=2
	s_or_b64 exec, exec, s[18:19]
	v_mul_f32_e32 v6, s94, v6
	v_and_b32_e32 v34, 0x7f800000, v6
	v_cmp_ne_u64_e32 vcc, s[46:47], v[34:35]
                                        ; implicit-def: $vgpr9
	s_and_saveexec_b64 s[18:19], vcc
	s_xor_b64 s[78:79], exec, s[18:19]
	s_cbranch_execz .LBB4_6506
; %bb.6489:                             ;   in Loop: Header=BB4_6139 Depth=2
	v_and_b32_e32 v34, 0x7fffffff, v6
	v_cmp_gt_u64_e32 vcc, s[56:57], v[34:35]
	v_and_b32_sdwa v2, v6, s50 dst_sel:DWORD dst_unused:UNUSED_PAD src0_sel:BYTE_3 src1_sel:DWORD
                                        ; implicit-def: $vgpr9
	s_and_saveexec_b64 s[18:19], vcc
	s_xor_b64 s[88:89], exec, s[18:19]
	s_cbranch_execz .LBB4_6503
; %bb.6490:                             ;   in Loop: Header=BB4_6139 Depth=2
	v_cmp_ne_u32_e32 vcc, 0, v6
	v_mov_b32_e32 v9, 0
	s_and_saveexec_b64 s[90:91], vcc
	s_cbranch_execz .LBB4_6502
; %bb.6491:                             ;   in Loop: Header=BB4_6139 Depth=2
	v_and_b32_e32 v9, 0x7fffff, v6
	v_bfe_u32 v6, v6, 23, 8
	v_cmp_gt_u32_e64 s[18:19], s51, v6
	v_sub_u32_e32 v8, 0x79, v6
	v_cmp_eq_u32_e32 vcc, 0, v6
	v_cndmask_b32_e64 v8, 0, v8, s[18:19]
	v_or_b32_e32 v16, 0x800000, v9
	v_cndmask_b32_e32 v8, v8, v59, vcc
	v_cndmask_b32_e32 v34, v16, v9, vcc
	v_add_u32_e32 v9, 20, v8
	v_lshlrev_b64 v[16:17], v9, -1
	v_add_u32_e32 v9, 19, v8
	v_lshlrev_b64 v[28:29], v9, 1
	v_bfi_b32 v17, v17, 0, 0
	v_bfi_b32 v16, v16, 0, v34
	v_cmp_eq_u64_e64 s[18:19], v[16:17], v[28:29]
	v_lshrrev_b64 v[16:17], v8, v[34:35]
	v_mov_b32_e32 v49, v17
	v_mov_b32_e32 v48, v16
	s_and_saveexec_b64 s[92:93], s[18:19]
; %bb.6492:                             ;   in Loop: Header=BB4_6139 Depth=2
	v_bfe_u32 v9, v16, 20, 1
	v_add_co_u32_e64 v9, s[18:19], v16, v9
	v_add_co_u32_e64 v48, s[18:19], -1, v9
; %bb.6493:                             ;   in Loop: Header=BB4_6139 Depth=2
	s_or_b64 exec, exec, s[92:93]
	v_add_u32_e32 v6, 0xffffff81, v6
	v_cndmask_b32_e32 v6, v6, v60, vcc
	v_lshrrev_b32_e32 v9, 23, v16
	v_add3_u32 v9, v8, v6, v9
	v_add_u32_e32 v8, 6, v9
	v_and_b32_e32 v6, 0xfffff, v48
	v_add_u32_e32 v34, v6, v16
	v_cmp_ne_u32_e32 vcc, 0, v8
                                        ; implicit-def: $vgpr16_vgpr17
                                        ; implicit-def: $vgpr6
	s_and_saveexec_b64 s[18:19], vcc
	s_xor_b64 s[18:19], exec, s[18:19]
; %bb.6494:                             ;   in Loop: Header=BB4_6139 Depth=2
	v_cmp_lt_u64_e32 vcc, s[58:59], v[34:35]
	v_add_u32_e32 v6, 7, v9
	v_cndmask_b32_e32 v6, v8, v6, vcc
	v_cndmask_b32_e64 v8, 0, 1, vcc
	v_lshrrev_b64 v[16:17], v8, v[34:35]
; %bb.6495:                             ;   in Loop: Header=BB4_6139 Depth=2
	s_andn2_saveexec_b64 s[18:19], s[18:19]
; %bb.6496:                             ;   in Loop: Header=BB4_6139 Depth=2
	v_mov_b32_e32 v16, v34
	v_bfe_u32 v6, v34, 23, 1
	v_mov_b32_e32 v17, v35
; %bb.6497:                             ;   in Loop: Header=BB4_6139 Depth=2
	s_or_b64 exec, exec, s[18:19]
	v_lshrrev_b64 v[8:9], 20, v[16:17]
	v_cmp_gt_i32_e32 vcc, 16, v6
	v_cndmask_b32_e32 v17, 0, v9, vcc
	v_cndmask_b32_e32 v16, 7, v8, vcc
	v_cmp_ne_u64_e32 vcc, 0, v[16:17]
	v_cmp_ne_u32_e64 s[18:19], 0, v6
	s_or_b64 s[18:19], s[18:19], vcc
                                        ; implicit-def: $vgpr9
	s_and_saveexec_b64 s[92:93], s[18:19]
	s_xor_b64 s[18:19], exec, s[92:93]
; %bb.6498:                             ;   in Loop: Header=BB4_6139 Depth=2
	v_min_i32_e32 v6, 15, v6
	v_lshl_or_b32 v2, v6, 3, v2
	v_and_or_b32 v9, v16, 7, v2
                                        ; implicit-def: $vgpr2
; %bb.6499:                             ;   in Loop: Header=BB4_6139 Depth=2
	s_andn2_saveexec_b64 s[18:19], s[18:19]
; %bb.6500:                             ;   in Loop: Header=BB4_6139 Depth=2
	v_mov_b32_e32 v9, v2
; %bb.6501:                             ;   in Loop: Header=BB4_6139 Depth=2
	s_or_b64 exec, exec, s[18:19]
.LBB4_6502:                             ;   in Loop: Header=BB4_6139 Depth=2
	s_or_b64 exec, exec, s[90:91]
                                        ; implicit-def: $vgpr2
.LBB4_6503:                             ;   in Loop: Header=BB4_6139 Depth=2
	s_andn2_saveexec_b64 s[18:19], s[88:89]
; %bb.6504:                             ;   in Loop: Header=BB4_6139 Depth=2
	v_or_b32_e32 v9, 0x7e, v2
; %bb.6505:                             ;   in Loop: Header=BB4_6139 Depth=2
	s_or_b64 exec, exec, s[18:19]
                                        ; implicit-def: $vgpr6
.LBB4_6506:                             ;   in Loop: Header=BB4_6139 Depth=2
	s_andn2_saveexec_b64 s[18:19], s[78:79]
; %bb.6507:                             ;   in Loop: Header=BB4_6139 Depth=2
	v_or_b32_sdwa v9, v6, s39 dst_sel:DWORD dst_unused:UNUSED_PAD src0_sel:BYTE_3 src1_sel:DWORD
; %bb.6508:                             ;   in Loop: Header=BB4_6139 Depth=2
	s_or_b64 exec, exec, s[18:19]
	flat_load_ubyte v2, v[10:11] offset:896 glc slc
	v_mov_b32_e32 v6, 0
	s_waitcnt vmcnt(0) lgkmcnt(0)
	v_cmp_ne_u16_e32 vcc, 0, v2
	s_and_saveexec_b64 s[18:19], vcc
	s_cbranch_execz .LBB4_6514
; %bb.6509:                             ;   in Loop: Header=BB4_6139 Depth=2
	v_cmp_ne_u16_e32 vcc, s50, v2
	v_bfrev_b32_e32 v6, 1
	s_and_saveexec_b64 s[78:79], vcc
	s_cbranch_execz .LBB4_6513
; %bb.6510:                             ;   in Loop: Header=BB4_6139 Depth=2
	v_and_b32_e32 v16, 0xffff, v2
	v_and_b32_e32 v8, 0x7f, v16
	v_cmp_ne_u32_e32 vcc, s39, v8
	v_mov_b32_e32 v6, 0x7f800001
	s_and_saveexec_b64 s[88:89], vcc
	s_cbranch_execz .LBB4_6512
; %bb.6511:                             ;   in Loop: Header=BB4_6139 Depth=2
	v_and_b32_e32 v6, 7, v16
	v_lshrrev_b32_e32 v22, 3, v8
	v_cmp_gt_u32_e32 vcc, 8, v8
	v_ffbh_u32_e32 v8, v6
	v_min_u32_e32 v8, 32, v8
	v_subrev_u32_e32 v17, 28, v8
	v_lshlrev_b64 v[16:17], v17, v[16:17]
	v_sub_u32_e32 v8, 29, v8
	v_and_b32_e32 v16, 7, v16
	v_cndmask_b32_e32 v8, v22, v8, vcc
	v_cndmask_b32_e32 v6, v6, v16, vcc
	v_lshlrev_b32_e32 v2, 24, v2
	v_lshlrev_b32_e32 v6, 20, v6
	v_and_b32_e32 v2, 0x80000000, v2
	v_lshl_add_u32 v8, v8, 23, v58
	v_or3_b32 v6, v2, v8, v6
.LBB4_6512:                             ;   in Loop: Header=BB4_6139 Depth=2
	s_or_b64 exec, exec, s[88:89]
.LBB4_6513:                             ;   in Loop: Header=BB4_6139 Depth=2
	s_or_b64 exec, exec, s[78:79]
.LBB4_6514:                             ;   in Loop: Header=BB4_6139 Depth=2
	s_or_b64 exec, exec, s[18:19]
	v_mul_f32_e32 v6, s94, v6
	v_and_b32_e32 v34, 0x7f800000, v6
	v_cmp_ne_u64_e32 vcc, s[46:47], v[34:35]
                                        ; implicit-def: $vgpr8
	s_and_saveexec_b64 s[18:19], vcc
	s_xor_b64 s[78:79], exec, s[18:19]
	s_cbranch_execz .LBB4_6532
; %bb.6515:                             ;   in Loop: Header=BB4_6139 Depth=2
	v_and_b32_e32 v34, 0x7fffffff, v6
	v_cmp_gt_u64_e32 vcc, s[56:57], v[34:35]
	v_and_b32_sdwa v2, v6, s50 dst_sel:DWORD dst_unused:UNUSED_PAD src0_sel:BYTE_3 src1_sel:DWORD
                                        ; implicit-def: $vgpr8
	s_and_saveexec_b64 s[18:19], vcc
	s_xor_b64 s[88:89], exec, s[18:19]
	s_cbranch_execz .LBB4_6529
; %bb.6516:                             ;   in Loop: Header=BB4_6139 Depth=2
	v_cmp_ne_u32_e32 vcc, 0, v6
	v_mov_b32_e32 v8, 0
	s_and_saveexec_b64 s[90:91], vcc
	s_cbranch_execz .LBB4_6528
; %bb.6517:                             ;   in Loop: Header=BB4_6139 Depth=2
	v_and_b32_e32 v16, 0x7fffff, v6
	v_bfe_u32 v6, v6, 23, 8
	v_cmp_gt_u32_e64 s[18:19], s51, v6
	v_sub_u32_e32 v8, 0x79, v6
	v_cmp_eq_u32_e32 vcc, 0, v6
	v_cndmask_b32_e64 v8, 0, v8, s[18:19]
	v_or_b32_e32 v17, 0x800000, v16
	v_cndmask_b32_e32 v8, v8, v59, vcc
	v_cndmask_b32_e32 v34, v17, v16, vcc
	v_add_u32_e32 v16, 20, v8
	v_lshlrev_b64 v[16:17], v16, -1
	v_add_u32_e32 v22, 19, v8
	v_lshlrev_b64 v[28:29], v22, 1
	v_bfi_b32 v17, v17, 0, 0
	v_bfi_b32 v16, v16, 0, v34
	v_cmp_eq_u64_e64 s[18:19], v[16:17], v[28:29]
	v_lshrrev_b64 v[16:17], v8, v[34:35]
	v_mov_b32_e32 v49, v17
	v_mov_b32_e32 v48, v16
	s_and_saveexec_b64 s[92:93], s[18:19]
; %bb.6518:                             ;   in Loop: Header=BB4_6139 Depth=2
	v_bfe_u32 v17, v16, 20, 1
	v_add_co_u32_e64 v17, s[18:19], v16, v17
	v_add_co_u32_e64 v48, s[18:19], -1, v17
; %bb.6519:                             ;   in Loop: Header=BB4_6139 Depth=2
	s_or_b64 exec, exec, s[92:93]
	v_add_u32_e32 v6, 0xffffff81, v6
	v_cndmask_b32_e32 v6, v6, v60, vcc
	v_lshrrev_b32_e32 v17, 23, v16
	v_add3_u32 v22, v8, v6, v17
	v_add_u32_e32 v8, 6, v22
	v_and_b32_e32 v6, 0xfffff, v48
	v_add_u32_e32 v34, v6, v16
	v_cmp_ne_u32_e32 vcc, 0, v8
                                        ; implicit-def: $vgpr16_vgpr17
                                        ; implicit-def: $vgpr6
	s_and_saveexec_b64 s[18:19], vcc
	s_xor_b64 s[18:19], exec, s[18:19]
; %bb.6520:                             ;   in Loop: Header=BB4_6139 Depth=2
	v_cmp_lt_u64_e32 vcc, s[58:59], v[34:35]
	v_add_u32_e32 v6, 7, v22
	v_cndmask_b32_e32 v6, v8, v6, vcc
	v_cndmask_b32_e64 v8, 0, 1, vcc
	v_lshrrev_b64 v[16:17], v8, v[34:35]
; %bb.6521:                             ;   in Loop: Header=BB4_6139 Depth=2
	s_andn2_saveexec_b64 s[18:19], s[18:19]
; %bb.6522:                             ;   in Loop: Header=BB4_6139 Depth=2
	v_mov_b32_e32 v16, v34
	v_bfe_u32 v6, v34, 23, 1
	v_mov_b32_e32 v17, v35
; %bb.6523:                             ;   in Loop: Header=BB4_6139 Depth=2
	s_or_b64 exec, exec, s[18:19]
	v_lshrrev_b64 v[16:17], 20, v[16:17]
	v_cmp_gt_i32_e32 vcc, 16, v6
	v_cndmask_b32_e32 v17, 0, v17, vcc
	v_cndmask_b32_e32 v16, 7, v16, vcc
	v_cmp_ne_u64_e32 vcc, 0, v[16:17]
	v_cmp_ne_u32_e64 s[18:19], 0, v6
	s_or_b64 s[18:19], s[18:19], vcc
                                        ; implicit-def: $vgpr8
	s_and_saveexec_b64 s[92:93], s[18:19]
	s_xor_b64 s[18:19], exec, s[92:93]
; %bb.6524:                             ;   in Loop: Header=BB4_6139 Depth=2
	v_min_i32_e32 v6, 15, v6
	v_lshl_or_b32 v2, v6, 3, v2
	v_and_or_b32 v8, v16, 7, v2
                                        ; implicit-def: $vgpr2
; %bb.6525:                             ;   in Loop: Header=BB4_6139 Depth=2
	s_andn2_saveexec_b64 s[18:19], s[18:19]
; %bb.6526:                             ;   in Loop: Header=BB4_6139 Depth=2
	v_mov_b32_e32 v8, v2
; %bb.6527:                             ;   in Loop: Header=BB4_6139 Depth=2
	s_or_b64 exec, exec, s[18:19]
.LBB4_6528:                             ;   in Loop: Header=BB4_6139 Depth=2
	s_or_b64 exec, exec, s[90:91]
                                        ; implicit-def: $vgpr2
.LBB4_6529:                             ;   in Loop: Header=BB4_6139 Depth=2
	s_andn2_saveexec_b64 s[18:19], s[88:89]
; %bb.6530:                             ;   in Loop: Header=BB4_6139 Depth=2
	v_or_b32_e32 v8, 0x7e, v2
; %bb.6531:                             ;   in Loop: Header=BB4_6139 Depth=2
	s_or_b64 exec, exec, s[18:19]
                                        ; implicit-def: $vgpr6
.LBB4_6532:                             ;   in Loop: Header=BB4_6139 Depth=2
	s_andn2_saveexec_b64 s[18:19], s[78:79]
; %bb.6533:                             ;   in Loop: Header=BB4_6139 Depth=2
	v_or_b32_sdwa v8, v6, s39 dst_sel:DWORD dst_unused:UNUSED_PAD src0_sel:BYTE_3 src1_sel:DWORD
; %bb.6534:                             ;   in Loop: Header=BB4_6139 Depth=2
	s_or_b64 exec, exec, s[18:19]
	flat_load_ubyte v2, v[10:11] offset:960 glc slc
	v_mov_b32_e32 v6, 0
	s_waitcnt vmcnt(0) lgkmcnt(0)
	v_cmp_ne_u16_e32 vcc, 0, v2
	s_and_saveexec_b64 s[18:19], vcc
	s_cbranch_execz .LBB4_6540
; %bb.6535:                             ;   in Loop: Header=BB4_6139 Depth=2
	v_cmp_ne_u16_e32 vcc, s50, v2
	v_bfrev_b32_e32 v6, 1
	s_and_saveexec_b64 s[78:79], vcc
	s_cbranch_execz .LBB4_6539
; %bb.6536:                             ;   in Loop: Header=BB4_6139 Depth=2
	v_and_b32_e32 v16, 0xffff, v2
	v_and_b32_e32 v17, 0x7f, v16
	v_cmp_ne_u32_e32 vcc, s39, v17
	v_mov_b32_e32 v6, 0x7f800001
	s_and_saveexec_b64 s[88:89], vcc
	s_cbranch_execz .LBB4_6538
; %bb.6537:                             ;   in Loop: Header=BB4_6139 Depth=2
	v_and_b32_e32 v6, 7, v16
	v_lshrrev_b32_e32 v22, 3, v17
	v_cmp_gt_u32_e32 vcc, 8, v17
	v_ffbh_u32_e32 v17, v6
	v_min_u32_e32 v28, 32, v17
	v_subrev_u32_e32 v17, 28, v28
	v_lshlrev_b64 v[16:17], v17, v[16:17]
	v_sub_u32_e32 v17, 29, v28
	v_and_b32_e32 v16, 7, v16
	v_cndmask_b32_e32 v17, v22, v17, vcc
	v_cndmask_b32_e32 v6, v6, v16, vcc
	v_lshlrev_b32_e32 v2, 24, v2
	v_lshlrev_b32_e32 v6, 20, v6
	v_and_b32_e32 v2, 0x80000000, v2
	v_lshl_add_u32 v16, v17, 23, v58
	v_or3_b32 v6, v2, v16, v6
.LBB4_6538:                             ;   in Loop: Header=BB4_6139 Depth=2
	s_or_b64 exec, exec, s[88:89]
.LBB4_6539:                             ;   in Loop: Header=BB4_6139 Depth=2
	s_or_b64 exec, exec, s[78:79]
.LBB4_6540:                             ;   in Loop: Header=BB4_6139 Depth=2
	s_or_b64 exec, exec, s[18:19]
	v_mul_f32_e32 v16, s94, v6
	v_and_b32_e32 v34, 0x7f800000, v16
	v_cmp_ne_u64_e32 vcc, s[46:47], v[34:35]
                                        ; implicit-def: $vgpr2
	s_and_saveexec_b64 s[18:19], vcc
	s_xor_b64 s[78:79], exec, s[18:19]
	s_cbranch_execz .LBB4_6558
; %bb.6541:                             ;   in Loop: Header=BB4_6139 Depth=2
	v_and_b32_e32 v34, 0x7fffffff, v16
	v_cmp_gt_u64_e32 vcc, s[56:57], v[34:35]
	v_and_b32_sdwa v6, v16, s50 dst_sel:DWORD dst_unused:UNUSED_PAD src0_sel:BYTE_3 src1_sel:DWORD
                                        ; implicit-def: $vgpr2
	s_and_saveexec_b64 s[18:19], vcc
	s_xor_b64 s[88:89], exec, s[18:19]
	s_cbranch_execz .LBB4_6555
; %bb.6542:                             ;   in Loop: Header=BB4_6139 Depth=2
	v_cmp_ne_u32_e32 vcc, 0, v16
	v_mov_b32_e32 v2, 0
	s_and_saveexec_b64 s[90:91], vcc
	s_cbranch_execz .LBB4_6554
; %bb.6543:                             ;   in Loop: Header=BB4_6139 Depth=2
	v_bfe_u32 v2, v16, 23, 8
	v_and_b32_e32 v17, 0x7fffff, v16
	v_cmp_gt_u32_e64 s[18:19], s51, v2
	v_sub_u32_e32 v16, 0x79, v2
	v_cmp_eq_u32_e32 vcc, 0, v2
	v_cndmask_b32_e64 v16, 0, v16, s[18:19]
	v_cndmask_b32_e32 v22, v16, v59, vcc
	v_or_b32_e32 v28, 0x800000, v17
	v_add_u32_e32 v16, 20, v22
	v_cndmask_b32_e32 v34, v28, v17, vcc
	v_lshlrev_b64 v[16:17], v16, -1
	v_add_u32_e32 v28, 19, v22
	v_lshlrev_b64 v[28:29], v28, 1
	v_bfi_b32 v17, v17, 0, 0
	v_bfi_b32 v16, v16, 0, v34
	v_cmp_eq_u64_e64 s[18:19], v[16:17], v[28:29]
	v_lshrrev_b64 v[16:17], v22, v[34:35]
	v_mov_b32_e32 v49, v17
	v_mov_b32_e32 v48, v16
	s_and_saveexec_b64 s[92:93], s[18:19]
; %bb.6544:                             ;   in Loop: Header=BB4_6139 Depth=2
	v_bfe_u32 v17, v16, 20, 1
	v_add_co_u32_e64 v17, s[18:19], v16, v17
	v_add_co_u32_e64 v48, s[18:19], -1, v17
; %bb.6545:                             ;   in Loop: Header=BB4_6139 Depth=2
	s_or_b64 exec, exec, s[92:93]
	v_add_u32_e32 v2, 0xffffff81, v2
	v_cndmask_b32_e32 v2, v2, v60, vcc
	v_lshrrev_b32_e32 v17, 23, v16
	v_add3_u32 v28, v22, v2, v17
	v_add_u32_e32 v2, 6, v28
	v_and_b32_e32 v17, 0xfffff, v48
	v_add_u32_e32 v34, v17, v16
	v_cmp_ne_u32_e32 vcc, 0, v2
                                        ; implicit-def: $vgpr16_vgpr17
                                        ; implicit-def: $vgpr22
	s_and_saveexec_b64 s[18:19], vcc
	s_xor_b64 s[18:19], exec, s[18:19]
; %bb.6546:                             ;   in Loop: Header=BB4_6139 Depth=2
	v_cmp_lt_u64_e32 vcc, s[58:59], v[34:35]
	v_add_u32_e32 v16, 7, v28
	v_cndmask_b32_e32 v22, v2, v16, vcc
	v_cndmask_b32_e64 v2, 0, 1, vcc
	v_lshrrev_b64 v[16:17], v2, v[34:35]
; %bb.6547:                             ;   in Loop: Header=BB4_6139 Depth=2
	s_andn2_saveexec_b64 s[18:19], s[18:19]
; %bb.6548:                             ;   in Loop: Header=BB4_6139 Depth=2
	v_mov_b32_e32 v16, v34
	v_bfe_u32 v22, v34, 23, 1
	v_mov_b32_e32 v17, v35
; %bb.6549:                             ;   in Loop: Header=BB4_6139 Depth=2
	s_or_b64 exec, exec, s[18:19]
	v_lshrrev_b64 v[16:17], 20, v[16:17]
	v_cmp_gt_i32_e32 vcc, 16, v22
	v_cndmask_b32_e32 v17, 0, v17, vcc
	v_cndmask_b32_e32 v16, 7, v16, vcc
	v_cmp_ne_u64_e32 vcc, 0, v[16:17]
	v_cmp_ne_u32_e64 s[18:19], 0, v22
	s_or_b64 s[18:19], s[18:19], vcc
                                        ; implicit-def: $vgpr2
	s_and_saveexec_b64 s[92:93], s[18:19]
	s_xor_b64 s[18:19], exec, s[92:93]
; %bb.6550:                             ;   in Loop: Header=BB4_6139 Depth=2
	v_min_i32_e32 v2, 15, v22
	v_lshl_or_b32 v2, v2, 3, v6
	v_and_or_b32 v2, v16, 7, v2
                                        ; implicit-def: $vgpr6
; %bb.6551:                             ;   in Loop: Header=BB4_6139 Depth=2
	s_andn2_saveexec_b64 s[18:19], s[18:19]
; %bb.6552:                             ;   in Loop: Header=BB4_6139 Depth=2
	v_mov_b32_e32 v2, v6
; %bb.6553:                             ;   in Loop: Header=BB4_6139 Depth=2
	s_or_b64 exec, exec, s[18:19]
.LBB4_6554:                             ;   in Loop: Header=BB4_6139 Depth=2
	s_or_b64 exec, exec, s[90:91]
                                        ; implicit-def: $vgpr6
.LBB4_6555:                             ;   in Loop: Header=BB4_6139 Depth=2
	s_andn2_saveexec_b64 s[18:19], s[88:89]
; %bb.6556:                             ;   in Loop: Header=BB4_6139 Depth=2
	v_or_b32_e32 v2, 0x7e, v6
; %bb.6557:                             ;   in Loop: Header=BB4_6139 Depth=2
	s_or_b64 exec, exec, s[18:19]
                                        ; implicit-def: $vgpr16
.LBB4_6558:                             ;   in Loop: Header=BB4_6139 Depth=2
	s_andn2_saveexec_b64 s[18:19], s[78:79]
; %bb.6559:                             ;   in Loop: Header=BB4_6139 Depth=2
	v_or_b32_sdwa v2, v16, s39 dst_sel:DWORD dst_unused:UNUSED_PAD src0_sel:BYTE_3 src1_sel:DWORD
; %bb.6560:                             ;   in Loop: Header=BB4_6139 Depth=2
	s_or_b64 exec, exec, s[18:19]
	flat_load_ubyte v17, v[12:13] glc slc
	flat_load_ubyte v42, v[12:13] offset:64 glc slc
	flat_load_ubyte v29, v[12:13] offset:128 glc slc
	;; [unrolled: 1-line block ×15, first 2 shown]
	v_and_b32_e32 v16, 0xff, v7
	v_cmp_ne_u16_e32 vcc, 0, v16
	v_mov_b32_e32 v34, 0
	v_mov_b32_e32 v48, 0
	s_and_saveexec_b64 s[18:19], vcc
	s_cbranch_execz .LBB4_6566
; %bb.6561:                             ;   in Loop: Header=BB4_6139 Depth=2
	v_cmp_ne_u16_e32 vcc, s50, v16
	v_bfrev_b32_e32 v48, 1
	s_and_saveexec_b64 s[78:79], vcc
	s_cbranch_execz .LBB4_6565
; %bb.6562:                             ;   in Loop: Header=BB4_6139 Depth=2
	v_and_b32_e32 v49, 0x7f, v7
	v_cmp_ne_u32_e32 vcc, s39, v49
	v_mov_b32_e32 v48, 0x7f800001
	s_and_saveexec_b64 s[88:89], vcc
	s_cbranch_execz .LBB4_6564
; %bb.6563:                             ;   in Loop: Header=BB4_6139 Depth=2
	v_and_b32_e32 v43, 7, v16
	v_ffbh_u32_e32 v48, v43
	v_min_u32_e32 v45, 32, v48
	v_subrev_u32_e32 v48, 28, v45
	v_lshrrev_b32_e32 v44, 3, v49
	v_cmp_gt_u32_e32 vcc, 8, v49
	s_waitcnt vmcnt(0) lgkmcnt(0)
	v_lshlrev_b64 v[48:49], v48, v[16:17]
	v_sub_u32_e32 v16, 29, v45
	v_and_b32_e32 v48, 7, v48
	v_cndmask_b32_e32 v16, v44, v16, vcc
	v_cndmask_b32_e32 v48, v43, v48, vcc
	v_lshlrev_b32_e32 v7, 24, v7
	v_lshlrev_b32_e32 v48, 20, v48
	v_and_b32_e32 v7, 0x80000000, v7
	v_lshl_add_u32 v16, v16, 23, v58
	v_or3_b32 v48, v7, v16, v48
.LBB4_6564:                             ;   in Loop: Header=BB4_6139 Depth=2
	s_or_b64 exec, exec, s[88:89]
.LBB4_6565:                             ;   in Loop: Header=BB4_6139 Depth=2
	s_or_b64 exec, exec, s[78:79]
.LBB4_6566:                             ;   in Loop: Header=BB4_6139 Depth=2
	s_or_b64 exec, exec, s[18:19]
	s_waitcnt vmcnt(0) lgkmcnt(0)
	v_and_b32_e32 v16, 0xff, v17
	v_cmp_ne_u16_e32 vcc, 0, v16
	s_and_saveexec_b64 s[18:19], vcc
	s_cbranch_execz .LBB4_6572
; %bb.6567:                             ;   in Loop: Header=BB4_6139 Depth=2
	v_cmp_ne_u16_e32 vcc, s50, v16
	v_bfrev_b32_e32 v34, 1
	s_and_saveexec_b64 s[78:79], vcc
	s_cbranch_execz .LBB4_6571
; %bb.6568:                             ;   in Loop: Header=BB4_6139 Depth=2
	v_and_b32_e32 v7, 0x7f, v17
	v_cmp_ne_u32_e32 vcc, s39, v7
	v_mov_b32_e32 v34, 0x7f800001
	s_and_saveexec_b64 s[88:89], vcc
	s_cbranch_execz .LBB4_6570
; %bb.6569:                             ;   in Loop: Header=BB4_6139 Depth=2
	v_and_b32_e32 v34, 7, v16
	v_lshrrev_b32_e32 v49, 3, v7
	v_cmp_gt_u32_e32 vcc, 8, v7
	v_ffbh_u32_e32 v7, v34
	v_min_u32_e32 v7, 32, v7
	v_subrev_u32_e32 v43, 28, v7
	v_lshlrev_b64 v[43:44], v43, v[16:17]
	v_sub_u32_e32 v7, 29, v7
	v_and_b32_e32 v16, 7, v43
	v_cndmask_b32_e32 v7, v49, v7, vcc
	v_cndmask_b32_e32 v16, v34, v16, vcc
	v_lshlrev_b32_e32 v17, 24, v17
	v_lshlrev_b32_e32 v16, 20, v16
	v_and_b32_e32 v17, 0x80000000, v17
	v_lshl_add_u32 v7, v7, 23, v58
	v_or3_b32 v34, v17, v7, v16
.LBB4_6570:                             ;   in Loop: Header=BB4_6139 Depth=2
	s_or_b64 exec, exec, s[88:89]
.LBB4_6571:                             ;   in Loop: Header=BB4_6139 Depth=2
	s_or_b64 exec, exec, s[78:79]
.LBB4_6572:                             ;   in Loop: Header=BB4_6139 Depth=2
	s_or_b64 exec, exec, s[18:19]
	v_add_f32_e32 v16, v48, v34
	v_and_b32_e32 v34, 0x7f800000, v16
	v_cmp_ne_u64_e32 vcc, s[46:47], v[34:35]
                                        ; implicit-def: $vgpr7
	s_and_saveexec_b64 s[18:19], vcc
	s_xor_b64 s[78:79], exec, s[18:19]
	s_cbranch_execz .LBB4_6590
; %bb.6573:                             ;   in Loop: Header=BB4_6139 Depth=2
	v_and_b32_e32 v34, 0x7fffffff, v16
	v_cmp_gt_u64_e32 vcc, s[56:57], v[34:35]
	v_and_b32_sdwa v43, v16, s50 dst_sel:DWORD dst_unused:UNUSED_PAD src0_sel:BYTE_3 src1_sel:DWORD
                                        ; implicit-def: $vgpr7
	s_and_saveexec_b64 s[18:19], vcc
	s_xor_b64 s[88:89], exec, s[18:19]
	s_cbranch_execz .LBB4_6587
; %bb.6574:                             ;   in Loop: Header=BB4_6139 Depth=2
	v_cmp_ne_u32_e32 vcc, 0, v16
	v_mov_b32_e32 v7, 0
	s_and_saveexec_b64 s[90:91], vcc
	s_cbranch_execz .LBB4_6586
; %bb.6575:                             ;   in Loop: Header=BB4_6139 Depth=2
	v_bfe_u32 v7, v16, 23, 8
	v_and_b32_e32 v17, 0x7fffff, v16
	v_cmp_gt_u32_e64 s[18:19], s51, v7
	v_sub_u32_e32 v16, 0x79, v7
	v_cmp_eq_u32_e32 vcc, 0, v7
	v_cndmask_b32_e64 v16, 0, v16, s[18:19]
	v_cndmask_b32_e32 v45, v16, v59, vcc
	v_or_b32_e32 v34, 0x800000, v17
	v_add_u32_e32 v16, 20, v45
	v_cndmask_b32_e32 v34, v34, v17, vcc
	v_lshlrev_b64 v[16:17], v16, -1
	v_add_u32_e32 v48, 19, v45
	v_lshlrev_b64 v[48:49], v48, 1
	v_bfi_b32 v17, v17, 0, 0
	v_bfi_b32 v16, v16, 0, v34
	v_cmp_eq_u64_e64 s[18:19], v[16:17], v[48:49]
	v_lshrrev_b64 v[16:17], v45, v[34:35]
	v_mov_b32_e32 v49, v17
	v_mov_b32_e32 v48, v16
	s_and_saveexec_b64 s[92:93], s[18:19]
; %bb.6576:                             ;   in Loop: Header=BB4_6139 Depth=2
	v_bfe_u32 v17, v16, 20, 1
	v_add_co_u32_e64 v17, s[18:19], v16, v17
	v_add_co_u32_e64 v48, s[18:19], -1, v17
; %bb.6577:                             ;   in Loop: Header=BB4_6139 Depth=2
	s_or_b64 exec, exec, s[92:93]
	v_add_u32_e32 v7, 0xffffff81, v7
	v_cndmask_b32_e32 v7, v7, v60, vcc
	v_lshrrev_b32_e32 v17, 23, v16
	v_add3_u32 v49, v45, v7, v17
	v_add_u32_e32 v7, 6, v49
	v_and_b32_e32 v17, 0xfffff, v48
	v_add_u32_e32 v34, v17, v16
	v_cmp_ne_u32_e32 vcc, 0, v7
                                        ; implicit-def: $vgpr16_vgpr17
                                        ; implicit-def: $vgpr48
	s_and_saveexec_b64 s[18:19], vcc
	s_xor_b64 s[18:19], exec, s[18:19]
; %bb.6578:                             ;   in Loop: Header=BB4_6139 Depth=2
	v_cmp_lt_u64_e32 vcc, s[58:59], v[34:35]
	v_add_u32_e32 v16, 7, v49
	v_cndmask_b32_e32 v48, v7, v16, vcc
	v_cndmask_b32_e64 v7, 0, 1, vcc
	v_lshrrev_b64 v[16:17], v7, v[34:35]
; %bb.6579:                             ;   in Loop: Header=BB4_6139 Depth=2
	s_andn2_saveexec_b64 s[18:19], s[18:19]
; %bb.6580:                             ;   in Loop: Header=BB4_6139 Depth=2
	v_mov_b32_e32 v16, v34
	v_bfe_u32 v48, v34, 23, 1
	v_mov_b32_e32 v17, v35
; %bb.6581:                             ;   in Loop: Header=BB4_6139 Depth=2
	s_or_b64 exec, exec, s[18:19]
	v_lshrrev_b64 v[16:17], 20, v[16:17]
	v_cmp_gt_i32_e32 vcc, 16, v48
	v_cndmask_b32_e32 v17, 0, v17, vcc
	v_cndmask_b32_e32 v16, 7, v16, vcc
	v_cmp_ne_u64_e32 vcc, 0, v[16:17]
	v_cmp_ne_u32_e64 s[18:19], 0, v48
	s_or_b64 s[18:19], s[18:19], vcc
                                        ; implicit-def: $vgpr7
	s_and_saveexec_b64 s[92:93], s[18:19]
	s_xor_b64 s[18:19], exec, s[92:93]
; %bb.6582:                             ;   in Loop: Header=BB4_6139 Depth=2
	v_min_i32_e32 v7, 15, v48
	v_lshl_or_b32 v7, v7, 3, v43
	v_and_or_b32 v7, v16, 7, v7
                                        ; implicit-def: $vgpr43
; %bb.6583:                             ;   in Loop: Header=BB4_6139 Depth=2
	s_andn2_saveexec_b64 s[18:19], s[18:19]
; %bb.6584:                             ;   in Loop: Header=BB4_6139 Depth=2
	v_mov_b32_e32 v7, v43
; %bb.6585:                             ;   in Loop: Header=BB4_6139 Depth=2
	s_or_b64 exec, exec, s[18:19]
.LBB4_6586:                             ;   in Loop: Header=BB4_6139 Depth=2
	s_or_b64 exec, exec, s[90:91]
                                        ; implicit-def: $vgpr43
.LBB4_6587:                             ;   in Loop: Header=BB4_6139 Depth=2
	s_andn2_saveexec_b64 s[18:19], s[88:89]
; %bb.6588:                             ;   in Loop: Header=BB4_6139 Depth=2
	v_or_b32_e32 v7, 0x7e, v43
; %bb.6589:                             ;   in Loop: Header=BB4_6139 Depth=2
	s_or_b64 exec, exec, s[18:19]
                                        ; implicit-def: $vgpr16
.LBB4_6590:                             ;   in Loop: Header=BB4_6139 Depth=2
	s_andn2_saveexec_b64 s[18:19], s[78:79]
; %bb.6591:                             ;   in Loop: Header=BB4_6139 Depth=2
	v_or_b32_sdwa v7, v16, s39 dst_sel:DWORD dst_unused:UNUSED_PAD src0_sel:BYTE_3 src1_sel:DWORD
; %bb.6592:                             ;   in Loop: Header=BB4_6139 Depth=2
	s_or_b64 exec, exec, s[18:19]
	v_and_b32_e32 v16, 0xff, v23
	v_cmp_ne_u16_e32 vcc, 0, v16
	v_mov_b32_e32 v17, 0
	v_mov_b32_e32 v34, 0
	s_and_saveexec_b64 s[18:19], vcc
	s_cbranch_execz .LBB4_6598
; %bb.6593:                             ;   in Loop: Header=BB4_6139 Depth=2
	v_cmp_ne_u16_e32 vcc, s50, v16
	v_bfrev_b32_e32 v34, 1
	s_and_saveexec_b64 s[78:79], vcc
	s_cbranch_execz .LBB4_6597
; %bb.6594:                             ;   in Loop: Header=BB4_6139 Depth=2
	v_and_b32_e32 v48, 0x7f, v23
	v_cmp_ne_u32_e32 vcc, s39, v48
	v_mov_b32_e32 v34, 0x7f800001
	s_and_saveexec_b64 s[88:89], vcc
	s_cbranch_execz .LBB4_6596
; %bb.6595:                             ;   in Loop: Header=BB4_6139 Depth=2
	v_and_b32_e32 v34, 7, v16
	v_lshrrev_b32_e32 v43, 3, v48
	v_cmp_gt_u32_e32 vcc, 8, v48
	v_ffbh_u32_e32 v48, v34
	v_min_u32_e32 v44, 32, v48
	v_subrev_u32_e32 v48, 28, v44
	v_lshlrev_b64 v[48:49], v48, v[16:17]
	v_sub_u32_e32 v16, 29, v44
	v_and_b32_e32 v48, 7, v48
	v_cndmask_b32_e32 v16, v43, v16, vcc
	v_cndmask_b32_e32 v34, v34, v48, vcc
	v_lshlrev_b32_e32 v23, 24, v23
	v_lshlrev_b32_e32 v34, 20, v34
	v_and_b32_e32 v23, 0x80000000, v23
	v_lshl_add_u32 v16, v16, 23, v58
	v_or3_b32 v34, v23, v16, v34
.LBB4_6596:                             ;   in Loop: Header=BB4_6139 Depth=2
	s_or_b64 exec, exec, s[88:89]
.LBB4_6597:                             ;   in Loop: Header=BB4_6139 Depth=2
	s_or_b64 exec, exec, s[78:79]
.LBB4_6598:                             ;   in Loop: Header=BB4_6139 Depth=2
	s_or_b64 exec, exec, s[18:19]
	v_and_b32_e32 v16, 0xff, v42
	v_cmp_ne_u16_e32 vcc, 0, v16
	s_and_saveexec_b64 s[18:19], vcc
	s_cbranch_execz .LBB4_6604
; %bb.6599:                             ;   in Loop: Header=BB4_6139 Depth=2
	v_cmp_ne_u16_e32 vcc, s50, v16
	v_bfrev_b32_e32 v17, 1
	s_and_saveexec_b64 s[78:79], vcc
	s_cbranch_execz .LBB4_6603
; %bb.6600:                             ;   in Loop: Header=BB4_6139 Depth=2
	v_and_b32_e32 v23, 0x7f, v42
	v_cmp_ne_u32_e32 vcc, s39, v23
	v_mov_b32_e32 v17, 0x7f800001
	s_and_saveexec_b64 s[88:89], vcc
	s_cbranch_execz .LBB4_6602
; %bb.6601:                             ;   in Loop: Header=BB4_6139 Depth=2
	v_and_b32_e32 v48, 7, v16
	v_ffbh_u32_e32 v17, v48
	v_lshrrev_b32_e32 v49, 3, v23
	v_cmp_gt_u32_e32 vcc, 8, v23
	v_min_u32_e32 v23, 32, v17
	v_subrev_u32_e32 v17, 28, v23
	v_lshlrev_b64 v[16:17], v17, v[16:17]
	v_sub_u32_e32 v17, 29, v23
	v_and_b32_e32 v16, 7, v16
	v_cndmask_b32_e32 v17, v49, v17, vcc
	v_cndmask_b32_e32 v16, v48, v16, vcc
	v_lshlrev_b32_e32 v23, 24, v42
	v_lshlrev_b32_e32 v16, 20, v16
	v_and_b32_e32 v23, 0x80000000, v23
	v_lshl_add_u32 v17, v17, 23, v58
	v_or3_b32 v17, v23, v17, v16
.LBB4_6602:                             ;   in Loop: Header=BB4_6139 Depth=2
	s_or_b64 exec, exec, s[88:89]
.LBB4_6603:                             ;   in Loop: Header=BB4_6139 Depth=2
	s_or_b64 exec, exec, s[78:79]
.LBB4_6604:                             ;   in Loop: Header=BB4_6139 Depth=2
	s_or_b64 exec, exec, s[18:19]
	v_add_f32_e32 v16, v34, v17
	v_and_b32_e32 v34, 0x7f800000, v16
	v_cmp_ne_u64_e32 vcc, s[46:47], v[34:35]
                                        ; implicit-def: $vgpr23
	s_and_saveexec_b64 s[18:19], vcc
	s_xor_b64 s[78:79], exec, s[18:19]
	s_cbranch_execz .LBB4_6622
; %bb.6605:                             ;   in Loop: Header=BB4_6139 Depth=2
	v_and_b32_e32 v34, 0x7fffffff, v16
	v_cmp_gt_u64_e32 vcc, s[56:57], v[34:35]
	v_and_b32_sdwa v42, v16, s50 dst_sel:DWORD dst_unused:UNUSED_PAD src0_sel:BYTE_3 src1_sel:DWORD
                                        ; implicit-def: $vgpr23
	s_and_saveexec_b64 s[18:19], vcc
	s_xor_b64 s[88:89], exec, s[18:19]
	s_cbranch_execz .LBB4_6619
; %bb.6606:                             ;   in Loop: Header=BB4_6139 Depth=2
	v_cmp_ne_u32_e32 vcc, 0, v16
	v_mov_b32_e32 v23, 0
	s_and_saveexec_b64 s[90:91], vcc
	s_cbranch_execz .LBB4_6618
; %bb.6607:                             ;   in Loop: Header=BB4_6139 Depth=2
	v_bfe_u32 v23, v16, 23, 8
	v_and_b32_e32 v17, 0x7fffff, v16
	v_cmp_gt_u32_e64 s[18:19], s51, v23
	v_sub_u32_e32 v16, 0x79, v23
	v_cmp_eq_u32_e32 vcc, 0, v23
	v_cndmask_b32_e64 v16, 0, v16, s[18:19]
	v_cndmask_b32_e32 v43, v16, v59, vcc
	v_or_b32_e32 v34, 0x800000, v17
	v_add_u32_e32 v16, 20, v43
	v_cndmask_b32_e32 v34, v34, v17, vcc
	v_lshlrev_b64 v[16:17], v16, -1
	v_add_u32_e32 v48, 19, v43
	v_lshlrev_b64 v[48:49], v48, 1
	v_bfi_b32 v17, v17, 0, 0
	v_bfi_b32 v16, v16, 0, v34
	v_cmp_eq_u64_e64 s[18:19], v[16:17], v[48:49]
	v_lshrrev_b64 v[16:17], v43, v[34:35]
	v_mov_b32_e32 v49, v17
	v_mov_b32_e32 v48, v16
	s_and_saveexec_b64 s[92:93], s[18:19]
; %bb.6608:                             ;   in Loop: Header=BB4_6139 Depth=2
	v_bfe_u32 v17, v16, 20, 1
	v_add_co_u32_e64 v17, s[18:19], v16, v17
	v_add_co_u32_e64 v48, s[18:19], -1, v17
; %bb.6609:                             ;   in Loop: Header=BB4_6139 Depth=2
	s_or_b64 exec, exec, s[92:93]
	v_add_u32_e32 v17, 0xffffff81, v23
	v_cndmask_b32_e32 v17, v17, v60, vcc
	v_lshrrev_b32_e32 v23, 23, v16
	v_add3_u32 v49, v43, v17, v23
	v_add_u32_e32 v23, 6, v49
	v_and_b32_e32 v17, 0xfffff, v48
	v_add_u32_e32 v34, v17, v16
	v_cmp_ne_u32_e32 vcc, 0, v23
                                        ; implicit-def: $vgpr16_vgpr17
                                        ; implicit-def: $vgpr48
	s_and_saveexec_b64 s[18:19], vcc
	s_xor_b64 s[18:19], exec, s[18:19]
; %bb.6610:                             ;   in Loop: Header=BB4_6139 Depth=2
	v_cmp_lt_u64_e32 vcc, s[58:59], v[34:35]
	v_add_u32_e32 v16, 7, v49
	v_cndmask_b32_e32 v48, v23, v16, vcc
	v_cndmask_b32_e64 v16, 0, 1, vcc
	v_lshrrev_b64 v[16:17], v16, v[34:35]
; %bb.6611:                             ;   in Loop: Header=BB4_6139 Depth=2
	s_andn2_saveexec_b64 s[18:19], s[18:19]
; %bb.6612:                             ;   in Loop: Header=BB4_6139 Depth=2
	v_mov_b32_e32 v16, v34
	v_bfe_u32 v48, v34, 23, 1
	v_mov_b32_e32 v17, v35
; %bb.6613:                             ;   in Loop: Header=BB4_6139 Depth=2
	s_or_b64 exec, exec, s[18:19]
	v_lshrrev_b64 v[16:17], 20, v[16:17]
	v_cmp_gt_i32_e32 vcc, 16, v48
	v_cndmask_b32_e32 v17, 0, v17, vcc
	v_cndmask_b32_e32 v16, 7, v16, vcc
	v_cmp_ne_u64_e32 vcc, 0, v[16:17]
	v_cmp_ne_u32_e64 s[18:19], 0, v48
	s_or_b64 s[18:19], s[18:19], vcc
                                        ; implicit-def: $vgpr23
	s_and_saveexec_b64 s[92:93], s[18:19]
	s_xor_b64 s[18:19], exec, s[92:93]
; %bb.6614:                             ;   in Loop: Header=BB4_6139 Depth=2
	v_min_i32_e32 v17, 15, v48
	v_lshl_or_b32 v17, v17, 3, v42
	v_and_or_b32 v23, v16, 7, v17
                                        ; implicit-def: $vgpr42
; %bb.6615:                             ;   in Loop: Header=BB4_6139 Depth=2
	s_andn2_saveexec_b64 s[18:19], s[18:19]
; %bb.6616:                             ;   in Loop: Header=BB4_6139 Depth=2
	v_mov_b32_e32 v23, v42
; %bb.6617:                             ;   in Loop: Header=BB4_6139 Depth=2
	s_or_b64 exec, exec, s[18:19]
.LBB4_6618:                             ;   in Loop: Header=BB4_6139 Depth=2
	s_or_b64 exec, exec, s[90:91]
                                        ; implicit-def: $vgpr42
.LBB4_6619:                             ;   in Loop: Header=BB4_6139 Depth=2
	s_andn2_saveexec_b64 s[18:19], s[88:89]
; %bb.6620:                             ;   in Loop: Header=BB4_6139 Depth=2
	v_or_b32_e32 v23, 0x7e, v42
; %bb.6621:                             ;   in Loop: Header=BB4_6139 Depth=2
	s_or_b64 exec, exec, s[18:19]
                                        ; implicit-def: $vgpr16
.LBB4_6622:                             ;   in Loop: Header=BB4_6139 Depth=2
	s_andn2_saveexec_b64 s[18:19], s[78:79]
; %bb.6623:                             ;   in Loop: Header=BB4_6139 Depth=2
	v_or_b32_sdwa v23, v16, s39 dst_sel:DWORD dst_unused:UNUSED_PAD src0_sel:BYTE_3 src1_sel:DWORD
; %bb.6624:                             ;   in Loop: Header=BB4_6139 Depth=2
	s_or_b64 exec, exec, s[18:19]
	v_and_b32_e32 v16, 0xff, v33
	v_cmp_ne_u16_e32 vcc, 0, v16
	v_mov_b32_e32 v17, 0
	v_mov_b32_e32 v34, 0
	s_and_saveexec_b64 s[18:19], vcc
	s_cbranch_execz .LBB4_6630
; %bb.6625:                             ;   in Loop: Header=BB4_6139 Depth=2
	v_cmp_ne_u16_e32 vcc, s50, v16
	v_bfrev_b32_e32 v34, 1
	s_and_saveexec_b64 s[78:79], vcc
	s_cbranch_execz .LBB4_6629
; %bb.6626:                             ;   in Loop: Header=BB4_6139 Depth=2
	v_and_b32_e32 v48, 0x7f, v33
	v_cmp_ne_u32_e32 vcc, s39, v48
	v_mov_b32_e32 v34, 0x7f800001
	s_and_saveexec_b64 s[88:89], vcc
	s_cbranch_execz .LBB4_6628
; %bb.6627:                             ;   in Loop: Header=BB4_6139 Depth=2
	v_and_b32_e32 v34, 7, v16
	v_lshrrev_b32_e32 v42, 3, v48
	v_cmp_gt_u32_e32 vcc, 8, v48
	v_ffbh_u32_e32 v48, v34
	v_min_u32_e32 v43, 32, v48
	v_subrev_u32_e32 v48, 28, v43
	v_lshlrev_b64 v[48:49], v48, v[16:17]
	v_sub_u32_e32 v16, 29, v43
	v_and_b32_e32 v48, 7, v48
	v_cndmask_b32_e32 v16, v42, v16, vcc
	v_cndmask_b32_e32 v34, v34, v48, vcc
	v_lshlrev_b32_e32 v33, 24, v33
	v_lshlrev_b32_e32 v34, 20, v34
	v_and_b32_e32 v33, 0x80000000, v33
	v_lshl_add_u32 v16, v16, 23, v58
	v_or3_b32 v34, v33, v16, v34
.LBB4_6628:                             ;   in Loop: Header=BB4_6139 Depth=2
	s_or_b64 exec, exec, s[88:89]
.LBB4_6629:                             ;   in Loop: Header=BB4_6139 Depth=2
	s_or_b64 exec, exec, s[78:79]
.LBB4_6630:                             ;   in Loop: Header=BB4_6139 Depth=2
	s_or_b64 exec, exec, s[18:19]
	v_and_b32_e32 v16, 0xff, v29
	v_cmp_ne_u16_e32 vcc, 0, v16
	s_and_saveexec_b64 s[18:19], vcc
	s_cbranch_execz .LBB4_6636
; %bb.6631:                             ;   in Loop: Header=BB4_6139 Depth=2
	v_cmp_ne_u16_e32 vcc, s50, v16
	v_bfrev_b32_e32 v17, 1
	s_and_saveexec_b64 s[78:79], vcc
	s_cbranch_execz .LBB4_6635
; %bb.6632:                             ;   in Loop: Header=BB4_6139 Depth=2
	v_and_b32_e32 v33, 0x7f, v29
	v_cmp_ne_u32_e32 vcc, s39, v33
	v_mov_b32_e32 v17, 0x7f800001
	s_and_saveexec_b64 s[88:89], vcc
	s_cbranch_execz .LBB4_6634
; %bb.6633:                             ;   in Loop: Header=BB4_6139 Depth=2
	v_and_b32_e32 v48, 7, v16
	v_ffbh_u32_e32 v17, v48
	v_lshrrev_b32_e32 v49, 3, v33
	v_cmp_gt_u32_e32 vcc, 8, v33
	v_min_u32_e32 v33, 32, v17
	v_subrev_u32_e32 v17, 28, v33
	v_lshlrev_b64 v[16:17], v17, v[16:17]
	v_sub_u32_e32 v17, 29, v33
	v_and_b32_e32 v16, 7, v16
	v_cndmask_b32_e32 v17, v49, v17, vcc
	v_cndmask_b32_e32 v16, v48, v16, vcc
	v_lshlrev_b32_e32 v29, 24, v29
	v_lshlrev_b32_e32 v16, 20, v16
	v_and_b32_e32 v29, 0x80000000, v29
	v_lshl_add_u32 v17, v17, 23, v58
	v_or3_b32 v17, v29, v17, v16
.LBB4_6634:                             ;   in Loop: Header=BB4_6139 Depth=2
	s_or_b64 exec, exec, s[88:89]
.LBB4_6635:                             ;   in Loop: Header=BB4_6139 Depth=2
	s_or_b64 exec, exec, s[78:79]
.LBB4_6636:                             ;   in Loop: Header=BB4_6139 Depth=2
	s_or_b64 exec, exec, s[18:19]
	v_add_f32_e32 v16, v34, v17
	v_and_b32_e32 v34, 0x7f800000, v16
	v_cmp_ne_u64_e32 vcc, s[46:47], v[34:35]
                                        ; implicit-def: $vgpr33
	s_and_saveexec_b64 s[18:19], vcc
	s_xor_b64 s[78:79], exec, s[18:19]
	s_cbranch_execz .LBB4_6654
; %bb.6637:                             ;   in Loop: Header=BB4_6139 Depth=2
	v_and_b32_e32 v34, 0x7fffffff, v16
	v_cmp_gt_u64_e32 vcc, s[56:57], v[34:35]
	v_and_b32_sdwa v29, v16, s50 dst_sel:DWORD dst_unused:UNUSED_PAD src0_sel:BYTE_3 src1_sel:DWORD
                                        ; implicit-def: $vgpr33
	s_and_saveexec_b64 s[18:19], vcc
	s_xor_b64 s[88:89], exec, s[18:19]
	s_cbranch_execz .LBB4_6651
; %bb.6638:                             ;   in Loop: Header=BB4_6139 Depth=2
	v_cmp_ne_u32_e32 vcc, 0, v16
	v_mov_b32_e32 v33, 0
	s_and_saveexec_b64 s[90:91], vcc
	s_cbranch_execz .LBB4_6650
; %bb.6639:                             ;   in Loop: Header=BB4_6139 Depth=2
	v_bfe_u32 v33, v16, 23, 8
	v_and_b32_e32 v17, 0x7fffff, v16
	v_cmp_gt_u32_e64 s[18:19], s51, v33
	v_sub_u32_e32 v16, 0x79, v33
	v_cmp_eq_u32_e32 vcc, 0, v33
	v_cndmask_b32_e64 v16, 0, v16, s[18:19]
	v_cndmask_b32_e32 v42, v16, v59, vcc
	v_or_b32_e32 v34, 0x800000, v17
	v_add_u32_e32 v16, 20, v42
	v_cndmask_b32_e32 v34, v34, v17, vcc
	v_lshlrev_b64 v[16:17], v16, -1
	v_add_u32_e32 v48, 19, v42
	v_lshlrev_b64 v[48:49], v48, 1
	v_bfi_b32 v17, v17, 0, 0
	v_bfi_b32 v16, v16, 0, v34
	v_cmp_eq_u64_e64 s[18:19], v[16:17], v[48:49]
	v_lshrrev_b64 v[16:17], v42, v[34:35]
	v_mov_b32_e32 v49, v17
	v_mov_b32_e32 v48, v16
	s_and_saveexec_b64 s[92:93], s[18:19]
; %bb.6640:                             ;   in Loop: Header=BB4_6139 Depth=2
	v_bfe_u32 v17, v16, 20, 1
	v_add_co_u32_e64 v17, s[18:19], v16, v17
	v_add_co_u32_e64 v48, s[18:19], -1, v17
; %bb.6641:                             ;   in Loop: Header=BB4_6139 Depth=2
	s_or_b64 exec, exec, s[92:93]
	v_add_u32_e32 v17, 0xffffff81, v33
	v_cndmask_b32_e32 v17, v17, v60, vcc
	v_lshrrev_b32_e32 v33, 23, v16
	v_add3_u32 v49, v42, v17, v33
	v_add_u32_e32 v33, 6, v49
	v_and_b32_e32 v17, 0xfffff, v48
	v_add_u32_e32 v34, v17, v16
	v_cmp_ne_u32_e32 vcc, 0, v33
                                        ; implicit-def: $vgpr16_vgpr17
                                        ; implicit-def: $vgpr48
	s_and_saveexec_b64 s[18:19], vcc
	s_xor_b64 s[18:19], exec, s[18:19]
; %bb.6642:                             ;   in Loop: Header=BB4_6139 Depth=2
	v_cmp_lt_u64_e32 vcc, s[58:59], v[34:35]
	v_add_u32_e32 v16, 7, v49
	v_cndmask_b32_e32 v48, v33, v16, vcc
	v_cndmask_b32_e64 v16, 0, 1, vcc
	v_lshrrev_b64 v[16:17], v16, v[34:35]
; %bb.6643:                             ;   in Loop: Header=BB4_6139 Depth=2
	s_andn2_saveexec_b64 s[18:19], s[18:19]
; %bb.6644:                             ;   in Loop: Header=BB4_6139 Depth=2
	v_mov_b32_e32 v16, v34
	v_bfe_u32 v48, v34, 23, 1
	v_mov_b32_e32 v17, v35
; %bb.6645:                             ;   in Loop: Header=BB4_6139 Depth=2
	s_or_b64 exec, exec, s[18:19]
	v_lshrrev_b64 v[16:17], 20, v[16:17]
	v_cmp_gt_i32_e32 vcc, 16, v48
	v_cndmask_b32_e32 v17, 0, v17, vcc
	v_cndmask_b32_e32 v16, 7, v16, vcc
	v_cmp_ne_u64_e32 vcc, 0, v[16:17]
	v_cmp_ne_u32_e64 s[18:19], 0, v48
	s_or_b64 s[18:19], s[18:19], vcc
                                        ; implicit-def: $vgpr33
	s_and_saveexec_b64 s[92:93], s[18:19]
	s_xor_b64 s[18:19], exec, s[92:93]
; %bb.6646:                             ;   in Loop: Header=BB4_6139 Depth=2
	v_min_i32_e32 v17, 15, v48
	v_lshl_or_b32 v17, v17, 3, v29
	v_and_or_b32 v33, v16, 7, v17
                                        ; implicit-def: $vgpr29
; %bb.6647:                             ;   in Loop: Header=BB4_6139 Depth=2
	s_andn2_saveexec_b64 s[18:19], s[18:19]
; %bb.6648:                             ;   in Loop: Header=BB4_6139 Depth=2
	v_mov_b32_e32 v33, v29
; %bb.6649:                             ;   in Loop: Header=BB4_6139 Depth=2
	s_or_b64 exec, exec, s[18:19]
.LBB4_6650:                             ;   in Loop: Header=BB4_6139 Depth=2
	s_or_b64 exec, exec, s[90:91]
                                        ; implicit-def: $vgpr29
.LBB4_6651:                             ;   in Loop: Header=BB4_6139 Depth=2
	s_andn2_saveexec_b64 s[18:19], s[88:89]
; %bb.6652:                             ;   in Loop: Header=BB4_6139 Depth=2
	v_or_b32_e32 v33, 0x7e, v29
; %bb.6653:                             ;   in Loop: Header=BB4_6139 Depth=2
	s_or_b64 exec, exec, s[18:19]
                                        ; implicit-def: $vgpr16
.LBB4_6654:                             ;   in Loop: Header=BB4_6139 Depth=2
	s_andn2_saveexec_b64 s[18:19], s[78:79]
; %bb.6655:                             ;   in Loop: Header=BB4_6139 Depth=2
	v_or_b32_sdwa v33, v16, s39 dst_sel:DWORD dst_unused:UNUSED_PAD src0_sel:BYTE_3 src1_sel:DWORD
; %bb.6656:                             ;   in Loop: Header=BB4_6139 Depth=2
	s_or_b64 exec, exec, s[18:19]
	v_and_b32_e32 v16, 0xff, v31
	v_cmp_ne_u16_e32 vcc, 0, v16
	v_mov_b32_e32 v17, 0
	v_mov_b32_e32 v29, 0
	s_and_saveexec_b64 s[18:19], vcc
	s_cbranch_execz .LBB4_6662
; %bb.6657:                             ;   in Loop: Header=BB4_6139 Depth=2
	v_cmp_ne_u16_e32 vcc, s50, v16
	v_bfrev_b32_e32 v29, 1
	s_and_saveexec_b64 s[78:79], vcc
	s_cbranch_execz .LBB4_6661
; %bb.6658:                             ;   in Loop: Header=BB4_6139 Depth=2
	v_and_b32_e32 v34, 0x7f, v31
	v_cmp_ne_u32_e32 vcc, s39, v34
	v_mov_b32_e32 v29, 0x7f800001
	s_and_saveexec_b64 s[88:89], vcc
	s_cbranch_execz .LBB4_6660
; %bb.6659:                             ;   in Loop: Header=BB4_6139 Depth=2
	v_and_b32_e32 v29, 7, v16
	v_lshrrev_b32_e32 v42, 3, v34
	v_cmp_gt_u32_e32 vcc, 8, v34
	v_ffbh_u32_e32 v34, v29
	v_min_u32_e32 v34, 32, v34
	v_subrev_u32_e32 v48, 28, v34
	v_lshlrev_b64 v[48:49], v48, v[16:17]
	v_sub_u32_e32 v16, 29, v34
	v_and_b32_e32 v34, 7, v48
	v_cndmask_b32_e32 v16, v42, v16, vcc
	v_cndmask_b32_e32 v29, v29, v34, vcc
	v_lshlrev_b32_e32 v31, 24, v31
	v_lshlrev_b32_e32 v29, 20, v29
	v_and_b32_e32 v31, 0x80000000, v31
	v_lshl_add_u32 v16, v16, 23, v58
	v_or3_b32 v29, v31, v16, v29
.LBB4_6660:                             ;   in Loop: Header=BB4_6139 Depth=2
	s_or_b64 exec, exec, s[88:89]
.LBB4_6661:                             ;   in Loop: Header=BB4_6139 Depth=2
	s_or_b64 exec, exec, s[78:79]
.LBB4_6662:                             ;   in Loop: Header=BB4_6139 Depth=2
	s_or_b64 exec, exec, s[18:19]
	v_and_b32_e32 v16, 0xff, v28
	v_cmp_ne_u16_e32 vcc, 0, v16
	s_and_saveexec_b64 s[18:19], vcc
	s_cbranch_execz .LBB4_6668
; %bb.6663:                             ;   in Loop: Header=BB4_6139 Depth=2
	v_cmp_ne_u16_e32 vcc, s50, v16
	v_bfrev_b32_e32 v17, 1
	s_and_saveexec_b64 s[78:79], vcc
	s_cbranch_execz .LBB4_6667
; %bb.6664:                             ;   in Loop: Header=BB4_6139 Depth=2
	v_and_b32_e32 v31, 0x7f, v28
	v_cmp_ne_u32_e32 vcc, s39, v31
	v_mov_b32_e32 v17, 0x7f800001
	s_and_saveexec_b64 s[88:89], vcc
	s_cbranch_execz .LBB4_6666
; %bb.6665:                             ;   in Loop: Header=BB4_6139 Depth=2
	v_and_b32_e32 v34, 7, v16
	v_ffbh_u32_e32 v17, v34
	v_lshrrev_b32_e32 v48, 3, v31
	v_cmp_gt_u32_e32 vcc, 8, v31
	v_min_u32_e32 v31, 32, v17
	v_subrev_u32_e32 v17, 28, v31
	v_lshlrev_b64 v[16:17], v17, v[16:17]
	v_sub_u32_e32 v17, 29, v31
	v_and_b32_e32 v16, 7, v16
	v_cndmask_b32_e32 v17, v48, v17, vcc
	v_cndmask_b32_e32 v16, v34, v16, vcc
	v_lshlrev_b32_e32 v28, 24, v28
	v_lshlrev_b32_e32 v16, 20, v16
	v_and_b32_e32 v28, 0x80000000, v28
	v_lshl_add_u32 v17, v17, 23, v58
	v_or3_b32 v17, v28, v17, v16
.LBB4_6666:                             ;   in Loop: Header=BB4_6139 Depth=2
	s_or_b64 exec, exec, s[88:89]
.LBB4_6667:                             ;   in Loop: Header=BB4_6139 Depth=2
	s_or_b64 exec, exec, s[78:79]
.LBB4_6668:                             ;   in Loop: Header=BB4_6139 Depth=2
	s_or_b64 exec, exec, s[18:19]
	v_add_f32_e32 v16, v29, v17
	v_and_b32_e32 v34, 0x7f800000, v16
	v_cmp_ne_u64_e32 vcc, s[46:47], v[34:35]
                                        ; implicit-def: $vgpr31
	s_and_saveexec_b64 s[18:19], vcc
	s_xor_b64 s[78:79], exec, s[18:19]
	s_cbranch_execz .LBB4_6686
; %bb.6669:                             ;   in Loop: Header=BB4_6139 Depth=2
	v_and_b32_e32 v34, 0x7fffffff, v16
	v_cmp_gt_u64_e32 vcc, s[56:57], v[34:35]
	v_and_b32_sdwa v28, v16, s50 dst_sel:DWORD dst_unused:UNUSED_PAD src0_sel:BYTE_3 src1_sel:DWORD
                                        ; implicit-def: $vgpr31
	s_and_saveexec_b64 s[18:19], vcc
	s_xor_b64 s[88:89], exec, s[18:19]
	s_cbranch_execz .LBB4_6683
; %bb.6670:                             ;   in Loop: Header=BB4_6139 Depth=2
	v_cmp_ne_u32_e32 vcc, 0, v16
	v_mov_b32_e32 v31, 0
	s_and_saveexec_b64 s[90:91], vcc
	s_cbranch_execz .LBB4_6682
; %bb.6671:                             ;   in Loop: Header=BB4_6139 Depth=2
	v_bfe_u32 v29, v16, 23, 8
	v_and_b32_e32 v17, 0x7fffff, v16
	v_cmp_gt_u32_e64 s[18:19], s51, v29
	v_sub_u32_e32 v16, 0x79, v29
	v_cmp_eq_u32_e32 vcc, 0, v29
	v_cndmask_b32_e64 v16, 0, v16, s[18:19]
	v_cndmask_b32_e32 v31, v16, v59, vcc
	v_or_b32_e32 v34, 0x800000, v17
	v_add_u32_e32 v16, 20, v31
	v_cndmask_b32_e32 v34, v34, v17, vcc
	v_lshlrev_b64 v[16:17], v16, -1
	v_add_u32_e32 v48, 19, v31
	v_lshlrev_b64 v[48:49], v48, 1
	v_bfi_b32 v17, v17, 0, 0
	v_bfi_b32 v16, v16, 0, v34
	v_cmp_eq_u64_e64 s[18:19], v[16:17], v[48:49]
	v_lshrrev_b64 v[16:17], v31, v[34:35]
	v_mov_b32_e32 v49, v17
	v_mov_b32_e32 v48, v16
	s_and_saveexec_b64 s[92:93], s[18:19]
; %bb.6672:                             ;   in Loop: Header=BB4_6139 Depth=2
	v_bfe_u32 v17, v16, 20, 1
	v_add_co_u32_e64 v17, s[18:19], v16, v17
	v_add_co_u32_e64 v48, s[18:19], -1, v17
; %bb.6673:                             ;   in Loop: Header=BB4_6139 Depth=2
	s_or_b64 exec, exec, s[92:93]
	v_add_u32_e32 v17, 0xffffff81, v29
	v_cndmask_b32_e32 v17, v17, v60, vcc
	v_lshrrev_b32_e32 v29, 23, v16
	v_add3_u32 v49, v31, v17, v29
	v_add_u32_e32 v31, 6, v49
	v_and_b32_e32 v17, 0xfffff, v48
	v_add_u32_e32 v34, v17, v16
	v_cmp_ne_u32_e32 vcc, 0, v31
                                        ; implicit-def: $vgpr16_vgpr17
                                        ; implicit-def: $vgpr29
	s_and_saveexec_b64 s[18:19], vcc
	s_xor_b64 s[18:19], exec, s[18:19]
; %bb.6674:                             ;   in Loop: Header=BB4_6139 Depth=2
	v_cmp_lt_u64_e32 vcc, s[58:59], v[34:35]
	v_add_u32_e32 v16, 7, v49
	v_cndmask_b32_e32 v29, v31, v16, vcc
	v_cndmask_b32_e64 v16, 0, 1, vcc
	v_lshrrev_b64 v[16:17], v16, v[34:35]
; %bb.6675:                             ;   in Loop: Header=BB4_6139 Depth=2
	s_andn2_saveexec_b64 s[18:19], s[18:19]
; %bb.6676:                             ;   in Loop: Header=BB4_6139 Depth=2
	v_mov_b32_e32 v16, v34
	v_bfe_u32 v29, v34, 23, 1
	v_mov_b32_e32 v17, v35
; %bb.6677:                             ;   in Loop: Header=BB4_6139 Depth=2
	s_or_b64 exec, exec, s[18:19]
	v_lshrrev_b64 v[16:17], 20, v[16:17]
	v_cmp_gt_i32_e32 vcc, 16, v29
	v_cndmask_b32_e32 v17, 0, v17, vcc
	v_cndmask_b32_e32 v16, 7, v16, vcc
	v_cmp_ne_u64_e32 vcc, 0, v[16:17]
	v_cmp_ne_u32_e64 s[18:19], 0, v29
	s_or_b64 s[18:19], s[18:19], vcc
                                        ; implicit-def: $vgpr31
	s_and_saveexec_b64 s[92:93], s[18:19]
	s_xor_b64 s[18:19], exec, s[92:93]
; %bb.6678:                             ;   in Loop: Header=BB4_6139 Depth=2
	v_min_i32_e32 v17, 15, v29
	v_lshl_or_b32 v17, v17, 3, v28
	v_and_or_b32 v31, v16, 7, v17
                                        ; implicit-def: $vgpr28
; %bb.6679:                             ;   in Loop: Header=BB4_6139 Depth=2
	s_andn2_saveexec_b64 s[18:19], s[18:19]
; %bb.6680:                             ;   in Loop: Header=BB4_6139 Depth=2
	v_mov_b32_e32 v31, v28
; %bb.6681:                             ;   in Loop: Header=BB4_6139 Depth=2
	s_or_b64 exec, exec, s[18:19]
.LBB4_6682:                             ;   in Loop: Header=BB4_6139 Depth=2
	s_or_b64 exec, exec, s[90:91]
                                        ; implicit-def: $vgpr28
.LBB4_6683:                             ;   in Loop: Header=BB4_6139 Depth=2
	s_andn2_saveexec_b64 s[18:19], s[88:89]
; %bb.6684:                             ;   in Loop: Header=BB4_6139 Depth=2
	v_or_b32_e32 v31, 0x7e, v28
; %bb.6685:                             ;   in Loop: Header=BB4_6139 Depth=2
	s_or_b64 exec, exec, s[18:19]
                                        ; implicit-def: $vgpr16
.LBB4_6686:                             ;   in Loop: Header=BB4_6139 Depth=2
	s_andn2_saveexec_b64 s[18:19], s[78:79]
; %bb.6687:                             ;   in Loop: Header=BB4_6139 Depth=2
	v_or_b32_sdwa v31, v16, s39 dst_sel:DWORD dst_unused:UNUSED_PAD src0_sel:BYTE_3 src1_sel:DWORD
; %bb.6688:                             ;   in Loop: Header=BB4_6139 Depth=2
	s_or_b64 exec, exec, s[18:19]
	v_and_b32_e32 v16, 0xff, v30
	v_cmp_ne_u16_e32 vcc, 0, v16
	v_mov_b32_e32 v17, 0
	v_mov_b32_e32 v28, 0
	s_and_saveexec_b64 s[18:19], vcc
	s_cbranch_execz .LBB4_6694
; %bb.6689:                             ;   in Loop: Header=BB4_6139 Depth=2
	v_cmp_ne_u16_e32 vcc, s50, v16
	v_bfrev_b32_e32 v28, 1
	s_and_saveexec_b64 s[78:79], vcc
	s_cbranch_execz .LBB4_6693
; %bb.6690:                             ;   in Loop: Header=BB4_6139 Depth=2
	v_and_b32_e32 v29, 0x7f, v30
	v_cmp_ne_u32_e32 vcc, s39, v29
	v_mov_b32_e32 v28, 0x7f800001
	s_and_saveexec_b64 s[88:89], vcc
	s_cbranch_execz .LBB4_6692
; %bb.6691:                             ;   in Loop: Header=BB4_6139 Depth=2
	v_and_b32_e32 v34, 7, v16
	v_ffbh_u32_e32 v28, v34
	v_min_u32_e32 v49, 32, v28
	v_subrev_u32_e32 v28, 28, v49
	v_lshrrev_b32_e32 v48, 3, v29
	v_cmp_gt_u32_e32 vcc, 8, v29
	v_lshlrev_b64 v[28:29], v28, v[16:17]
	v_sub_u32_e32 v16, 29, v49
	v_and_b32_e32 v28, 7, v28
	v_cndmask_b32_e32 v16, v48, v16, vcc
	v_cndmask_b32_e32 v28, v34, v28, vcc
	v_lshlrev_b32_e32 v29, 24, v30
	v_lshlrev_b32_e32 v28, 20, v28
	v_and_b32_e32 v29, 0x80000000, v29
	v_lshl_add_u32 v16, v16, 23, v58
	v_or3_b32 v28, v29, v16, v28
.LBB4_6692:                             ;   in Loop: Header=BB4_6139 Depth=2
	s_or_b64 exec, exec, s[88:89]
.LBB4_6693:                             ;   in Loop: Header=BB4_6139 Depth=2
	s_or_b64 exec, exec, s[78:79]
.LBB4_6694:                             ;   in Loop: Header=BB4_6139 Depth=2
	s_or_b64 exec, exec, s[18:19]
	v_and_b32_e32 v16, 0xff, v41
	v_cmp_ne_u16_e32 vcc, 0, v16
	s_and_saveexec_b64 s[18:19], vcc
	s_cbranch_execz .LBB4_6700
; %bb.6695:                             ;   in Loop: Header=BB4_6139 Depth=2
	v_cmp_ne_u16_e32 vcc, s50, v16
	v_bfrev_b32_e32 v17, 1
	s_and_saveexec_b64 s[78:79], vcc
	s_cbranch_execz .LBB4_6699
; %bb.6696:                             ;   in Loop: Header=BB4_6139 Depth=2
	v_and_b32_e32 v29, 0x7f, v41
	v_cmp_ne_u32_e32 vcc, s39, v29
	v_mov_b32_e32 v17, 0x7f800001
	s_and_saveexec_b64 s[88:89], vcc
	s_cbranch_execz .LBB4_6698
; %bb.6697:                             ;   in Loop: Header=BB4_6139 Depth=2
	v_and_b32_e32 v30, 7, v16
	v_ffbh_u32_e32 v17, v30
	v_lshrrev_b32_e32 v34, 3, v29
	v_cmp_gt_u32_e32 vcc, 8, v29
	v_min_u32_e32 v29, 32, v17
	v_subrev_u32_e32 v17, 28, v29
	v_lshlrev_b64 v[16:17], v17, v[16:17]
	v_sub_u32_e32 v17, 29, v29
	v_and_b32_e32 v16, 7, v16
	v_cndmask_b32_e32 v17, v34, v17, vcc
	v_cndmask_b32_e32 v16, v30, v16, vcc
	v_lshlrev_b32_e32 v29, 24, v41
	v_lshlrev_b32_e32 v16, 20, v16
	v_and_b32_e32 v29, 0x80000000, v29
	v_lshl_add_u32 v17, v17, 23, v58
	v_or3_b32 v17, v29, v17, v16
.LBB4_6698:                             ;   in Loop: Header=BB4_6139 Depth=2
	s_or_b64 exec, exec, s[88:89]
.LBB4_6699:                             ;   in Loop: Header=BB4_6139 Depth=2
	s_or_b64 exec, exec, s[78:79]
.LBB4_6700:                             ;   in Loop: Header=BB4_6139 Depth=2
	s_or_b64 exec, exec, s[18:19]
	v_add_f32_e32 v16, v28, v17
	v_and_b32_e32 v34, 0x7f800000, v16
	v_cmp_ne_u64_e32 vcc, s[46:47], v[34:35]
                                        ; implicit-def: $vgpr30
	s_and_saveexec_b64 s[18:19], vcc
	s_xor_b64 s[78:79], exec, s[18:19]
	s_cbranch_execz .LBB4_6718
; %bb.6701:                             ;   in Loop: Header=BB4_6139 Depth=2
	v_and_b32_e32 v34, 0x7fffffff, v16
	v_cmp_gt_u64_e32 vcc, s[56:57], v[34:35]
	v_and_b32_sdwa v28, v16, s50 dst_sel:DWORD dst_unused:UNUSED_PAD src0_sel:BYTE_3 src1_sel:DWORD
                                        ; implicit-def: $vgpr30
	s_and_saveexec_b64 s[18:19], vcc
	s_xor_b64 s[88:89], exec, s[18:19]
	s_cbranch_execz .LBB4_6715
; %bb.6702:                             ;   in Loop: Header=BB4_6139 Depth=2
	v_cmp_ne_u32_e32 vcc, 0, v16
	v_mov_b32_e32 v30, 0
	s_and_saveexec_b64 s[90:91], vcc
	s_cbranch_execz .LBB4_6714
; %bb.6703:                             ;   in Loop: Header=BB4_6139 Depth=2
	v_bfe_u32 v29, v16, 23, 8
	v_and_b32_e32 v17, 0x7fffff, v16
	v_cmp_gt_u32_e64 s[18:19], s51, v29
	v_sub_u32_e32 v16, 0x79, v29
	v_cmp_eq_u32_e32 vcc, 0, v29
	v_cndmask_b32_e64 v16, 0, v16, s[18:19]
	v_cndmask_b32_e32 v30, v16, v59, vcc
	v_or_b32_e32 v34, 0x800000, v17
	v_add_u32_e32 v16, 20, v30
	v_cndmask_b32_e32 v34, v34, v17, vcc
	v_lshlrev_b64 v[16:17], v16, -1
	v_add_u32_e32 v48, 19, v30
	v_lshlrev_b64 v[48:49], v48, 1
	v_bfi_b32 v17, v17, 0, 0
	v_bfi_b32 v16, v16, 0, v34
	v_cmp_eq_u64_e64 s[18:19], v[16:17], v[48:49]
	v_lshrrev_b64 v[16:17], v30, v[34:35]
	v_mov_b32_e32 v49, v17
	v_mov_b32_e32 v48, v16
	s_and_saveexec_b64 s[92:93], s[18:19]
; %bb.6704:                             ;   in Loop: Header=BB4_6139 Depth=2
	v_bfe_u32 v17, v16, 20, 1
	v_add_co_u32_e64 v17, s[18:19], v16, v17
	v_add_co_u32_e64 v48, s[18:19], -1, v17
; %bb.6705:                             ;   in Loop: Header=BB4_6139 Depth=2
	s_or_b64 exec, exec, s[92:93]
	v_add_u32_e32 v17, 0xffffff81, v29
	v_cndmask_b32_e32 v17, v17, v60, vcc
	v_lshrrev_b32_e32 v29, 23, v16
	v_add3_u32 v49, v30, v17, v29
	v_add_u32_e32 v30, 6, v49
	v_and_b32_e32 v17, 0xfffff, v48
	v_add_u32_e32 v34, v17, v16
	v_cmp_ne_u32_e32 vcc, 0, v30
                                        ; implicit-def: $vgpr16_vgpr17
                                        ; implicit-def: $vgpr29
	s_and_saveexec_b64 s[18:19], vcc
	s_xor_b64 s[18:19], exec, s[18:19]
; %bb.6706:                             ;   in Loop: Header=BB4_6139 Depth=2
	v_cmp_lt_u64_e32 vcc, s[58:59], v[34:35]
	v_add_u32_e32 v16, 7, v49
	v_cndmask_b32_e32 v29, v30, v16, vcc
	v_cndmask_b32_e64 v16, 0, 1, vcc
	v_lshrrev_b64 v[16:17], v16, v[34:35]
; %bb.6707:                             ;   in Loop: Header=BB4_6139 Depth=2
	s_andn2_saveexec_b64 s[18:19], s[18:19]
; %bb.6708:                             ;   in Loop: Header=BB4_6139 Depth=2
	v_mov_b32_e32 v16, v34
	v_bfe_u32 v29, v34, 23, 1
	v_mov_b32_e32 v17, v35
; %bb.6709:                             ;   in Loop: Header=BB4_6139 Depth=2
	s_or_b64 exec, exec, s[18:19]
	v_lshrrev_b64 v[16:17], 20, v[16:17]
	v_cmp_gt_i32_e32 vcc, 16, v29
	v_cndmask_b32_e32 v17, 0, v17, vcc
	v_cndmask_b32_e32 v16, 7, v16, vcc
	v_cmp_ne_u64_e32 vcc, 0, v[16:17]
	v_cmp_ne_u32_e64 s[18:19], 0, v29
	s_or_b64 s[18:19], s[18:19], vcc
                                        ; implicit-def: $vgpr30
	s_and_saveexec_b64 s[92:93], s[18:19]
	s_xor_b64 s[18:19], exec, s[92:93]
; %bb.6710:                             ;   in Loop: Header=BB4_6139 Depth=2
	v_min_i32_e32 v17, 15, v29
	v_lshl_or_b32 v17, v17, 3, v28
	v_and_or_b32 v30, v16, 7, v17
                                        ; implicit-def: $vgpr28
; %bb.6711:                             ;   in Loop: Header=BB4_6139 Depth=2
	s_andn2_saveexec_b64 s[18:19], s[18:19]
; %bb.6712:                             ;   in Loop: Header=BB4_6139 Depth=2
	v_mov_b32_e32 v30, v28
; %bb.6713:                             ;   in Loop: Header=BB4_6139 Depth=2
	s_or_b64 exec, exec, s[18:19]
.LBB4_6714:                             ;   in Loop: Header=BB4_6139 Depth=2
	s_or_b64 exec, exec, s[90:91]
                                        ; implicit-def: $vgpr28
.LBB4_6715:                             ;   in Loop: Header=BB4_6139 Depth=2
	s_andn2_saveexec_b64 s[18:19], s[88:89]
; %bb.6716:                             ;   in Loop: Header=BB4_6139 Depth=2
	v_or_b32_e32 v30, 0x7e, v28
; %bb.6717:                             ;   in Loop: Header=BB4_6139 Depth=2
	s_or_b64 exec, exec, s[18:19]
                                        ; implicit-def: $vgpr16
.LBB4_6718:                             ;   in Loop: Header=BB4_6139 Depth=2
	s_andn2_saveexec_b64 s[18:19], s[78:79]
; %bb.6719:                             ;   in Loop: Header=BB4_6139 Depth=2
	v_or_b32_sdwa v30, v16, s39 dst_sel:DWORD dst_unused:UNUSED_PAD src0_sel:BYTE_3 src1_sel:DWORD
; %bb.6720:                             ;   in Loop: Header=BB4_6139 Depth=2
	s_or_b64 exec, exec, s[18:19]
	v_and_b32_e32 v16, 0xff, v27
	v_cmp_ne_u16_e32 vcc, 0, v16
	v_mov_b32_e32 v17, 0
	v_mov_b32_e32 v28, 0
	s_and_saveexec_b64 s[18:19], vcc
	s_cbranch_execz .LBB4_6726
; %bb.6721:                             ;   in Loop: Header=BB4_6139 Depth=2
	v_cmp_ne_u16_e32 vcc, s50, v16
	v_bfrev_b32_e32 v28, 1
	s_and_saveexec_b64 s[78:79], vcc
	s_cbranch_execz .LBB4_6725
; %bb.6722:                             ;   in Loop: Header=BB4_6139 Depth=2
	v_and_b32_e32 v29, 0x7f, v27
	v_cmp_ne_u32_e32 vcc, s39, v29
	v_mov_b32_e32 v28, 0x7f800001
	s_and_saveexec_b64 s[88:89], vcc
	s_cbranch_execz .LBB4_6724
; %bb.6723:                             ;   in Loop: Header=BB4_6139 Depth=2
	v_and_b32_e32 v34, 7, v16
	v_ffbh_u32_e32 v28, v34
	v_min_u32_e32 v49, 32, v28
	v_subrev_u32_e32 v28, 28, v49
	v_lshrrev_b32_e32 v48, 3, v29
	v_cmp_gt_u32_e32 vcc, 8, v29
	v_lshlrev_b64 v[28:29], v28, v[16:17]
	v_sub_u32_e32 v16, 29, v49
	v_and_b32_e32 v28, 7, v28
	v_cndmask_b32_e32 v16, v48, v16, vcc
	v_cndmask_b32_e32 v28, v34, v28, vcc
	v_lshlrev_b32_e32 v27, 24, v27
	v_lshlrev_b32_e32 v28, 20, v28
	v_and_b32_e32 v27, 0x80000000, v27
	v_lshl_add_u32 v16, v16, 23, v58
	v_or3_b32 v28, v27, v16, v28
.LBB4_6724:                             ;   in Loop: Header=BB4_6139 Depth=2
	s_or_b64 exec, exec, s[88:89]
.LBB4_6725:                             ;   in Loop: Header=BB4_6139 Depth=2
	s_or_b64 exec, exec, s[78:79]
.LBB4_6726:                             ;   in Loop: Header=BB4_6139 Depth=2
	s_or_b64 exec, exec, s[18:19]
	v_and_b32_e32 v16, 0xff, v40
	v_cmp_ne_u16_e32 vcc, 0, v16
	s_and_saveexec_b64 s[18:19], vcc
	s_cbranch_execz .LBB4_6732
; %bb.6727:                             ;   in Loop: Header=BB4_6139 Depth=2
	v_cmp_ne_u16_e32 vcc, s50, v16
	v_bfrev_b32_e32 v17, 1
	s_and_saveexec_b64 s[78:79], vcc
	s_cbranch_execz .LBB4_6731
; %bb.6728:                             ;   in Loop: Header=BB4_6139 Depth=2
	v_and_b32_e32 v27, 0x7f, v40
	v_cmp_ne_u32_e32 vcc, s39, v27
	v_mov_b32_e32 v17, 0x7f800001
	s_and_saveexec_b64 s[88:89], vcc
	s_cbranch_execz .LBB4_6730
; %bb.6729:                             ;   in Loop: Header=BB4_6139 Depth=2
	v_and_b32_e32 v29, 7, v16
	v_ffbh_u32_e32 v17, v29
	v_lshrrev_b32_e32 v34, 3, v27
	v_cmp_gt_u32_e32 vcc, 8, v27
	v_min_u32_e32 v27, 32, v17
	v_subrev_u32_e32 v17, 28, v27
	v_lshlrev_b64 v[16:17], v17, v[16:17]
	v_sub_u32_e32 v17, 29, v27
	v_and_b32_e32 v16, 7, v16
	v_cndmask_b32_e32 v17, v34, v17, vcc
	v_cndmask_b32_e32 v16, v29, v16, vcc
	v_lshlrev_b32_e32 v27, 24, v40
	v_lshlrev_b32_e32 v16, 20, v16
	v_and_b32_e32 v27, 0x80000000, v27
	v_lshl_add_u32 v17, v17, 23, v58
	v_or3_b32 v17, v27, v17, v16
.LBB4_6730:                             ;   in Loop: Header=BB4_6139 Depth=2
	s_or_b64 exec, exec, s[88:89]
.LBB4_6731:                             ;   in Loop: Header=BB4_6139 Depth=2
	s_or_b64 exec, exec, s[78:79]
.LBB4_6732:                             ;   in Loop: Header=BB4_6139 Depth=2
	s_or_b64 exec, exec, s[18:19]
	v_add_f32_e32 v16, v28, v17
	v_and_b32_e32 v34, 0x7f800000, v16
	v_cmp_ne_u64_e32 vcc, s[46:47], v[34:35]
                                        ; implicit-def: $vgpr27
	s_and_saveexec_b64 s[18:19], vcc
	s_xor_b64 s[78:79], exec, s[18:19]
	s_cbranch_execz .LBB4_6750
; %bb.6733:                             ;   in Loop: Header=BB4_6139 Depth=2
	v_and_b32_e32 v34, 0x7fffffff, v16
	v_cmp_gt_u64_e32 vcc, s[56:57], v[34:35]
	v_and_b32_sdwa v28, v16, s50 dst_sel:DWORD dst_unused:UNUSED_PAD src0_sel:BYTE_3 src1_sel:DWORD
                                        ; implicit-def: $vgpr27
	s_and_saveexec_b64 s[18:19], vcc
	s_xor_b64 s[88:89], exec, s[18:19]
	s_cbranch_execz .LBB4_6747
; %bb.6734:                             ;   in Loop: Header=BB4_6139 Depth=2
	v_cmp_ne_u32_e32 vcc, 0, v16
	v_mov_b32_e32 v27, 0
	s_and_saveexec_b64 s[90:91], vcc
	s_cbranch_execz .LBB4_6746
; %bb.6735:                             ;   in Loop: Header=BB4_6139 Depth=2
	v_bfe_u32 v27, v16, 23, 8
	v_and_b32_e32 v17, 0x7fffff, v16
	v_cmp_gt_u32_e64 s[18:19], s51, v27
	v_sub_u32_e32 v16, 0x79, v27
	v_cmp_eq_u32_e32 vcc, 0, v27
	v_cndmask_b32_e64 v16, 0, v16, s[18:19]
	v_cndmask_b32_e32 v29, v16, v59, vcc
	v_or_b32_e32 v34, 0x800000, v17
	v_add_u32_e32 v16, 20, v29
	v_cndmask_b32_e32 v34, v34, v17, vcc
	v_lshlrev_b64 v[16:17], v16, -1
	v_add_u32_e32 v48, 19, v29
	v_lshlrev_b64 v[48:49], v48, 1
	v_bfi_b32 v17, v17, 0, 0
	v_bfi_b32 v16, v16, 0, v34
	v_cmp_eq_u64_e64 s[18:19], v[16:17], v[48:49]
	v_lshrrev_b64 v[16:17], v29, v[34:35]
	v_mov_b32_e32 v49, v17
	v_mov_b32_e32 v48, v16
	s_and_saveexec_b64 s[92:93], s[18:19]
; %bb.6736:                             ;   in Loop: Header=BB4_6139 Depth=2
	v_bfe_u32 v17, v16, 20, 1
	v_add_co_u32_e64 v17, s[18:19], v16, v17
	v_add_co_u32_e64 v48, s[18:19], -1, v17
; %bb.6737:                             ;   in Loop: Header=BB4_6139 Depth=2
	s_or_b64 exec, exec, s[92:93]
	v_add_u32_e32 v17, 0xffffff81, v27
	v_cndmask_b32_e32 v17, v17, v60, vcc
	v_lshrrev_b32_e32 v27, 23, v16
	v_add3_u32 v49, v29, v17, v27
	v_add_u32_e32 v27, 6, v49
	v_and_b32_e32 v17, 0xfffff, v48
	v_add_u32_e32 v34, v17, v16
	v_cmp_ne_u32_e32 vcc, 0, v27
                                        ; implicit-def: $vgpr16_vgpr17
                                        ; implicit-def: $vgpr29
	s_and_saveexec_b64 s[18:19], vcc
	s_xor_b64 s[18:19], exec, s[18:19]
; %bb.6738:                             ;   in Loop: Header=BB4_6139 Depth=2
	v_cmp_lt_u64_e32 vcc, s[58:59], v[34:35]
	v_add_u32_e32 v16, 7, v49
	v_cndmask_b32_e32 v29, v27, v16, vcc
	v_cndmask_b32_e64 v16, 0, 1, vcc
	v_lshrrev_b64 v[16:17], v16, v[34:35]
; %bb.6739:                             ;   in Loop: Header=BB4_6139 Depth=2
	s_andn2_saveexec_b64 s[18:19], s[18:19]
; %bb.6740:                             ;   in Loop: Header=BB4_6139 Depth=2
	v_mov_b32_e32 v16, v34
	v_bfe_u32 v29, v34, 23, 1
	v_mov_b32_e32 v17, v35
; %bb.6741:                             ;   in Loop: Header=BB4_6139 Depth=2
	s_or_b64 exec, exec, s[18:19]
	v_lshrrev_b64 v[16:17], 20, v[16:17]
	v_cmp_gt_i32_e32 vcc, 16, v29
	v_cndmask_b32_e32 v17, 0, v17, vcc
	v_cndmask_b32_e32 v16, 7, v16, vcc
	v_cmp_ne_u64_e32 vcc, 0, v[16:17]
	v_cmp_ne_u32_e64 s[18:19], 0, v29
	s_or_b64 s[18:19], s[18:19], vcc
                                        ; implicit-def: $vgpr27
	s_and_saveexec_b64 s[92:93], s[18:19]
	s_xor_b64 s[18:19], exec, s[92:93]
; %bb.6742:                             ;   in Loop: Header=BB4_6139 Depth=2
	v_min_i32_e32 v17, 15, v29
	v_lshl_or_b32 v17, v17, 3, v28
	v_and_or_b32 v27, v16, 7, v17
                                        ; implicit-def: $vgpr28
; %bb.6743:                             ;   in Loop: Header=BB4_6139 Depth=2
	s_andn2_saveexec_b64 s[18:19], s[18:19]
; %bb.6744:                             ;   in Loop: Header=BB4_6139 Depth=2
	v_mov_b32_e32 v27, v28
; %bb.6745:                             ;   in Loop: Header=BB4_6139 Depth=2
	s_or_b64 exec, exec, s[18:19]
.LBB4_6746:                             ;   in Loop: Header=BB4_6139 Depth=2
	s_or_b64 exec, exec, s[90:91]
                                        ; implicit-def: $vgpr28
.LBB4_6747:                             ;   in Loop: Header=BB4_6139 Depth=2
	s_andn2_saveexec_b64 s[18:19], s[88:89]
; %bb.6748:                             ;   in Loop: Header=BB4_6139 Depth=2
	v_or_b32_e32 v27, 0x7e, v28
; %bb.6749:                             ;   in Loop: Header=BB4_6139 Depth=2
	s_or_b64 exec, exec, s[18:19]
                                        ; implicit-def: $vgpr16
.LBB4_6750:                             ;   in Loop: Header=BB4_6139 Depth=2
	s_andn2_saveexec_b64 s[18:19], s[78:79]
; %bb.6751:                             ;   in Loop: Header=BB4_6139 Depth=2
	v_or_b32_sdwa v27, v16, s39 dst_sel:DWORD dst_unused:UNUSED_PAD src0_sel:BYTE_3 src1_sel:DWORD
; %bb.6752:                             ;   in Loop: Header=BB4_6139 Depth=2
	s_or_b64 exec, exec, s[18:19]
	v_and_b32_e32 v16, 0xff, v26
	v_cmp_ne_u16_e32 vcc, 0, v16
	v_mov_b32_e32 v17, 0
	v_mov_b32_e32 v28, 0
	s_and_saveexec_b64 s[18:19], vcc
	s_cbranch_execz .LBB4_6758
; %bb.6753:                             ;   in Loop: Header=BB4_6139 Depth=2
	v_cmp_ne_u16_e32 vcc, s50, v16
	v_bfrev_b32_e32 v28, 1
	s_and_saveexec_b64 s[78:79], vcc
	s_cbranch_execz .LBB4_6757
; %bb.6754:                             ;   in Loop: Header=BB4_6139 Depth=2
	v_and_b32_e32 v29, 0x7f, v26
	v_cmp_ne_u32_e32 vcc, s39, v29
	v_mov_b32_e32 v28, 0x7f800001
	s_and_saveexec_b64 s[88:89], vcc
	s_cbranch_execz .LBB4_6756
; %bb.6755:                             ;   in Loop: Header=BB4_6139 Depth=2
	v_and_b32_e32 v34, 7, v16
	v_ffbh_u32_e32 v28, v34
	v_min_u32_e32 v49, 32, v28
	v_subrev_u32_e32 v28, 28, v49
	v_lshrrev_b32_e32 v48, 3, v29
	v_cmp_gt_u32_e32 vcc, 8, v29
	v_lshlrev_b64 v[28:29], v28, v[16:17]
	v_sub_u32_e32 v16, 29, v49
	v_and_b32_e32 v28, 7, v28
	v_cndmask_b32_e32 v16, v48, v16, vcc
	v_cndmask_b32_e32 v28, v34, v28, vcc
	v_lshlrev_b32_e32 v26, 24, v26
	v_lshlrev_b32_e32 v28, 20, v28
	v_and_b32_e32 v26, 0x80000000, v26
	v_lshl_add_u32 v16, v16, 23, v58
	v_or3_b32 v28, v26, v16, v28
.LBB4_6756:                             ;   in Loop: Header=BB4_6139 Depth=2
	s_or_b64 exec, exec, s[88:89]
.LBB4_6757:                             ;   in Loop: Header=BB4_6139 Depth=2
	s_or_b64 exec, exec, s[78:79]
.LBB4_6758:                             ;   in Loop: Header=BB4_6139 Depth=2
	s_or_b64 exec, exec, s[18:19]
	v_and_b32_e32 v16, 0xff, v55
	v_cmp_ne_u16_e32 vcc, 0, v16
	s_and_saveexec_b64 s[18:19], vcc
	s_cbranch_execz .LBB4_6764
; %bb.6759:                             ;   in Loop: Header=BB4_6139 Depth=2
	v_cmp_ne_u16_e32 vcc, s50, v16
	v_bfrev_b32_e32 v17, 1
	s_and_saveexec_b64 s[78:79], vcc
	s_cbranch_execz .LBB4_6763
; %bb.6760:                             ;   in Loop: Header=BB4_6139 Depth=2
	v_and_b32_e32 v26, 0x7f, v55
	v_cmp_ne_u32_e32 vcc, s39, v26
	v_mov_b32_e32 v17, 0x7f800001
	s_and_saveexec_b64 s[88:89], vcc
	s_cbranch_execz .LBB4_6762
; %bb.6761:                             ;   in Loop: Header=BB4_6139 Depth=2
	v_and_b32_e32 v29, 7, v16
	v_ffbh_u32_e32 v17, v29
	v_lshrrev_b32_e32 v34, 3, v26
	v_cmp_gt_u32_e32 vcc, 8, v26
	v_min_u32_e32 v26, 32, v17
	v_subrev_u32_e32 v17, 28, v26
	v_lshlrev_b64 v[16:17], v17, v[16:17]
	v_sub_u32_e32 v17, 29, v26
	v_and_b32_e32 v16, 7, v16
	v_cndmask_b32_e32 v17, v34, v17, vcc
	v_cndmask_b32_e32 v16, v29, v16, vcc
	v_lshlrev_b32_e32 v26, 24, v55
	v_lshlrev_b32_e32 v16, 20, v16
	v_and_b32_e32 v26, 0x80000000, v26
	v_lshl_add_u32 v17, v17, 23, v58
	v_or3_b32 v17, v26, v17, v16
.LBB4_6762:                             ;   in Loop: Header=BB4_6139 Depth=2
	s_or_b64 exec, exec, s[88:89]
.LBB4_6763:                             ;   in Loop: Header=BB4_6139 Depth=2
	s_or_b64 exec, exec, s[78:79]
.LBB4_6764:                             ;   in Loop: Header=BB4_6139 Depth=2
	s_or_b64 exec, exec, s[18:19]
	v_add_f32_e32 v16, v28, v17
	v_and_b32_e32 v34, 0x7f800000, v16
	v_cmp_ne_u64_e32 vcc, s[46:47], v[34:35]
                                        ; implicit-def: $vgpr26
	s_and_saveexec_b64 s[18:19], vcc
	s_xor_b64 s[78:79], exec, s[18:19]
	s_cbranch_execz .LBB4_6782
; %bb.6765:                             ;   in Loop: Header=BB4_6139 Depth=2
	v_and_b32_e32 v34, 0x7fffffff, v16
	v_cmp_gt_u64_e32 vcc, s[56:57], v[34:35]
	v_and_b32_sdwa v28, v16, s50 dst_sel:DWORD dst_unused:UNUSED_PAD src0_sel:BYTE_3 src1_sel:DWORD
                                        ; implicit-def: $vgpr26
	s_and_saveexec_b64 s[18:19], vcc
	s_xor_b64 s[88:89], exec, s[18:19]
	s_cbranch_execz .LBB4_6779
; %bb.6766:                             ;   in Loop: Header=BB4_6139 Depth=2
	v_cmp_ne_u32_e32 vcc, 0, v16
	v_mov_b32_e32 v26, 0
	s_and_saveexec_b64 s[90:91], vcc
	s_cbranch_execz .LBB4_6778
; %bb.6767:                             ;   in Loop: Header=BB4_6139 Depth=2
	v_bfe_u32 v26, v16, 23, 8
	v_and_b32_e32 v17, 0x7fffff, v16
	v_cmp_gt_u32_e64 s[18:19], s51, v26
	v_sub_u32_e32 v16, 0x79, v26
	v_cmp_eq_u32_e32 vcc, 0, v26
	v_cndmask_b32_e64 v16, 0, v16, s[18:19]
	v_cndmask_b32_e32 v29, v16, v59, vcc
	v_or_b32_e32 v34, 0x800000, v17
	v_add_u32_e32 v16, 20, v29
	v_cndmask_b32_e32 v34, v34, v17, vcc
	v_lshlrev_b64 v[16:17], v16, -1
	v_add_u32_e32 v48, 19, v29
	v_lshlrev_b64 v[48:49], v48, 1
	v_bfi_b32 v17, v17, 0, 0
	v_bfi_b32 v16, v16, 0, v34
	v_cmp_eq_u64_e64 s[18:19], v[16:17], v[48:49]
	v_lshrrev_b64 v[16:17], v29, v[34:35]
	v_mov_b32_e32 v49, v17
	v_mov_b32_e32 v48, v16
	s_and_saveexec_b64 s[92:93], s[18:19]
; %bb.6768:                             ;   in Loop: Header=BB4_6139 Depth=2
	v_bfe_u32 v17, v16, 20, 1
	v_add_co_u32_e64 v17, s[18:19], v16, v17
	v_add_co_u32_e64 v48, s[18:19], -1, v17
; %bb.6769:                             ;   in Loop: Header=BB4_6139 Depth=2
	s_or_b64 exec, exec, s[92:93]
	v_add_u32_e32 v17, 0xffffff81, v26
	v_cndmask_b32_e32 v17, v17, v60, vcc
	v_lshrrev_b32_e32 v26, 23, v16
	v_add3_u32 v49, v29, v17, v26
	v_add_u32_e32 v26, 6, v49
	v_and_b32_e32 v17, 0xfffff, v48
	v_add_u32_e32 v34, v17, v16
	v_cmp_ne_u32_e32 vcc, 0, v26
                                        ; implicit-def: $vgpr16_vgpr17
                                        ; implicit-def: $vgpr29
	s_and_saveexec_b64 s[18:19], vcc
	s_xor_b64 s[18:19], exec, s[18:19]
; %bb.6770:                             ;   in Loop: Header=BB4_6139 Depth=2
	v_cmp_lt_u64_e32 vcc, s[58:59], v[34:35]
	v_add_u32_e32 v16, 7, v49
	v_cndmask_b32_e32 v29, v26, v16, vcc
	v_cndmask_b32_e64 v16, 0, 1, vcc
	v_lshrrev_b64 v[16:17], v16, v[34:35]
; %bb.6771:                             ;   in Loop: Header=BB4_6139 Depth=2
	s_andn2_saveexec_b64 s[18:19], s[18:19]
; %bb.6772:                             ;   in Loop: Header=BB4_6139 Depth=2
	v_mov_b32_e32 v16, v34
	v_bfe_u32 v29, v34, 23, 1
	v_mov_b32_e32 v17, v35
; %bb.6773:                             ;   in Loop: Header=BB4_6139 Depth=2
	s_or_b64 exec, exec, s[18:19]
	v_lshrrev_b64 v[16:17], 20, v[16:17]
	v_cmp_gt_i32_e32 vcc, 16, v29
	v_cndmask_b32_e32 v17, 0, v17, vcc
	v_cndmask_b32_e32 v16, 7, v16, vcc
	v_cmp_ne_u64_e32 vcc, 0, v[16:17]
	v_cmp_ne_u32_e64 s[18:19], 0, v29
	s_or_b64 s[18:19], s[18:19], vcc
                                        ; implicit-def: $vgpr26
	s_and_saveexec_b64 s[92:93], s[18:19]
	s_xor_b64 s[18:19], exec, s[92:93]
; %bb.6774:                             ;   in Loop: Header=BB4_6139 Depth=2
	v_min_i32_e32 v17, 15, v29
	v_lshl_or_b32 v17, v17, 3, v28
	v_and_or_b32 v26, v16, 7, v17
                                        ; implicit-def: $vgpr28
; %bb.6775:                             ;   in Loop: Header=BB4_6139 Depth=2
	s_andn2_saveexec_b64 s[18:19], s[18:19]
; %bb.6776:                             ;   in Loop: Header=BB4_6139 Depth=2
	v_mov_b32_e32 v26, v28
; %bb.6777:                             ;   in Loop: Header=BB4_6139 Depth=2
	s_or_b64 exec, exec, s[18:19]
.LBB4_6778:                             ;   in Loop: Header=BB4_6139 Depth=2
	s_or_b64 exec, exec, s[90:91]
                                        ; implicit-def: $vgpr28
.LBB4_6779:                             ;   in Loop: Header=BB4_6139 Depth=2
	s_andn2_saveexec_b64 s[18:19], s[88:89]
; %bb.6780:                             ;   in Loop: Header=BB4_6139 Depth=2
	v_or_b32_e32 v26, 0x7e, v28
; %bb.6781:                             ;   in Loop: Header=BB4_6139 Depth=2
	s_or_b64 exec, exec, s[18:19]
                                        ; implicit-def: $vgpr16
.LBB4_6782:                             ;   in Loop: Header=BB4_6139 Depth=2
	s_andn2_saveexec_b64 s[18:19], s[78:79]
; %bb.6783:                             ;   in Loop: Header=BB4_6139 Depth=2
	v_or_b32_sdwa v26, v16, s39 dst_sel:DWORD dst_unused:UNUSED_PAD src0_sel:BYTE_3 src1_sel:DWORD
; %bb.6784:                             ;   in Loop: Header=BB4_6139 Depth=2
	s_or_b64 exec, exec, s[18:19]
	v_and_b32_e32 v16, 0xff, v25
	v_cmp_ne_u16_e32 vcc, 0, v16
	v_mov_b32_e32 v17, 0
	v_mov_b32_e32 v28, 0
	s_and_saveexec_b64 s[18:19], vcc
	s_cbranch_execz .LBB4_6790
; %bb.6785:                             ;   in Loop: Header=BB4_6139 Depth=2
	v_cmp_ne_u16_e32 vcc, s50, v16
	v_bfrev_b32_e32 v28, 1
	s_and_saveexec_b64 s[78:79], vcc
	s_cbranch_execz .LBB4_6789
; %bb.6786:                             ;   in Loop: Header=BB4_6139 Depth=2
	v_and_b32_e32 v29, 0x7f, v25
	v_cmp_ne_u32_e32 vcc, s39, v29
	v_mov_b32_e32 v28, 0x7f800001
	s_and_saveexec_b64 s[88:89], vcc
	s_cbranch_execz .LBB4_6788
; %bb.6787:                             ;   in Loop: Header=BB4_6139 Depth=2
	v_and_b32_e32 v34, 7, v16
	v_ffbh_u32_e32 v28, v34
	v_min_u32_e32 v49, 32, v28
	v_subrev_u32_e32 v28, 28, v49
	v_lshrrev_b32_e32 v48, 3, v29
	v_cmp_gt_u32_e32 vcc, 8, v29
	v_lshlrev_b64 v[28:29], v28, v[16:17]
	v_sub_u32_e32 v16, 29, v49
	v_and_b32_e32 v28, 7, v28
	v_cndmask_b32_e32 v16, v48, v16, vcc
	v_cndmask_b32_e32 v28, v34, v28, vcc
	v_lshlrev_b32_e32 v25, 24, v25
	v_lshlrev_b32_e32 v28, 20, v28
	v_and_b32_e32 v25, 0x80000000, v25
	v_lshl_add_u32 v16, v16, 23, v58
	v_or3_b32 v28, v25, v16, v28
.LBB4_6788:                             ;   in Loop: Header=BB4_6139 Depth=2
	s_or_b64 exec, exec, s[88:89]
.LBB4_6789:                             ;   in Loop: Header=BB4_6139 Depth=2
	s_or_b64 exec, exec, s[78:79]
.LBB4_6790:                             ;   in Loop: Header=BB4_6139 Depth=2
	s_or_b64 exec, exec, s[18:19]
	v_and_b32_e32 v16, 0xff, v54
	v_cmp_ne_u16_e32 vcc, 0, v16
	s_and_saveexec_b64 s[18:19], vcc
	s_cbranch_execz .LBB4_6796
; %bb.6791:                             ;   in Loop: Header=BB4_6139 Depth=2
	v_cmp_ne_u16_e32 vcc, s50, v16
	v_bfrev_b32_e32 v17, 1
	s_and_saveexec_b64 s[78:79], vcc
	s_cbranch_execz .LBB4_6795
; %bb.6792:                             ;   in Loop: Header=BB4_6139 Depth=2
	v_and_b32_e32 v25, 0x7f, v54
	v_cmp_ne_u32_e32 vcc, s39, v25
	v_mov_b32_e32 v17, 0x7f800001
	s_and_saveexec_b64 s[88:89], vcc
	s_cbranch_execz .LBB4_6794
; %bb.6793:                             ;   in Loop: Header=BB4_6139 Depth=2
	v_and_b32_e32 v29, 7, v16
	v_ffbh_u32_e32 v17, v29
	v_lshrrev_b32_e32 v34, 3, v25
	v_cmp_gt_u32_e32 vcc, 8, v25
	v_min_u32_e32 v25, 32, v17
	v_subrev_u32_e32 v17, 28, v25
	v_lshlrev_b64 v[16:17], v17, v[16:17]
	v_sub_u32_e32 v17, 29, v25
	v_and_b32_e32 v16, 7, v16
	v_cndmask_b32_e32 v17, v34, v17, vcc
	v_cndmask_b32_e32 v16, v29, v16, vcc
	v_lshlrev_b32_e32 v25, 24, v54
	v_lshlrev_b32_e32 v16, 20, v16
	v_and_b32_e32 v25, 0x80000000, v25
	v_lshl_add_u32 v17, v17, 23, v58
	v_or3_b32 v17, v25, v17, v16
.LBB4_6794:                             ;   in Loop: Header=BB4_6139 Depth=2
	s_or_b64 exec, exec, s[88:89]
.LBB4_6795:                             ;   in Loop: Header=BB4_6139 Depth=2
	s_or_b64 exec, exec, s[78:79]
.LBB4_6796:                             ;   in Loop: Header=BB4_6139 Depth=2
	s_or_b64 exec, exec, s[18:19]
	v_add_f32_e32 v16, v28, v17
	v_and_b32_e32 v34, 0x7f800000, v16
	v_cmp_ne_u64_e32 vcc, s[46:47], v[34:35]
                                        ; implicit-def: $vgpr25
	s_and_saveexec_b64 s[18:19], vcc
	s_xor_b64 s[78:79], exec, s[18:19]
	s_cbranch_execz .LBB4_6814
; %bb.6797:                             ;   in Loop: Header=BB4_6139 Depth=2
	v_and_b32_e32 v34, 0x7fffffff, v16
	v_cmp_gt_u64_e32 vcc, s[56:57], v[34:35]
	v_and_b32_sdwa v28, v16, s50 dst_sel:DWORD dst_unused:UNUSED_PAD src0_sel:BYTE_3 src1_sel:DWORD
                                        ; implicit-def: $vgpr25
	s_and_saveexec_b64 s[18:19], vcc
	s_xor_b64 s[88:89], exec, s[18:19]
	s_cbranch_execz .LBB4_6811
; %bb.6798:                             ;   in Loop: Header=BB4_6139 Depth=2
	v_cmp_ne_u32_e32 vcc, 0, v16
	v_mov_b32_e32 v25, 0
	s_and_saveexec_b64 s[90:91], vcc
	s_cbranch_execz .LBB4_6810
; %bb.6799:                             ;   in Loop: Header=BB4_6139 Depth=2
	v_bfe_u32 v25, v16, 23, 8
	v_and_b32_e32 v17, 0x7fffff, v16
	v_cmp_gt_u32_e64 s[18:19], s51, v25
	v_sub_u32_e32 v16, 0x79, v25
	v_cmp_eq_u32_e32 vcc, 0, v25
	v_cndmask_b32_e64 v16, 0, v16, s[18:19]
	v_cndmask_b32_e32 v29, v16, v59, vcc
	v_or_b32_e32 v34, 0x800000, v17
	v_add_u32_e32 v16, 20, v29
	v_cndmask_b32_e32 v34, v34, v17, vcc
	v_lshlrev_b64 v[16:17], v16, -1
	v_add_u32_e32 v48, 19, v29
	v_lshlrev_b64 v[48:49], v48, 1
	v_bfi_b32 v17, v17, 0, 0
	v_bfi_b32 v16, v16, 0, v34
	v_cmp_eq_u64_e64 s[18:19], v[16:17], v[48:49]
	v_lshrrev_b64 v[16:17], v29, v[34:35]
	v_mov_b32_e32 v49, v17
	v_mov_b32_e32 v48, v16
	s_and_saveexec_b64 s[92:93], s[18:19]
; %bb.6800:                             ;   in Loop: Header=BB4_6139 Depth=2
	v_bfe_u32 v17, v16, 20, 1
	v_add_co_u32_e64 v17, s[18:19], v16, v17
	v_add_co_u32_e64 v48, s[18:19], -1, v17
; %bb.6801:                             ;   in Loop: Header=BB4_6139 Depth=2
	s_or_b64 exec, exec, s[92:93]
	v_add_u32_e32 v17, 0xffffff81, v25
	v_cndmask_b32_e32 v17, v17, v60, vcc
	v_lshrrev_b32_e32 v25, 23, v16
	v_add3_u32 v49, v29, v17, v25
	v_add_u32_e32 v25, 6, v49
	v_and_b32_e32 v17, 0xfffff, v48
	v_add_u32_e32 v34, v17, v16
	v_cmp_ne_u32_e32 vcc, 0, v25
                                        ; implicit-def: $vgpr16_vgpr17
                                        ; implicit-def: $vgpr29
	s_and_saveexec_b64 s[18:19], vcc
	s_xor_b64 s[18:19], exec, s[18:19]
; %bb.6802:                             ;   in Loop: Header=BB4_6139 Depth=2
	v_cmp_lt_u64_e32 vcc, s[58:59], v[34:35]
	v_add_u32_e32 v16, 7, v49
	v_cndmask_b32_e32 v29, v25, v16, vcc
	v_cndmask_b32_e64 v16, 0, 1, vcc
	v_lshrrev_b64 v[16:17], v16, v[34:35]
; %bb.6803:                             ;   in Loop: Header=BB4_6139 Depth=2
	s_andn2_saveexec_b64 s[18:19], s[18:19]
; %bb.6804:                             ;   in Loop: Header=BB4_6139 Depth=2
	v_mov_b32_e32 v16, v34
	v_bfe_u32 v29, v34, 23, 1
	v_mov_b32_e32 v17, v35
; %bb.6805:                             ;   in Loop: Header=BB4_6139 Depth=2
	s_or_b64 exec, exec, s[18:19]
	v_lshrrev_b64 v[16:17], 20, v[16:17]
	v_cmp_gt_i32_e32 vcc, 16, v29
	v_cndmask_b32_e32 v17, 0, v17, vcc
	v_cndmask_b32_e32 v16, 7, v16, vcc
	v_cmp_ne_u64_e32 vcc, 0, v[16:17]
	v_cmp_ne_u32_e64 s[18:19], 0, v29
	s_or_b64 s[18:19], s[18:19], vcc
                                        ; implicit-def: $vgpr25
	s_and_saveexec_b64 s[92:93], s[18:19]
	s_xor_b64 s[18:19], exec, s[92:93]
; %bb.6806:                             ;   in Loop: Header=BB4_6139 Depth=2
	v_min_i32_e32 v17, 15, v29
	v_lshl_or_b32 v17, v17, 3, v28
	v_and_or_b32 v25, v16, 7, v17
                                        ; implicit-def: $vgpr28
; %bb.6807:                             ;   in Loop: Header=BB4_6139 Depth=2
	s_andn2_saveexec_b64 s[18:19], s[18:19]
; %bb.6808:                             ;   in Loop: Header=BB4_6139 Depth=2
	v_mov_b32_e32 v25, v28
; %bb.6809:                             ;   in Loop: Header=BB4_6139 Depth=2
	s_or_b64 exec, exec, s[18:19]
.LBB4_6810:                             ;   in Loop: Header=BB4_6139 Depth=2
	s_or_b64 exec, exec, s[90:91]
                                        ; implicit-def: $vgpr28
.LBB4_6811:                             ;   in Loop: Header=BB4_6139 Depth=2
	s_andn2_saveexec_b64 s[18:19], s[88:89]
; %bb.6812:                             ;   in Loop: Header=BB4_6139 Depth=2
	v_or_b32_e32 v25, 0x7e, v28
; %bb.6813:                             ;   in Loop: Header=BB4_6139 Depth=2
	s_or_b64 exec, exec, s[18:19]
                                        ; implicit-def: $vgpr16
.LBB4_6814:                             ;   in Loop: Header=BB4_6139 Depth=2
	s_andn2_saveexec_b64 s[18:19], s[78:79]
; %bb.6815:                             ;   in Loop: Header=BB4_6139 Depth=2
	v_or_b32_sdwa v25, v16, s39 dst_sel:DWORD dst_unused:UNUSED_PAD src0_sel:BYTE_3 src1_sel:DWORD
; %bb.6816:                             ;   in Loop: Header=BB4_6139 Depth=2
	s_or_b64 exec, exec, s[18:19]
	v_and_b32_e32 v16, 0xff, v24
	v_cmp_ne_u16_e32 vcc, 0, v16
	v_mov_b32_e32 v17, 0
	v_mov_b32_e32 v28, 0
	s_and_saveexec_b64 s[18:19], vcc
	s_cbranch_execz .LBB4_6822
; %bb.6817:                             ;   in Loop: Header=BB4_6139 Depth=2
	v_cmp_ne_u16_e32 vcc, s50, v16
	v_bfrev_b32_e32 v28, 1
	s_and_saveexec_b64 s[78:79], vcc
	s_cbranch_execz .LBB4_6821
; %bb.6818:                             ;   in Loop: Header=BB4_6139 Depth=2
	v_and_b32_e32 v29, 0x7f, v24
	v_cmp_ne_u32_e32 vcc, s39, v29
	v_mov_b32_e32 v28, 0x7f800001
	s_and_saveexec_b64 s[88:89], vcc
	s_cbranch_execz .LBB4_6820
; %bb.6819:                             ;   in Loop: Header=BB4_6139 Depth=2
	v_and_b32_e32 v34, 7, v16
	v_ffbh_u32_e32 v28, v34
	v_min_u32_e32 v49, 32, v28
	v_subrev_u32_e32 v28, 28, v49
	v_lshrrev_b32_e32 v48, 3, v29
	v_cmp_gt_u32_e32 vcc, 8, v29
	v_lshlrev_b64 v[28:29], v28, v[16:17]
	v_sub_u32_e32 v16, 29, v49
	v_and_b32_e32 v28, 7, v28
	v_cndmask_b32_e32 v16, v48, v16, vcc
	v_cndmask_b32_e32 v28, v34, v28, vcc
	v_lshlrev_b32_e32 v24, 24, v24
	v_lshlrev_b32_e32 v28, 20, v28
	v_and_b32_e32 v24, 0x80000000, v24
	v_lshl_add_u32 v16, v16, 23, v58
	v_or3_b32 v28, v24, v16, v28
.LBB4_6820:                             ;   in Loop: Header=BB4_6139 Depth=2
	s_or_b64 exec, exec, s[88:89]
.LBB4_6821:                             ;   in Loop: Header=BB4_6139 Depth=2
	s_or_b64 exec, exec, s[78:79]
.LBB4_6822:                             ;   in Loop: Header=BB4_6139 Depth=2
	s_or_b64 exec, exec, s[18:19]
	v_and_b32_e32 v16, 0xff, v53
	v_cmp_ne_u16_e32 vcc, 0, v16
	s_and_saveexec_b64 s[18:19], vcc
	s_cbranch_execz .LBB4_6828
; %bb.6823:                             ;   in Loop: Header=BB4_6139 Depth=2
	v_cmp_ne_u16_e32 vcc, s50, v16
	v_bfrev_b32_e32 v17, 1
	s_and_saveexec_b64 s[78:79], vcc
	s_cbranch_execz .LBB4_6827
; %bb.6824:                             ;   in Loop: Header=BB4_6139 Depth=2
	v_and_b32_e32 v24, 0x7f, v53
	v_cmp_ne_u32_e32 vcc, s39, v24
	v_mov_b32_e32 v17, 0x7f800001
	s_and_saveexec_b64 s[88:89], vcc
	s_cbranch_execz .LBB4_6826
; %bb.6825:                             ;   in Loop: Header=BB4_6139 Depth=2
	v_and_b32_e32 v29, 7, v16
	v_ffbh_u32_e32 v17, v29
	v_lshrrev_b32_e32 v34, 3, v24
	v_cmp_gt_u32_e32 vcc, 8, v24
	v_min_u32_e32 v24, 32, v17
	v_subrev_u32_e32 v17, 28, v24
	v_lshlrev_b64 v[16:17], v17, v[16:17]
	v_sub_u32_e32 v17, 29, v24
	v_and_b32_e32 v16, 7, v16
	v_cndmask_b32_e32 v17, v34, v17, vcc
	v_cndmask_b32_e32 v16, v29, v16, vcc
	v_lshlrev_b32_e32 v24, 24, v53
	v_lshlrev_b32_e32 v16, 20, v16
	v_and_b32_e32 v24, 0x80000000, v24
	v_lshl_add_u32 v17, v17, 23, v58
	v_or3_b32 v17, v24, v17, v16
.LBB4_6826:                             ;   in Loop: Header=BB4_6139 Depth=2
	s_or_b64 exec, exec, s[88:89]
.LBB4_6827:                             ;   in Loop: Header=BB4_6139 Depth=2
	s_or_b64 exec, exec, s[78:79]
.LBB4_6828:                             ;   in Loop: Header=BB4_6139 Depth=2
	s_or_b64 exec, exec, s[18:19]
	v_add_f32_e32 v16, v28, v17
	v_and_b32_e32 v34, 0x7f800000, v16
	v_cmp_ne_u64_e32 vcc, s[46:47], v[34:35]
                                        ; implicit-def: $vgpr24
	s_and_saveexec_b64 s[18:19], vcc
	s_xor_b64 s[78:79], exec, s[18:19]
	s_cbranch_execz .LBB4_6846
; %bb.6829:                             ;   in Loop: Header=BB4_6139 Depth=2
	v_and_b32_e32 v34, 0x7fffffff, v16
	v_cmp_gt_u64_e32 vcc, s[56:57], v[34:35]
	v_and_b32_sdwa v28, v16, s50 dst_sel:DWORD dst_unused:UNUSED_PAD src0_sel:BYTE_3 src1_sel:DWORD
                                        ; implicit-def: $vgpr24
	s_and_saveexec_b64 s[18:19], vcc
	s_xor_b64 s[88:89], exec, s[18:19]
	s_cbranch_execz .LBB4_6843
; %bb.6830:                             ;   in Loop: Header=BB4_6139 Depth=2
	v_cmp_ne_u32_e32 vcc, 0, v16
	v_mov_b32_e32 v24, 0
	s_and_saveexec_b64 s[90:91], vcc
	s_cbranch_execz .LBB4_6842
; %bb.6831:                             ;   in Loop: Header=BB4_6139 Depth=2
	v_bfe_u32 v24, v16, 23, 8
	v_and_b32_e32 v17, 0x7fffff, v16
	v_cmp_gt_u32_e64 s[18:19], s51, v24
	v_sub_u32_e32 v16, 0x79, v24
	v_cmp_eq_u32_e32 vcc, 0, v24
	v_cndmask_b32_e64 v16, 0, v16, s[18:19]
	v_cndmask_b32_e32 v29, v16, v59, vcc
	v_or_b32_e32 v34, 0x800000, v17
	v_add_u32_e32 v16, 20, v29
	v_cndmask_b32_e32 v34, v34, v17, vcc
	v_lshlrev_b64 v[16:17], v16, -1
	v_add_u32_e32 v48, 19, v29
	v_lshlrev_b64 v[48:49], v48, 1
	v_bfi_b32 v17, v17, 0, 0
	v_bfi_b32 v16, v16, 0, v34
	v_cmp_eq_u64_e64 s[18:19], v[16:17], v[48:49]
	v_lshrrev_b64 v[16:17], v29, v[34:35]
	v_mov_b32_e32 v49, v17
	v_mov_b32_e32 v48, v16
	s_and_saveexec_b64 s[92:93], s[18:19]
; %bb.6832:                             ;   in Loop: Header=BB4_6139 Depth=2
	v_bfe_u32 v17, v16, 20, 1
	v_add_co_u32_e64 v17, s[18:19], v16, v17
	v_add_co_u32_e64 v48, s[18:19], -1, v17
; %bb.6833:                             ;   in Loop: Header=BB4_6139 Depth=2
	s_or_b64 exec, exec, s[92:93]
	v_add_u32_e32 v17, 0xffffff81, v24
	v_cndmask_b32_e32 v17, v17, v60, vcc
	v_lshrrev_b32_e32 v24, 23, v16
	v_add3_u32 v49, v29, v17, v24
	v_add_u32_e32 v24, 6, v49
	v_and_b32_e32 v17, 0xfffff, v48
	v_add_u32_e32 v34, v17, v16
	v_cmp_ne_u32_e32 vcc, 0, v24
                                        ; implicit-def: $vgpr16_vgpr17
                                        ; implicit-def: $vgpr29
	s_and_saveexec_b64 s[18:19], vcc
	s_xor_b64 s[18:19], exec, s[18:19]
; %bb.6834:                             ;   in Loop: Header=BB4_6139 Depth=2
	v_cmp_lt_u64_e32 vcc, s[58:59], v[34:35]
	v_add_u32_e32 v16, 7, v49
	v_cndmask_b32_e32 v29, v24, v16, vcc
	v_cndmask_b32_e64 v16, 0, 1, vcc
	v_lshrrev_b64 v[16:17], v16, v[34:35]
; %bb.6835:                             ;   in Loop: Header=BB4_6139 Depth=2
	s_andn2_saveexec_b64 s[18:19], s[18:19]
; %bb.6836:                             ;   in Loop: Header=BB4_6139 Depth=2
	v_mov_b32_e32 v16, v34
	v_bfe_u32 v29, v34, 23, 1
	v_mov_b32_e32 v17, v35
; %bb.6837:                             ;   in Loop: Header=BB4_6139 Depth=2
	s_or_b64 exec, exec, s[18:19]
	v_lshrrev_b64 v[16:17], 20, v[16:17]
	v_cmp_gt_i32_e32 vcc, 16, v29
	v_cndmask_b32_e32 v17, 0, v17, vcc
	v_cndmask_b32_e32 v16, 7, v16, vcc
	v_cmp_ne_u64_e32 vcc, 0, v[16:17]
	v_cmp_ne_u32_e64 s[18:19], 0, v29
	s_or_b64 s[18:19], s[18:19], vcc
                                        ; implicit-def: $vgpr24
	s_and_saveexec_b64 s[92:93], s[18:19]
	s_xor_b64 s[18:19], exec, s[92:93]
; %bb.6838:                             ;   in Loop: Header=BB4_6139 Depth=2
	v_min_i32_e32 v17, 15, v29
	v_lshl_or_b32 v17, v17, 3, v28
	v_and_or_b32 v24, v16, 7, v17
                                        ; implicit-def: $vgpr28
; %bb.6839:                             ;   in Loop: Header=BB4_6139 Depth=2
	s_andn2_saveexec_b64 s[18:19], s[18:19]
; %bb.6840:                             ;   in Loop: Header=BB4_6139 Depth=2
	v_mov_b32_e32 v24, v28
; %bb.6841:                             ;   in Loop: Header=BB4_6139 Depth=2
	s_or_b64 exec, exec, s[18:19]
.LBB4_6842:                             ;   in Loop: Header=BB4_6139 Depth=2
	s_or_b64 exec, exec, s[90:91]
                                        ; implicit-def: $vgpr28
.LBB4_6843:                             ;   in Loop: Header=BB4_6139 Depth=2
	s_andn2_saveexec_b64 s[18:19], s[88:89]
; %bb.6844:                             ;   in Loop: Header=BB4_6139 Depth=2
	v_or_b32_e32 v24, 0x7e, v28
; %bb.6845:                             ;   in Loop: Header=BB4_6139 Depth=2
	s_or_b64 exec, exec, s[18:19]
                                        ; implicit-def: $vgpr16
.LBB4_6846:                             ;   in Loop: Header=BB4_6139 Depth=2
	s_andn2_saveexec_b64 s[18:19], s[78:79]
; %bb.6847:                             ;   in Loop: Header=BB4_6139 Depth=2
	v_or_b32_sdwa v24, v16, s39 dst_sel:DWORD dst_unused:UNUSED_PAD src0_sel:BYTE_3 src1_sel:DWORD
; %bb.6848:                             ;   in Loop: Header=BB4_6139 Depth=2
	s_or_b64 exec, exec, s[18:19]
	v_and_b32_e32 v16, 0xff, v21
	v_cmp_ne_u16_e32 vcc, 0, v16
	v_mov_b32_e32 v17, 0
	v_mov_b32_e32 v28, 0
	s_and_saveexec_b64 s[18:19], vcc
	s_cbranch_execz .LBB4_6854
; %bb.6849:                             ;   in Loop: Header=BB4_6139 Depth=2
	v_cmp_ne_u16_e32 vcc, s50, v16
	v_bfrev_b32_e32 v28, 1
	s_and_saveexec_b64 s[78:79], vcc
	s_cbranch_execz .LBB4_6853
; %bb.6850:                             ;   in Loop: Header=BB4_6139 Depth=2
	v_and_b32_e32 v29, 0x7f, v21
	v_cmp_ne_u32_e32 vcc, s39, v29
	v_mov_b32_e32 v28, 0x7f800001
	s_and_saveexec_b64 s[88:89], vcc
	s_cbranch_execz .LBB4_6852
; %bb.6851:                             ;   in Loop: Header=BB4_6139 Depth=2
	v_and_b32_e32 v34, 7, v16
	v_ffbh_u32_e32 v28, v34
	v_min_u32_e32 v49, 32, v28
	v_subrev_u32_e32 v28, 28, v49
	v_lshrrev_b32_e32 v48, 3, v29
	v_cmp_gt_u32_e32 vcc, 8, v29
	v_lshlrev_b64 v[28:29], v28, v[16:17]
	v_sub_u32_e32 v16, 29, v49
	v_and_b32_e32 v28, 7, v28
	v_cndmask_b32_e32 v16, v48, v16, vcc
	v_cndmask_b32_e32 v28, v34, v28, vcc
	v_lshlrev_b32_e32 v21, 24, v21
	v_lshlrev_b32_e32 v28, 20, v28
	v_and_b32_e32 v21, 0x80000000, v21
	v_lshl_add_u32 v16, v16, 23, v58
	v_or3_b32 v28, v21, v16, v28
.LBB4_6852:                             ;   in Loop: Header=BB4_6139 Depth=2
	s_or_b64 exec, exec, s[88:89]
.LBB4_6853:                             ;   in Loop: Header=BB4_6139 Depth=2
	s_or_b64 exec, exec, s[78:79]
.LBB4_6854:                             ;   in Loop: Header=BB4_6139 Depth=2
	s_or_b64 exec, exec, s[18:19]
	v_and_b32_e32 v16, 0xff, v52
	v_cmp_ne_u16_e32 vcc, 0, v16
	s_and_saveexec_b64 s[18:19], vcc
	s_cbranch_execz .LBB4_6860
; %bb.6855:                             ;   in Loop: Header=BB4_6139 Depth=2
	v_cmp_ne_u16_e32 vcc, s50, v16
	v_bfrev_b32_e32 v17, 1
	s_and_saveexec_b64 s[78:79], vcc
	s_cbranch_execz .LBB4_6859
; %bb.6856:                             ;   in Loop: Header=BB4_6139 Depth=2
	v_and_b32_e32 v21, 0x7f, v52
	v_cmp_ne_u32_e32 vcc, s39, v21
	v_mov_b32_e32 v17, 0x7f800001
	s_and_saveexec_b64 s[88:89], vcc
	s_cbranch_execz .LBB4_6858
; %bb.6857:                             ;   in Loop: Header=BB4_6139 Depth=2
	v_and_b32_e32 v29, 7, v16
	v_ffbh_u32_e32 v17, v29
	v_lshrrev_b32_e32 v34, 3, v21
	v_cmp_gt_u32_e32 vcc, 8, v21
	v_min_u32_e32 v21, 32, v17
	v_subrev_u32_e32 v17, 28, v21
	v_lshlrev_b64 v[16:17], v17, v[16:17]
	v_sub_u32_e32 v17, 29, v21
	v_and_b32_e32 v16, 7, v16
	v_cndmask_b32_e32 v17, v34, v17, vcc
	v_cndmask_b32_e32 v16, v29, v16, vcc
	v_lshlrev_b32_e32 v21, 24, v52
	v_lshlrev_b32_e32 v16, 20, v16
	v_and_b32_e32 v21, 0x80000000, v21
	v_lshl_add_u32 v17, v17, 23, v58
	v_or3_b32 v17, v21, v17, v16
.LBB4_6858:                             ;   in Loop: Header=BB4_6139 Depth=2
	s_or_b64 exec, exec, s[88:89]
.LBB4_6859:                             ;   in Loop: Header=BB4_6139 Depth=2
	s_or_b64 exec, exec, s[78:79]
.LBB4_6860:                             ;   in Loop: Header=BB4_6139 Depth=2
	s_or_b64 exec, exec, s[18:19]
	v_add_f32_e32 v16, v28, v17
	v_and_b32_e32 v34, 0x7f800000, v16
	v_cmp_ne_u64_e32 vcc, s[46:47], v[34:35]
                                        ; implicit-def: $vgpr21
	s_and_saveexec_b64 s[18:19], vcc
	s_xor_b64 s[78:79], exec, s[18:19]
	s_cbranch_execz .LBB4_6878
; %bb.6861:                             ;   in Loop: Header=BB4_6139 Depth=2
	v_and_b32_e32 v34, 0x7fffffff, v16
	v_cmp_gt_u64_e32 vcc, s[56:57], v[34:35]
	v_and_b32_sdwa v28, v16, s50 dst_sel:DWORD dst_unused:UNUSED_PAD src0_sel:BYTE_3 src1_sel:DWORD
                                        ; implicit-def: $vgpr21
	s_and_saveexec_b64 s[18:19], vcc
	s_xor_b64 s[88:89], exec, s[18:19]
	s_cbranch_execz .LBB4_6875
; %bb.6862:                             ;   in Loop: Header=BB4_6139 Depth=2
	v_cmp_ne_u32_e32 vcc, 0, v16
	v_mov_b32_e32 v21, 0
	s_and_saveexec_b64 s[90:91], vcc
	s_cbranch_execz .LBB4_6874
; %bb.6863:                             ;   in Loop: Header=BB4_6139 Depth=2
	v_bfe_u32 v21, v16, 23, 8
	v_and_b32_e32 v17, 0x7fffff, v16
	v_cmp_gt_u32_e64 s[18:19], s51, v21
	v_sub_u32_e32 v16, 0x79, v21
	v_cmp_eq_u32_e32 vcc, 0, v21
	v_cndmask_b32_e64 v16, 0, v16, s[18:19]
	v_cndmask_b32_e32 v29, v16, v59, vcc
	v_or_b32_e32 v34, 0x800000, v17
	v_add_u32_e32 v16, 20, v29
	v_cndmask_b32_e32 v34, v34, v17, vcc
	v_lshlrev_b64 v[16:17], v16, -1
	v_add_u32_e32 v48, 19, v29
	v_lshlrev_b64 v[48:49], v48, 1
	v_bfi_b32 v17, v17, 0, 0
	v_bfi_b32 v16, v16, 0, v34
	v_cmp_eq_u64_e64 s[18:19], v[16:17], v[48:49]
	v_lshrrev_b64 v[16:17], v29, v[34:35]
	v_mov_b32_e32 v49, v17
	v_mov_b32_e32 v48, v16
	s_and_saveexec_b64 s[92:93], s[18:19]
; %bb.6864:                             ;   in Loop: Header=BB4_6139 Depth=2
	v_bfe_u32 v17, v16, 20, 1
	v_add_co_u32_e64 v17, s[18:19], v16, v17
	v_add_co_u32_e64 v48, s[18:19], -1, v17
; %bb.6865:                             ;   in Loop: Header=BB4_6139 Depth=2
	s_or_b64 exec, exec, s[92:93]
	v_add_u32_e32 v17, 0xffffff81, v21
	v_cndmask_b32_e32 v17, v17, v60, vcc
	v_lshrrev_b32_e32 v21, 23, v16
	v_add3_u32 v49, v29, v17, v21
	v_add_u32_e32 v21, 6, v49
	v_and_b32_e32 v17, 0xfffff, v48
	v_add_u32_e32 v34, v17, v16
	v_cmp_ne_u32_e32 vcc, 0, v21
                                        ; implicit-def: $vgpr16_vgpr17
                                        ; implicit-def: $vgpr29
	s_and_saveexec_b64 s[18:19], vcc
	s_xor_b64 s[18:19], exec, s[18:19]
; %bb.6866:                             ;   in Loop: Header=BB4_6139 Depth=2
	v_cmp_lt_u64_e32 vcc, s[58:59], v[34:35]
	v_add_u32_e32 v16, 7, v49
	v_cndmask_b32_e32 v29, v21, v16, vcc
	v_cndmask_b32_e64 v16, 0, 1, vcc
	v_lshrrev_b64 v[16:17], v16, v[34:35]
; %bb.6867:                             ;   in Loop: Header=BB4_6139 Depth=2
	s_andn2_saveexec_b64 s[18:19], s[18:19]
; %bb.6868:                             ;   in Loop: Header=BB4_6139 Depth=2
	v_mov_b32_e32 v16, v34
	v_bfe_u32 v29, v34, 23, 1
	v_mov_b32_e32 v17, v35
; %bb.6869:                             ;   in Loop: Header=BB4_6139 Depth=2
	s_or_b64 exec, exec, s[18:19]
	v_lshrrev_b64 v[16:17], 20, v[16:17]
	v_cmp_gt_i32_e32 vcc, 16, v29
	v_cndmask_b32_e32 v17, 0, v17, vcc
	v_cndmask_b32_e32 v16, 7, v16, vcc
	v_cmp_ne_u64_e32 vcc, 0, v[16:17]
	v_cmp_ne_u32_e64 s[18:19], 0, v29
	s_or_b64 s[18:19], s[18:19], vcc
                                        ; implicit-def: $vgpr21
	s_and_saveexec_b64 s[92:93], s[18:19]
	s_xor_b64 s[18:19], exec, s[92:93]
; %bb.6870:                             ;   in Loop: Header=BB4_6139 Depth=2
	v_min_i32_e32 v17, 15, v29
	v_lshl_or_b32 v17, v17, 3, v28
	v_and_or_b32 v21, v16, 7, v17
                                        ; implicit-def: $vgpr28
; %bb.6871:                             ;   in Loop: Header=BB4_6139 Depth=2
	s_andn2_saveexec_b64 s[18:19], s[18:19]
; %bb.6872:                             ;   in Loop: Header=BB4_6139 Depth=2
	v_mov_b32_e32 v21, v28
; %bb.6873:                             ;   in Loop: Header=BB4_6139 Depth=2
	s_or_b64 exec, exec, s[18:19]
.LBB4_6874:                             ;   in Loop: Header=BB4_6139 Depth=2
	s_or_b64 exec, exec, s[90:91]
                                        ; implicit-def: $vgpr28
.LBB4_6875:                             ;   in Loop: Header=BB4_6139 Depth=2
	s_andn2_saveexec_b64 s[18:19], s[88:89]
; %bb.6876:                             ;   in Loop: Header=BB4_6139 Depth=2
	v_or_b32_e32 v21, 0x7e, v28
; %bb.6877:                             ;   in Loop: Header=BB4_6139 Depth=2
	s_or_b64 exec, exec, s[18:19]
                                        ; implicit-def: $vgpr16
.LBB4_6878:                             ;   in Loop: Header=BB4_6139 Depth=2
	s_andn2_saveexec_b64 s[18:19], s[78:79]
; %bb.6879:                             ;   in Loop: Header=BB4_6139 Depth=2
	v_or_b32_sdwa v21, v16, s39 dst_sel:DWORD dst_unused:UNUSED_PAD src0_sel:BYTE_3 src1_sel:DWORD
; %bb.6880:                             ;   in Loop: Header=BB4_6139 Depth=2
	s_or_b64 exec, exec, s[18:19]
	v_and_b32_e32 v16, 0xff, v20
	v_cmp_ne_u16_e32 vcc, 0, v16
	v_mov_b32_e32 v17, 0
	v_mov_b32_e32 v28, 0
	s_and_saveexec_b64 s[18:19], vcc
	s_cbranch_execz .LBB4_6886
; %bb.6881:                             ;   in Loop: Header=BB4_6139 Depth=2
	v_cmp_ne_u16_e32 vcc, s50, v16
	v_bfrev_b32_e32 v28, 1
	s_and_saveexec_b64 s[78:79], vcc
	s_cbranch_execz .LBB4_6885
; %bb.6882:                             ;   in Loop: Header=BB4_6139 Depth=2
	v_and_b32_e32 v29, 0x7f, v20
	v_cmp_ne_u32_e32 vcc, s39, v29
	v_mov_b32_e32 v28, 0x7f800001
	s_and_saveexec_b64 s[88:89], vcc
	s_cbranch_execz .LBB4_6884
; %bb.6883:                             ;   in Loop: Header=BB4_6139 Depth=2
	v_and_b32_e32 v34, 7, v16
	v_ffbh_u32_e32 v28, v34
	v_min_u32_e32 v49, 32, v28
	v_subrev_u32_e32 v28, 28, v49
	v_lshrrev_b32_e32 v48, 3, v29
	v_cmp_gt_u32_e32 vcc, 8, v29
	v_lshlrev_b64 v[28:29], v28, v[16:17]
	v_sub_u32_e32 v16, 29, v49
	v_and_b32_e32 v28, 7, v28
	v_cndmask_b32_e32 v16, v48, v16, vcc
	v_cndmask_b32_e32 v28, v34, v28, vcc
	v_lshlrev_b32_e32 v20, 24, v20
	v_lshlrev_b32_e32 v28, 20, v28
	v_and_b32_e32 v20, 0x80000000, v20
	v_lshl_add_u32 v16, v16, 23, v58
	v_or3_b32 v28, v20, v16, v28
.LBB4_6884:                             ;   in Loop: Header=BB4_6139 Depth=2
	s_or_b64 exec, exec, s[88:89]
.LBB4_6885:                             ;   in Loop: Header=BB4_6139 Depth=2
	s_or_b64 exec, exec, s[78:79]
.LBB4_6886:                             ;   in Loop: Header=BB4_6139 Depth=2
	s_or_b64 exec, exec, s[18:19]
	v_and_b32_e32 v16, 0xff, v51
	v_cmp_ne_u16_e32 vcc, 0, v16
	s_and_saveexec_b64 s[18:19], vcc
	s_cbranch_execz .LBB4_6892
; %bb.6887:                             ;   in Loop: Header=BB4_6139 Depth=2
	v_cmp_ne_u16_e32 vcc, s50, v16
	v_bfrev_b32_e32 v17, 1
	s_and_saveexec_b64 s[78:79], vcc
	s_cbranch_execz .LBB4_6891
; %bb.6888:                             ;   in Loop: Header=BB4_6139 Depth=2
	v_and_b32_e32 v20, 0x7f, v51
	v_cmp_ne_u32_e32 vcc, s39, v20
	v_mov_b32_e32 v17, 0x7f800001
	s_and_saveexec_b64 s[88:89], vcc
	s_cbranch_execz .LBB4_6890
; %bb.6889:                             ;   in Loop: Header=BB4_6139 Depth=2
	v_and_b32_e32 v29, 7, v16
	v_ffbh_u32_e32 v17, v29
	v_lshrrev_b32_e32 v34, 3, v20
	v_cmp_gt_u32_e32 vcc, 8, v20
	v_min_u32_e32 v20, 32, v17
	v_subrev_u32_e32 v17, 28, v20
	v_lshlrev_b64 v[16:17], v17, v[16:17]
	v_sub_u32_e32 v17, 29, v20
	v_and_b32_e32 v16, 7, v16
	v_cndmask_b32_e32 v17, v34, v17, vcc
	v_cndmask_b32_e32 v16, v29, v16, vcc
	v_lshlrev_b32_e32 v20, 24, v51
	v_lshlrev_b32_e32 v16, 20, v16
	v_and_b32_e32 v20, 0x80000000, v20
	v_lshl_add_u32 v17, v17, 23, v58
	v_or3_b32 v17, v20, v17, v16
.LBB4_6890:                             ;   in Loop: Header=BB4_6139 Depth=2
	s_or_b64 exec, exec, s[88:89]
.LBB4_6891:                             ;   in Loop: Header=BB4_6139 Depth=2
	s_or_b64 exec, exec, s[78:79]
.LBB4_6892:                             ;   in Loop: Header=BB4_6139 Depth=2
	s_or_b64 exec, exec, s[18:19]
	v_add_f32_e32 v16, v28, v17
	v_and_b32_e32 v34, 0x7f800000, v16
	v_cmp_ne_u64_e32 vcc, s[46:47], v[34:35]
                                        ; implicit-def: $vgpr20
	s_and_saveexec_b64 s[18:19], vcc
	s_xor_b64 s[78:79], exec, s[18:19]
	s_cbranch_execz .LBB4_6910
; %bb.6893:                             ;   in Loop: Header=BB4_6139 Depth=2
	v_and_b32_e32 v34, 0x7fffffff, v16
	v_cmp_gt_u64_e32 vcc, s[56:57], v[34:35]
	v_and_b32_sdwa v28, v16, s50 dst_sel:DWORD dst_unused:UNUSED_PAD src0_sel:BYTE_3 src1_sel:DWORD
                                        ; implicit-def: $vgpr20
	s_and_saveexec_b64 s[18:19], vcc
	s_xor_b64 s[88:89], exec, s[18:19]
	s_cbranch_execz .LBB4_6907
; %bb.6894:                             ;   in Loop: Header=BB4_6139 Depth=2
	v_cmp_ne_u32_e32 vcc, 0, v16
	v_mov_b32_e32 v20, 0
	s_and_saveexec_b64 s[90:91], vcc
	s_cbranch_execz .LBB4_6906
; %bb.6895:                             ;   in Loop: Header=BB4_6139 Depth=2
	v_bfe_u32 v20, v16, 23, 8
	v_and_b32_e32 v17, 0x7fffff, v16
	v_cmp_gt_u32_e64 s[18:19], s51, v20
	v_sub_u32_e32 v16, 0x79, v20
	v_cmp_eq_u32_e32 vcc, 0, v20
	v_cndmask_b32_e64 v16, 0, v16, s[18:19]
	v_cndmask_b32_e32 v29, v16, v59, vcc
	v_or_b32_e32 v34, 0x800000, v17
	v_add_u32_e32 v16, 20, v29
	v_cndmask_b32_e32 v34, v34, v17, vcc
	v_lshlrev_b64 v[16:17], v16, -1
	v_add_u32_e32 v48, 19, v29
	v_lshlrev_b64 v[48:49], v48, 1
	v_bfi_b32 v17, v17, 0, 0
	v_bfi_b32 v16, v16, 0, v34
	v_cmp_eq_u64_e64 s[18:19], v[16:17], v[48:49]
	v_lshrrev_b64 v[16:17], v29, v[34:35]
	v_mov_b32_e32 v49, v17
	v_mov_b32_e32 v48, v16
	s_and_saveexec_b64 s[92:93], s[18:19]
; %bb.6896:                             ;   in Loop: Header=BB4_6139 Depth=2
	v_bfe_u32 v17, v16, 20, 1
	v_add_co_u32_e64 v17, s[18:19], v16, v17
	v_add_co_u32_e64 v48, s[18:19], -1, v17
; %bb.6897:                             ;   in Loop: Header=BB4_6139 Depth=2
	s_or_b64 exec, exec, s[92:93]
	v_add_u32_e32 v17, 0xffffff81, v20
	v_cndmask_b32_e32 v17, v17, v60, vcc
	v_lshrrev_b32_e32 v20, 23, v16
	v_add3_u32 v49, v29, v17, v20
	v_add_u32_e32 v20, 6, v49
	v_and_b32_e32 v17, 0xfffff, v48
	v_add_u32_e32 v34, v17, v16
	v_cmp_ne_u32_e32 vcc, 0, v20
                                        ; implicit-def: $vgpr16_vgpr17
                                        ; implicit-def: $vgpr29
	s_and_saveexec_b64 s[18:19], vcc
	s_xor_b64 s[18:19], exec, s[18:19]
; %bb.6898:                             ;   in Loop: Header=BB4_6139 Depth=2
	v_cmp_lt_u64_e32 vcc, s[58:59], v[34:35]
	v_add_u32_e32 v16, 7, v49
	v_cndmask_b32_e32 v29, v20, v16, vcc
	v_cndmask_b32_e64 v16, 0, 1, vcc
	v_lshrrev_b64 v[16:17], v16, v[34:35]
; %bb.6899:                             ;   in Loop: Header=BB4_6139 Depth=2
	s_andn2_saveexec_b64 s[18:19], s[18:19]
; %bb.6900:                             ;   in Loop: Header=BB4_6139 Depth=2
	v_mov_b32_e32 v16, v34
	v_bfe_u32 v29, v34, 23, 1
	v_mov_b32_e32 v17, v35
; %bb.6901:                             ;   in Loop: Header=BB4_6139 Depth=2
	s_or_b64 exec, exec, s[18:19]
	v_lshrrev_b64 v[16:17], 20, v[16:17]
	v_cmp_gt_i32_e32 vcc, 16, v29
	v_cndmask_b32_e32 v17, 0, v17, vcc
	v_cndmask_b32_e32 v16, 7, v16, vcc
	v_cmp_ne_u64_e32 vcc, 0, v[16:17]
	v_cmp_ne_u32_e64 s[18:19], 0, v29
	s_or_b64 s[18:19], s[18:19], vcc
                                        ; implicit-def: $vgpr20
	s_and_saveexec_b64 s[92:93], s[18:19]
	s_xor_b64 s[18:19], exec, s[92:93]
; %bb.6902:                             ;   in Loop: Header=BB4_6139 Depth=2
	v_min_i32_e32 v17, 15, v29
	v_lshl_or_b32 v17, v17, 3, v28
	v_and_or_b32 v20, v16, 7, v17
                                        ; implicit-def: $vgpr28
; %bb.6903:                             ;   in Loop: Header=BB4_6139 Depth=2
	s_andn2_saveexec_b64 s[18:19], s[18:19]
; %bb.6904:                             ;   in Loop: Header=BB4_6139 Depth=2
	v_mov_b32_e32 v20, v28
; %bb.6905:                             ;   in Loop: Header=BB4_6139 Depth=2
	s_or_b64 exec, exec, s[18:19]
.LBB4_6906:                             ;   in Loop: Header=BB4_6139 Depth=2
	s_or_b64 exec, exec, s[90:91]
                                        ; implicit-def: $vgpr28
.LBB4_6907:                             ;   in Loop: Header=BB4_6139 Depth=2
	s_andn2_saveexec_b64 s[18:19], s[88:89]
; %bb.6908:                             ;   in Loop: Header=BB4_6139 Depth=2
	v_or_b32_e32 v20, 0x7e, v28
; %bb.6909:                             ;   in Loop: Header=BB4_6139 Depth=2
	s_or_b64 exec, exec, s[18:19]
                                        ; implicit-def: $vgpr16
.LBB4_6910:                             ;   in Loop: Header=BB4_6139 Depth=2
	s_andn2_saveexec_b64 s[18:19], s[78:79]
; %bb.6911:                             ;   in Loop: Header=BB4_6139 Depth=2
	v_or_b32_sdwa v20, v16, s39 dst_sel:DWORD dst_unused:UNUSED_PAD src0_sel:BYTE_3 src1_sel:DWORD
; %bb.6912:                             ;   in Loop: Header=BB4_6139 Depth=2
	s_or_b64 exec, exec, s[18:19]
	v_and_b32_e32 v16, 0xff, v19
	v_cmp_ne_u16_e32 vcc, 0, v16
	v_mov_b32_e32 v17, 0
	v_mov_b32_e32 v28, 0
	s_and_saveexec_b64 s[18:19], vcc
	s_cbranch_execz .LBB4_6918
; %bb.6913:                             ;   in Loop: Header=BB4_6139 Depth=2
	v_cmp_ne_u16_e32 vcc, s50, v16
	v_bfrev_b32_e32 v28, 1
	s_and_saveexec_b64 s[78:79], vcc
	s_cbranch_execz .LBB4_6917
; %bb.6914:                             ;   in Loop: Header=BB4_6139 Depth=2
	v_and_b32_e32 v29, 0x7f, v19
	v_cmp_ne_u32_e32 vcc, s39, v29
	v_mov_b32_e32 v28, 0x7f800001
	s_and_saveexec_b64 s[88:89], vcc
	s_cbranch_execz .LBB4_6916
; %bb.6915:                             ;   in Loop: Header=BB4_6139 Depth=2
	v_and_b32_e32 v34, 7, v16
	v_ffbh_u32_e32 v28, v34
	v_min_u32_e32 v49, 32, v28
	v_subrev_u32_e32 v28, 28, v49
	v_lshrrev_b32_e32 v48, 3, v29
	v_cmp_gt_u32_e32 vcc, 8, v29
	v_lshlrev_b64 v[28:29], v28, v[16:17]
	v_sub_u32_e32 v16, 29, v49
	v_and_b32_e32 v28, 7, v28
	v_cndmask_b32_e32 v16, v48, v16, vcc
	v_cndmask_b32_e32 v28, v34, v28, vcc
	v_lshlrev_b32_e32 v19, 24, v19
	v_lshlrev_b32_e32 v28, 20, v28
	v_and_b32_e32 v19, 0x80000000, v19
	v_lshl_add_u32 v16, v16, 23, v58
	v_or3_b32 v28, v19, v16, v28
.LBB4_6916:                             ;   in Loop: Header=BB4_6139 Depth=2
	s_or_b64 exec, exec, s[88:89]
.LBB4_6917:                             ;   in Loop: Header=BB4_6139 Depth=2
	s_or_b64 exec, exec, s[78:79]
.LBB4_6918:                             ;   in Loop: Header=BB4_6139 Depth=2
	s_or_b64 exec, exec, s[18:19]
	v_and_b32_e32 v16, 0xff, v50
	v_cmp_ne_u16_e32 vcc, 0, v16
	s_and_saveexec_b64 s[18:19], vcc
	s_cbranch_execz .LBB4_6924
; %bb.6919:                             ;   in Loop: Header=BB4_6139 Depth=2
	v_cmp_ne_u16_e32 vcc, s50, v16
	v_bfrev_b32_e32 v17, 1
	s_and_saveexec_b64 s[78:79], vcc
	s_cbranch_execz .LBB4_6923
; %bb.6920:                             ;   in Loop: Header=BB4_6139 Depth=2
	v_and_b32_e32 v19, 0x7f, v50
	v_cmp_ne_u32_e32 vcc, s39, v19
	v_mov_b32_e32 v17, 0x7f800001
	s_and_saveexec_b64 s[88:89], vcc
	s_cbranch_execz .LBB4_6922
; %bb.6921:                             ;   in Loop: Header=BB4_6139 Depth=2
	v_and_b32_e32 v29, 7, v16
	v_ffbh_u32_e32 v17, v29
	v_lshrrev_b32_e32 v34, 3, v19
	v_cmp_gt_u32_e32 vcc, 8, v19
	v_min_u32_e32 v19, 32, v17
	v_subrev_u32_e32 v17, 28, v19
	v_lshlrev_b64 v[16:17], v17, v[16:17]
	v_sub_u32_e32 v17, 29, v19
	v_and_b32_e32 v16, 7, v16
	v_cndmask_b32_e32 v17, v34, v17, vcc
	v_cndmask_b32_e32 v16, v29, v16, vcc
	v_lshlrev_b32_e32 v19, 24, v50
	v_lshlrev_b32_e32 v16, 20, v16
	v_and_b32_e32 v19, 0x80000000, v19
	v_lshl_add_u32 v17, v17, 23, v58
	v_or3_b32 v17, v19, v17, v16
.LBB4_6922:                             ;   in Loop: Header=BB4_6139 Depth=2
	s_or_b64 exec, exec, s[88:89]
.LBB4_6923:                             ;   in Loop: Header=BB4_6139 Depth=2
	s_or_b64 exec, exec, s[78:79]
.LBB4_6924:                             ;   in Loop: Header=BB4_6139 Depth=2
	s_or_b64 exec, exec, s[18:19]
	v_add_f32_e32 v16, v28, v17
	v_and_b32_e32 v34, 0x7f800000, v16
	v_cmp_ne_u64_e32 vcc, s[46:47], v[34:35]
                                        ; implicit-def: $vgpr19
	s_and_saveexec_b64 s[18:19], vcc
	s_xor_b64 s[78:79], exec, s[18:19]
	s_cbranch_execz .LBB4_6942
; %bb.6925:                             ;   in Loop: Header=BB4_6139 Depth=2
	v_and_b32_e32 v34, 0x7fffffff, v16
	v_cmp_gt_u64_e32 vcc, s[56:57], v[34:35]
	v_and_b32_sdwa v28, v16, s50 dst_sel:DWORD dst_unused:UNUSED_PAD src0_sel:BYTE_3 src1_sel:DWORD
                                        ; implicit-def: $vgpr19
	s_and_saveexec_b64 s[18:19], vcc
	s_xor_b64 s[88:89], exec, s[18:19]
	s_cbranch_execz .LBB4_6939
; %bb.6926:                             ;   in Loop: Header=BB4_6139 Depth=2
	v_cmp_ne_u32_e32 vcc, 0, v16
	v_mov_b32_e32 v19, 0
	s_and_saveexec_b64 s[90:91], vcc
	s_cbranch_execz .LBB4_6938
; %bb.6927:                             ;   in Loop: Header=BB4_6139 Depth=2
	v_bfe_u32 v19, v16, 23, 8
	v_and_b32_e32 v17, 0x7fffff, v16
	v_cmp_gt_u32_e64 s[18:19], s51, v19
	v_sub_u32_e32 v16, 0x79, v19
	v_cmp_eq_u32_e32 vcc, 0, v19
	v_cndmask_b32_e64 v16, 0, v16, s[18:19]
	v_cndmask_b32_e32 v29, v16, v59, vcc
	v_or_b32_e32 v34, 0x800000, v17
	v_add_u32_e32 v16, 20, v29
	v_cndmask_b32_e32 v34, v34, v17, vcc
	v_lshlrev_b64 v[16:17], v16, -1
	v_add_u32_e32 v48, 19, v29
	v_lshlrev_b64 v[48:49], v48, 1
	v_bfi_b32 v17, v17, 0, 0
	v_bfi_b32 v16, v16, 0, v34
	v_cmp_eq_u64_e64 s[18:19], v[16:17], v[48:49]
	v_lshrrev_b64 v[16:17], v29, v[34:35]
	v_mov_b32_e32 v49, v17
	v_mov_b32_e32 v48, v16
	s_and_saveexec_b64 s[92:93], s[18:19]
; %bb.6928:                             ;   in Loop: Header=BB4_6139 Depth=2
	v_bfe_u32 v17, v16, 20, 1
	v_add_co_u32_e64 v17, s[18:19], v16, v17
	v_add_co_u32_e64 v48, s[18:19], -1, v17
; %bb.6929:                             ;   in Loop: Header=BB4_6139 Depth=2
	s_or_b64 exec, exec, s[92:93]
	v_add_u32_e32 v17, 0xffffff81, v19
	v_cndmask_b32_e32 v17, v17, v60, vcc
	v_lshrrev_b32_e32 v19, 23, v16
	v_add3_u32 v49, v29, v17, v19
	v_add_u32_e32 v19, 6, v49
	v_and_b32_e32 v17, 0xfffff, v48
	v_add_u32_e32 v34, v17, v16
	v_cmp_ne_u32_e32 vcc, 0, v19
                                        ; implicit-def: $vgpr16_vgpr17
                                        ; implicit-def: $vgpr29
	s_and_saveexec_b64 s[18:19], vcc
	s_xor_b64 s[18:19], exec, s[18:19]
; %bb.6930:                             ;   in Loop: Header=BB4_6139 Depth=2
	v_cmp_lt_u64_e32 vcc, s[58:59], v[34:35]
	v_add_u32_e32 v16, 7, v49
	v_cndmask_b32_e32 v29, v19, v16, vcc
	v_cndmask_b32_e64 v16, 0, 1, vcc
	v_lshrrev_b64 v[16:17], v16, v[34:35]
; %bb.6931:                             ;   in Loop: Header=BB4_6139 Depth=2
	s_andn2_saveexec_b64 s[18:19], s[18:19]
; %bb.6932:                             ;   in Loop: Header=BB4_6139 Depth=2
	v_mov_b32_e32 v16, v34
	v_bfe_u32 v29, v34, 23, 1
	v_mov_b32_e32 v17, v35
; %bb.6933:                             ;   in Loop: Header=BB4_6139 Depth=2
	s_or_b64 exec, exec, s[18:19]
	v_lshrrev_b64 v[16:17], 20, v[16:17]
	v_cmp_gt_i32_e32 vcc, 16, v29
	v_cndmask_b32_e32 v17, 0, v17, vcc
	v_cndmask_b32_e32 v16, 7, v16, vcc
	v_cmp_ne_u64_e32 vcc, 0, v[16:17]
	v_cmp_ne_u32_e64 s[18:19], 0, v29
	s_or_b64 s[18:19], s[18:19], vcc
                                        ; implicit-def: $vgpr19
	s_and_saveexec_b64 s[92:93], s[18:19]
	s_xor_b64 s[18:19], exec, s[92:93]
; %bb.6934:                             ;   in Loop: Header=BB4_6139 Depth=2
	v_min_i32_e32 v17, 15, v29
	v_lshl_or_b32 v17, v17, 3, v28
	v_and_or_b32 v19, v16, 7, v17
                                        ; implicit-def: $vgpr28
; %bb.6935:                             ;   in Loop: Header=BB4_6139 Depth=2
	s_andn2_saveexec_b64 s[18:19], s[18:19]
; %bb.6936:                             ;   in Loop: Header=BB4_6139 Depth=2
	v_mov_b32_e32 v19, v28
; %bb.6937:                             ;   in Loop: Header=BB4_6139 Depth=2
	s_or_b64 exec, exec, s[18:19]
.LBB4_6938:                             ;   in Loop: Header=BB4_6139 Depth=2
	s_or_b64 exec, exec, s[90:91]
                                        ; implicit-def: $vgpr28
.LBB4_6939:                             ;   in Loop: Header=BB4_6139 Depth=2
	s_andn2_saveexec_b64 s[18:19], s[88:89]
; %bb.6940:                             ;   in Loop: Header=BB4_6139 Depth=2
	v_or_b32_e32 v19, 0x7e, v28
; %bb.6941:                             ;   in Loop: Header=BB4_6139 Depth=2
	s_or_b64 exec, exec, s[18:19]
                                        ; implicit-def: $vgpr16
.LBB4_6942:                             ;   in Loop: Header=BB4_6139 Depth=2
	s_andn2_saveexec_b64 s[18:19], s[78:79]
; %bb.6943:                             ;   in Loop: Header=BB4_6139 Depth=2
	v_or_b32_sdwa v19, v16, s39 dst_sel:DWORD dst_unused:UNUSED_PAD src0_sel:BYTE_3 src1_sel:DWORD
; %bb.6944:                             ;   in Loop: Header=BB4_6139 Depth=2
	s_or_b64 exec, exec, s[18:19]
	v_and_b32_e32 v16, 0xff, v18
	v_cmp_ne_u16_e32 vcc, 0, v16
	v_mov_b32_e32 v17, 0
	v_mov_b32_e32 v28, 0
	s_and_saveexec_b64 s[18:19], vcc
	s_cbranch_execz .LBB4_6950
; %bb.6945:                             ;   in Loop: Header=BB4_6139 Depth=2
	v_cmp_ne_u16_e32 vcc, s50, v16
	v_bfrev_b32_e32 v28, 1
	s_and_saveexec_b64 s[78:79], vcc
	s_cbranch_execz .LBB4_6949
; %bb.6946:                             ;   in Loop: Header=BB4_6139 Depth=2
	v_and_b32_e32 v29, 0x7f, v18
	v_cmp_ne_u32_e32 vcc, s39, v29
	v_mov_b32_e32 v28, 0x7f800001
	s_and_saveexec_b64 s[88:89], vcc
	s_cbranch_execz .LBB4_6948
; %bb.6947:                             ;   in Loop: Header=BB4_6139 Depth=2
	v_and_b32_e32 v34, 7, v16
	v_ffbh_u32_e32 v28, v34
	v_min_u32_e32 v49, 32, v28
	v_subrev_u32_e32 v28, 28, v49
	v_lshrrev_b32_e32 v48, 3, v29
	v_cmp_gt_u32_e32 vcc, 8, v29
	v_lshlrev_b64 v[28:29], v28, v[16:17]
	v_sub_u32_e32 v16, 29, v49
	v_and_b32_e32 v28, 7, v28
	v_cndmask_b32_e32 v16, v48, v16, vcc
	v_cndmask_b32_e32 v28, v34, v28, vcc
	v_lshlrev_b32_e32 v18, 24, v18
	v_lshlrev_b32_e32 v28, 20, v28
	v_and_b32_e32 v18, 0x80000000, v18
	v_lshl_add_u32 v16, v16, 23, v58
	v_or3_b32 v28, v18, v16, v28
.LBB4_6948:                             ;   in Loop: Header=BB4_6139 Depth=2
	s_or_b64 exec, exec, s[88:89]
.LBB4_6949:                             ;   in Loop: Header=BB4_6139 Depth=2
	s_or_b64 exec, exec, s[78:79]
.LBB4_6950:                             ;   in Loop: Header=BB4_6139 Depth=2
	s_or_b64 exec, exec, s[18:19]
	v_and_b32_e32 v16, 0xff, v39
	v_cmp_ne_u16_e32 vcc, 0, v16
	s_and_saveexec_b64 s[18:19], vcc
	s_cbranch_execz .LBB4_6956
; %bb.6951:                             ;   in Loop: Header=BB4_6139 Depth=2
	v_cmp_ne_u16_e32 vcc, s50, v16
	v_bfrev_b32_e32 v17, 1
	s_and_saveexec_b64 s[78:79], vcc
	s_cbranch_execz .LBB4_6955
; %bb.6952:                             ;   in Loop: Header=BB4_6139 Depth=2
	v_and_b32_e32 v18, 0x7f, v39
	v_cmp_ne_u32_e32 vcc, s39, v18
	v_mov_b32_e32 v17, 0x7f800001
	s_and_saveexec_b64 s[88:89], vcc
	s_cbranch_execz .LBB4_6954
; %bb.6953:                             ;   in Loop: Header=BB4_6139 Depth=2
	v_and_b32_e32 v29, 7, v16
	v_ffbh_u32_e32 v17, v29
	v_lshrrev_b32_e32 v34, 3, v18
	v_cmp_gt_u32_e32 vcc, 8, v18
	v_min_u32_e32 v18, 32, v17
	v_subrev_u32_e32 v17, 28, v18
	v_lshlrev_b64 v[16:17], v17, v[16:17]
	v_sub_u32_e32 v17, 29, v18
	v_and_b32_e32 v16, 7, v16
	v_cndmask_b32_e32 v17, v34, v17, vcc
	v_cndmask_b32_e32 v16, v29, v16, vcc
	v_lshlrev_b32_e32 v18, 24, v39
	v_lshlrev_b32_e32 v16, 20, v16
	v_and_b32_e32 v18, 0x80000000, v18
	v_lshl_add_u32 v17, v17, 23, v58
	v_or3_b32 v17, v18, v17, v16
.LBB4_6954:                             ;   in Loop: Header=BB4_6139 Depth=2
	s_or_b64 exec, exec, s[88:89]
.LBB4_6955:                             ;   in Loop: Header=BB4_6139 Depth=2
	s_or_b64 exec, exec, s[78:79]
.LBB4_6956:                             ;   in Loop: Header=BB4_6139 Depth=2
	s_or_b64 exec, exec, s[18:19]
	v_add_f32_e32 v16, v28, v17
	v_and_b32_e32 v34, 0x7f800000, v16
	v_cmp_ne_u64_e32 vcc, s[46:47], v[34:35]
                                        ; implicit-def: $vgpr18
	s_and_saveexec_b64 s[18:19], vcc
	s_xor_b64 s[78:79], exec, s[18:19]
	s_cbranch_execz .LBB4_6974
; %bb.6957:                             ;   in Loop: Header=BB4_6139 Depth=2
	v_and_b32_e32 v34, 0x7fffffff, v16
	v_cmp_gt_u64_e32 vcc, s[56:57], v[34:35]
	v_and_b32_sdwa v28, v16, s50 dst_sel:DWORD dst_unused:UNUSED_PAD src0_sel:BYTE_3 src1_sel:DWORD
                                        ; implicit-def: $vgpr18
	s_and_saveexec_b64 s[18:19], vcc
	s_xor_b64 s[88:89], exec, s[18:19]
	s_cbranch_execz .LBB4_6971
; %bb.6958:                             ;   in Loop: Header=BB4_6139 Depth=2
	v_cmp_ne_u32_e32 vcc, 0, v16
	v_mov_b32_e32 v18, 0
	s_and_saveexec_b64 s[90:91], vcc
	s_cbranch_execz .LBB4_6970
; %bb.6959:                             ;   in Loop: Header=BB4_6139 Depth=2
	v_bfe_u32 v18, v16, 23, 8
	v_and_b32_e32 v17, 0x7fffff, v16
	v_cmp_gt_u32_e64 s[18:19], s51, v18
	v_sub_u32_e32 v16, 0x79, v18
	v_cmp_eq_u32_e32 vcc, 0, v18
	v_cndmask_b32_e64 v16, 0, v16, s[18:19]
	v_cndmask_b32_e32 v29, v16, v59, vcc
	v_or_b32_e32 v34, 0x800000, v17
	v_add_u32_e32 v16, 20, v29
	v_cndmask_b32_e32 v34, v34, v17, vcc
	v_lshlrev_b64 v[16:17], v16, -1
	v_add_u32_e32 v39, 19, v29
	v_lshlrev_b64 v[48:49], v39, 1
	v_bfi_b32 v17, v17, 0, 0
	v_bfi_b32 v16, v16, 0, v34
	v_cmp_eq_u64_e64 s[18:19], v[16:17], v[48:49]
	v_lshrrev_b64 v[16:17], v29, v[34:35]
	v_mov_b32_e32 v49, v17
	v_mov_b32_e32 v48, v16
	s_and_saveexec_b64 s[92:93], s[18:19]
; %bb.6960:                             ;   in Loop: Header=BB4_6139 Depth=2
	v_bfe_u32 v17, v16, 20, 1
	v_add_co_u32_e64 v17, s[18:19], v16, v17
	v_add_co_u32_e64 v48, s[18:19], -1, v17
; %bb.6961:                             ;   in Loop: Header=BB4_6139 Depth=2
	s_or_b64 exec, exec, s[92:93]
	v_add_u32_e32 v17, 0xffffff81, v18
	v_cndmask_b32_e32 v17, v17, v60, vcc
	v_lshrrev_b32_e32 v18, 23, v16
	v_add3_u32 v39, v29, v17, v18
	v_add_u32_e32 v18, 6, v39
	v_and_b32_e32 v17, 0xfffff, v48
	v_add_u32_e32 v34, v17, v16
	v_cmp_ne_u32_e32 vcc, 0, v18
                                        ; implicit-def: $vgpr16_vgpr17
                                        ; implicit-def: $vgpr29
	s_and_saveexec_b64 s[18:19], vcc
	s_xor_b64 s[18:19], exec, s[18:19]
; %bb.6962:                             ;   in Loop: Header=BB4_6139 Depth=2
	v_cmp_lt_u64_e32 vcc, s[58:59], v[34:35]
	v_add_u32_e32 v16, 7, v39
	v_cndmask_b32_e32 v29, v18, v16, vcc
	v_cndmask_b32_e64 v16, 0, 1, vcc
	v_lshrrev_b64 v[16:17], v16, v[34:35]
; %bb.6963:                             ;   in Loop: Header=BB4_6139 Depth=2
	s_andn2_saveexec_b64 s[18:19], s[18:19]
; %bb.6964:                             ;   in Loop: Header=BB4_6139 Depth=2
	v_mov_b32_e32 v16, v34
	v_bfe_u32 v29, v34, 23, 1
	v_mov_b32_e32 v17, v35
; %bb.6965:                             ;   in Loop: Header=BB4_6139 Depth=2
	s_or_b64 exec, exec, s[18:19]
	v_lshrrev_b64 v[16:17], 20, v[16:17]
	v_cmp_gt_i32_e32 vcc, 16, v29
	v_cndmask_b32_e32 v17, 0, v17, vcc
	v_cndmask_b32_e32 v16, 7, v16, vcc
	v_cmp_ne_u64_e32 vcc, 0, v[16:17]
	v_cmp_ne_u32_e64 s[18:19], 0, v29
	s_or_b64 s[18:19], s[18:19], vcc
                                        ; implicit-def: $vgpr18
	s_and_saveexec_b64 s[92:93], s[18:19]
	s_xor_b64 s[18:19], exec, s[92:93]
; %bb.6966:                             ;   in Loop: Header=BB4_6139 Depth=2
	v_min_i32_e32 v17, 15, v29
	v_lshl_or_b32 v17, v17, 3, v28
	v_and_or_b32 v18, v16, 7, v17
                                        ; implicit-def: $vgpr28
; %bb.6967:                             ;   in Loop: Header=BB4_6139 Depth=2
	s_andn2_saveexec_b64 s[18:19], s[18:19]
; %bb.6968:                             ;   in Loop: Header=BB4_6139 Depth=2
	v_mov_b32_e32 v18, v28
; %bb.6969:                             ;   in Loop: Header=BB4_6139 Depth=2
	s_or_b64 exec, exec, s[18:19]
.LBB4_6970:                             ;   in Loop: Header=BB4_6139 Depth=2
	s_or_b64 exec, exec, s[90:91]
                                        ; implicit-def: $vgpr28
.LBB4_6971:                             ;   in Loop: Header=BB4_6139 Depth=2
	s_andn2_saveexec_b64 s[18:19], s[88:89]
; %bb.6972:                             ;   in Loop: Header=BB4_6139 Depth=2
	v_or_b32_e32 v18, 0x7e, v28
; %bb.6973:                             ;   in Loop: Header=BB4_6139 Depth=2
	s_or_b64 exec, exec, s[18:19]
                                        ; implicit-def: $vgpr16
.LBB4_6974:                             ;   in Loop: Header=BB4_6139 Depth=2
	s_andn2_saveexec_b64 s[18:19], s[78:79]
; %bb.6975:                             ;   in Loop: Header=BB4_6139 Depth=2
	v_or_b32_sdwa v18, v16, s39 dst_sel:DWORD dst_unused:UNUSED_PAD src0_sel:BYTE_3 src1_sel:DWORD
; %bb.6976:                             ;   in Loop: Header=BB4_6139 Depth=2
	s_or_b64 exec, exec, s[18:19]
	v_and_b32_e32 v16, 0xff, v9
	v_cmp_ne_u16_e32 vcc, 0, v16
	v_mov_b32_e32 v17, 0
	v_mov_b32_e32 v28, 0
	s_and_saveexec_b64 s[18:19], vcc
	s_cbranch_execz .LBB4_6982
; %bb.6977:                             ;   in Loop: Header=BB4_6139 Depth=2
	v_cmp_ne_u16_e32 vcc, s50, v16
	v_bfrev_b32_e32 v28, 1
	s_and_saveexec_b64 s[78:79], vcc
	s_cbranch_execz .LBB4_6981
; %bb.6978:                             ;   in Loop: Header=BB4_6139 Depth=2
	v_and_b32_e32 v29, 0x7f, v9
	v_cmp_ne_u32_e32 vcc, s39, v29
	v_mov_b32_e32 v28, 0x7f800001
	s_and_saveexec_b64 s[88:89], vcc
	s_cbranch_execz .LBB4_6980
; %bb.6979:                             ;   in Loop: Header=BB4_6139 Depth=2
	v_and_b32_e32 v34, 7, v16
	v_ffbh_u32_e32 v28, v34
	v_min_u32_e32 v48, 32, v28
	v_subrev_u32_e32 v28, 28, v48
	v_lshrrev_b32_e32 v39, 3, v29
	v_cmp_gt_u32_e32 vcc, 8, v29
	v_lshlrev_b64 v[28:29], v28, v[16:17]
	v_sub_u32_e32 v16, 29, v48
	v_and_b32_e32 v28, 7, v28
	v_cndmask_b32_e32 v16, v39, v16, vcc
	v_cndmask_b32_e32 v28, v34, v28, vcc
	v_lshlrev_b32_e32 v9, 24, v9
	v_lshlrev_b32_e32 v28, 20, v28
	v_and_b32_e32 v9, 0x80000000, v9
	v_lshl_add_u32 v16, v16, 23, v58
	v_or3_b32 v28, v9, v16, v28
.LBB4_6980:                             ;   in Loop: Header=BB4_6139 Depth=2
	s_or_b64 exec, exec, s[88:89]
.LBB4_6981:                             ;   in Loop: Header=BB4_6139 Depth=2
	s_or_b64 exec, exec, s[78:79]
.LBB4_6982:                             ;   in Loop: Header=BB4_6139 Depth=2
	s_or_b64 exec, exec, s[18:19]
	v_and_b32_e32 v16, 0xff, v32
	v_cmp_ne_u16_e32 vcc, 0, v16
	s_and_saveexec_b64 s[18:19], vcc
	s_cbranch_execz .LBB4_6988
; %bb.6983:                             ;   in Loop: Header=BB4_6139 Depth=2
	v_cmp_ne_u16_e32 vcc, s50, v16
	v_bfrev_b32_e32 v17, 1
	s_and_saveexec_b64 s[78:79], vcc
	s_cbranch_execz .LBB4_6987
; %bb.6984:                             ;   in Loop: Header=BB4_6139 Depth=2
	v_and_b32_e32 v9, 0x7f, v32
	v_cmp_ne_u32_e32 vcc, s39, v9
	v_mov_b32_e32 v17, 0x7f800001
	s_and_saveexec_b64 s[88:89], vcc
	s_cbranch_execz .LBB4_6986
; %bb.6985:                             ;   in Loop: Header=BB4_6139 Depth=2
	v_and_b32_e32 v29, 7, v16
	v_lshrrev_b32_e32 v34, 3, v9
	v_cmp_gt_u32_e32 vcc, 8, v9
	v_ffbh_u32_e32 v9, v29
	v_min_u32_e32 v9, 32, v9
	v_subrev_u32_e32 v17, 28, v9
	v_lshlrev_b64 v[16:17], v17, v[16:17]
	v_sub_u32_e32 v9, 29, v9
	v_and_b32_e32 v16, 7, v16
	v_cndmask_b32_e32 v9, v34, v9, vcc
	v_cndmask_b32_e32 v16, v29, v16, vcc
	v_lshlrev_b32_e32 v17, 24, v32
	v_lshlrev_b32_e32 v16, 20, v16
	v_and_b32_e32 v17, 0x80000000, v17
	v_lshl_add_u32 v9, v9, 23, v58
	v_or3_b32 v17, v17, v9, v16
.LBB4_6986:                             ;   in Loop: Header=BB4_6139 Depth=2
	s_or_b64 exec, exec, s[88:89]
.LBB4_6987:                             ;   in Loop: Header=BB4_6139 Depth=2
	s_or_b64 exec, exec, s[78:79]
.LBB4_6988:                             ;   in Loop: Header=BB4_6139 Depth=2
	s_or_b64 exec, exec, s[18:19]
	v_add_f32_e32 v16, v28, v17
	v_and_b32_e32 v34, 0x7f800000, v16
	v_cmp_ne_u64_e32 vcc, s[46:47], v[34:35]
                                        ; implicit-def: $vgpr9
	s_and_saveexec_b64 s[18:19], vcc
	s_xor_b64 s[78:79], exec, s[18:19]
	s_cbranch_execz .LBB4_7006
; %bb.6989:                             ;   in Loop: Header=BB4_6139 Depth=2
	v_and_b32_e32 v34, 0x7fffffff, v16
	v_cmp_gt_u64_e32 vcc, s[56:57], v[34:35]
	v_and_b32_sdwa v28, v16, s50 dst_sel:DWORD dst_unused:UNUSED_PAD src0_sel:BYTE_3 src1_sel:DWORD
                                        ; implicit-def: $vgpr9
	s_and_saveexec_b64 s[18:19], vcc
	s_xor_b64 s[88:89], exec, s[18:19]
	s_cbranch_execz .LBB4_7003
; %bb.6990:                             ;   in Loop: Header=BB4_6139 Depth=2
	v_cmp_ne_u32_e32 vcc, 0, v16
	v_mov_b32_e32 v9, 0
	s_and_saveexec_b64 s[90:91], vcc
	s_cbranch_execz .LBB4_7002
; %bb.6991:                             ;   in Loop: Header=BB4_6139 Depth=2
	v_bfe_u32 v9, v16, 23, 8
	v_and_b32_e32 v17, 0x7fffff, v16
	v_cmp_gt_u32_e64 s[18:19], s51, v9
	v_sub_u32_e32 v16, 0x79, v9
	v_cmp_eq_u32_e32 vcc, 0, v9
	v_cndmask_b32_e64 v16, 0, v16, s[18:19]
	v_cndmask_b32_e32 v29, v16, v59, vcc
	v_or_b32_e32 v32, 0x800000, v17
	v_add_u32_e32 v16, 20, v29
	v_cndmask_b32_e32 v34, v32, v17, vcc
	v_lshlrev_b64 v[16:17], v16, -1
	v_add_u32_e32 v32, 19, v29
	v_lshlrev_b64 v[48:49], v32, 1
	v_bfi_b32 v17, v17, 0, 0
	v_bfi_b32 v16, v16, 0, v34
	v_cmp_eq_u64_e64 s[18:19], v[16:17], v[48:49]
	v_lshrrev_b64 v[16:17], v29, v[34:35]
	v_mov_b32_e32 v49, v17
	v_mov_b32_e32 v48, v16
	s_and_saveexec_b64 s[92:93], s[18:19]
; %bb.6992:                             ;   in Loop: Header=BB4_6139 Depth=2
	v_bfe_u32 v17, v16, 20, 1
	v_add_co_u32_e64 v17, s[18:19], v16, v17
	v_add_co_u32_e64 v48, s[18:19], -1, v17
; %bb.6993:                             ;   in Loop: Header=BB4_6139 Depth=2
	s_or_b64 exec, exec, s[92:93]
	v_add_u32_e32 v9, 0xffffff81, v9
	v_cndmask_b32_e32 v9, v9, v60, vcc
	v_lshrrev_b32_e32 v17, 23, v16
	v_add3_u32 v32, v29, v9, v17
	v_add_u32_e32 v9, 6, v32
	v_and_b32_e32 v17, 0xfffff, v48
	v_add_u32_e32 v34, v17, v16
	v_cmp_ne_u32_e32 vcc, 0, v9
                                        ; implicit-def: $vgpr16_vgpr17
                                        ; implicit-def: $vgpr29
	s_and_saveexec_b64 s[18:19], vcc
	s_xor_b64 s[18:19], exec, s[18:19]
; %bb.6994:                             ;   in Loop: Header=BB4_6139 Depth=2
	v_cmp_lt_u64_e32 vcc, s[58:59], v[34:35]
	v_add_u32_e32 v16, 7, v32
	v_cndmask_b32_e32 v29, v9, v16, vcc
	v_cndmask_b32_e64 v9, 0, 1, vcc
	v_lshrrev_b64 v[16:17], v9, v[34:35]
; %bb.6995:                             ;   in Loop: Header=BB4_6139 Depth=2
	s_andn2_saveexec_b64 s[18:19], s[18:19]
; %bb.6996:                             ;   in Loop: Header=BB4_6139 Depth=2
	v_mov_b32_e32 v16, v34
	v_bfe_u32 v29, v34, 23, 1
	v_mov_b32_e32 v17, v35
; %bb.6997:                             ;   in Loop: Header=BB4_6139 Depth=2
	s_or_b64 exec, exec, s[18:19]
	v_lshrrev_b64 v[16:17], 20, v[16:17]
	v_cmp_gt_i32_e32 vcc, 16, v29
	v_cndmask_b32_e32 v17, 0, v17, vcc
	v_cndmask_b32_e32 v16, 7, v16, vcc
	v_cmp_ne_u64_e32 vcc, 0, v[16:17]
	v_cmp_ne_u32_e64 s[18:19], 0, v29
	s_or_b64 s[18:19], s[18:19], vcc
                                        ; implicit-def: $vgpr9
	s_and_saveexec_b64 s[92:93], s[18:19]
	s_xor_b64 s[18:19], exec, s[92:93]
; %bb.6998:                             ;   in Loop: Header=BB4_6139 Depth=2
	v_min_i32_e32 v9, 15, v29
	v_lshl_or_b32 v9, v9, 3, v28
	v_and_or_b32 v9, v16, 7, v9
                                        ; implicit-def: $vgpr28
; %bb.6999:                             ;   in Loop: Header=BB4_6139 Depth=2
	s_andn2_saveexec_b64 s[18:19], s[18:19]
; %bb.7000:                             ;   in Loop: Header=BB4_6139 Depth=2
	v_mov_b32_e32 v9, v28
; %bb.7001:                             ;   in Loop: Header=BB4_6139 Depth=2
	s_or_b64 exec, exec, s[18:19]
.LBB4_7002:                             ;   in Loop: Header=BB4_6139 Depth=2
	s_or_b64 exec, exec, s[90:91]
                                        ; implicit-def: $vgpr28
.LBB4_7003:                             ;   in Loop: Header=BB4_6139 Depth=2
	s_andn2_saveexec_b64 s[18:19], s[88:89]
; %bb.7004:                             ;   in Loop: Header=BB4_6139 Depth=2
	v_or_b32_e32 v9, 0x7e, v28
; %bb.7005:                             ;   in Loop: Header=BB4_6139 Depth=2
	s_or_b64 exec, exec, s[18:19]
                                        ; implicit-def: $vgpr16
.LBB4_7006:                             ;   in Loop: Header=BB4_6139 Depth=2
	s_andn2_saveexec_b64 s[18:19], s[78:79]
; %bb.7007:                             ;   in Loop: Header=BB4_6139 Depth=2
	v_or_b32_sdwa v9, v16, s39 dst_sel:DWORD dst_unused:UNUSED_PAD src0_sel:BYTE_3 src1_sel:DWORD
; %bb.7008:                             ;   in Loop: Header=BB4_6139 Depth=2
	s_or_b64 exec, exec, s[18:19]
	v_and_b32_e32 v16, 0xff, v8
	v_cmp_ne_u16_e32 vcc, 0, v16
	v_mov_b32_e32 v17, 0
	v_mov_b32_e32 v28, 0
	s_and_saveexec_b64 s[18:19], vcc
	s_cbranch_execz .LBB4_7014
; %bb.7009:                             ;   in Loop: Header=BB4_6139 Depth=2
	v_cmp_ne_u16_e32 vcc, s50, v16
	v_bfrev_b32_e32 v28, 1
	s_and_saveexec_b64 s[78:79], vcc
	s_cbranch_execz .LBB4_7013
; %bb.7010:                             ;   in Loop: Header=BB4_6139 Depth=2
	v_and_b32_e32 v29, 0x7f, v8
	v_cmp_ne_u32_e32 vcc, s39, v29
	v_mov_b32_e32 v28, 0x7f800001
	s_and_saveexec_b64 s[88:89], vcc
	s_cbranch_execz .LBB4_7012
; %bb.7011:                             ;   in Loop: Header=BB4_6139 Depth=2
	v_and_b32_e32 v32, 7, v16
	v_ffbh_u32_e32 v28, v32
	v_min_u32_e32 v39, 32, v28
	v_subrev_u32_e32 v28, 28, v39
	v_lshrrev_b32_e32 v34, 3, v29
	v_cmp_gt_u32_e32 vcc, 8, v29
	v_lshlrev_b64 v[28:29], v28, v[16:17]
	v_sub_u32_e32 v16, 29, v39
	v_and_b32_e32 v28, 7, v28
	v_cndmask_b32_e32 v16, v34, v16, vcc
	v_cndmask_b32_e32 v28, v32, v28, vcc
	v_lshlrev_b32_e32 v8, 24, v8
	v_lshlrev_b32_e32 v28, 20, v28
	v_and_b32_e32 v8, 0x80000000, v8
	v_lshl_add_u32 v16, v16, 23, v58
	v_or3_b32 v28, v8, v16, v28
.LBB4_7012:                             ;   in Loop: Header=BB4_6139 Depth=2
	s_or_b64 exec, exec, s[88:89]
.LBB4_7013:                             ;   in Loop: Header=BB4_6139 Depth=2
	s_or_b64 exec, exec, s[78:79]
.LBB4_7014:                             ;   in Loop: Header=BB4_6139 Depth=2
	s_or_b64 exec, exec, s[18:19]
	v_and_b32_e32 v16, 0xff, v22
	v_cmp_ne_u16_e32 vcc, 0, v16
	s_and_saveexec_b64 s[18:19], vcc
	s_cbranch_execz .LBB4_7020
; %bb.7015:                             ;   in Loop: Header=BB4_6139 Depth=2
	v_cmp_ne_u16_e32 vcc, s50, v16
	v_bfrev_b32_e32 v17, 1
	s_and_saveexec_b64 s[78:79], vcc
	s_cbranch_execz .LBB4_7019
; %bb.7016:                             ;   in Loop: Header=BB4_6139 Depth=2
	v_and_b32_e32 v8, 0x7f, v22
	v_cmp_ne_u32_e32 vcc, s39, v8
	v_mov_b32_e32 v17, 0x7f800001
	s_and_saveexec_b64 s[88:89], vcc
	s_cbranch_execz .LBB4_7018
; %bb.7017:                             ;   in Loop: Header=BB4_6139 Depth=2
	v_and_b32_e32 v29, 7, v16
	v_lshrrev_b32_e32 v32, 3, v8
	v_cmp_gt_u32_e32 vcc, 8, v8
	v_ffbh_u32_e32 v8, v29
	v_min_u32_e32 v8, 32, v8
	v_subrev_u32_e32 v17, 28, v8
	v_lshlrev_b64 v[16:17], v17, v[16:17]
	v_sub_u32_e32 v8, 29, v8
	v_and_b32_e32 v16, 7, v16
	v_cndmask_b32_e32 v8, v32, v8, vcc
	v_cndmask_b32_e32 v16, v29, v16, vcc
	v_lshlrev_b32_e32 v17, 24, v22
	v_lshlrev_b32_e32 v16, 20, v16
	v_and_b32_e32 v17, 0x80000000, v17
	v_lshl_add_u32 v8, v8, 23, v58
	v_or3_b32 v17, v17, v8, v16
.LBB4_7018:                             ;   in Loop: Header=BB4_6139 Depth=2
	s_or_b64 exec, exec, s[88:89]
.LBB4_7019:                             ;   in Loop: Header=BB4_6139 Depth=2
	s_or_b64 exec, exec, s[78:79]
.LBB4_7020:                             ;   in Loop: Header=BB4_6139 Depth=2
	s_or_b64 exec, exec, s[18:19]
	v_add_f32_e32 v16, v28, v17
	v_and_b32_e32 v34, 0x7f800000, v16
	v_cmp_ne_u64_e32 vcc, s[46:47], v[34:35]
                                        ; implicit-def: $vgpr8
	s_and_saveexec_b64 s[18:19], vcc
	s_xor_b64 s[78:79], exec, s[18:19]
	s_cbranch_execz .LBB4_7038
; %bb.7021:                             ;   in Loop: Header=BB4_6139 Depth=2
	v_and_b32_e32 v34, 0x7fffffff, v16
	v_cmp_gt_u64_e32 vcc, s[56:57], v[34:35]
	v_and_b32_sdwa v22, v16, s50 dst_sel:DWORD dst_unused:UNUSED_PAD src0_sel:BYTE_3 src1_sel:DWORD
                                        ; implicit-def: $vgpr8
	s_and_saveexec_b64 s[18:19], vcc
	s_xor_b64 s[88:89], exec, s[18:19]
	s_cbranch_execz .LBB4_7035
; %bb.7022:                             ;   in Loop: Header=BB4_6139 Depth=2
	v_cmp_ne_u32_e32 vcc, 0, v16
	v_mov_b32_e32 v8, 0
	s_and_saveexec_b64 s[90:91], vcc
	s_cbranch_execz .LBB4_7034
; %bb.7023:                             ;   in Loop: Header=BB4_6139 Depth=2
	v_bfe_u32 v8, v16, 23, 8
	v_and_b32_e32 v17, 0x7fffff, v16
	v_cmp_gt_u32_e64 s[18:19], s51, v8
	v_sub_u32_e32 v16, 0x79, v8
	v_cmp_eq_u32_e32 vcc, 0, v8
	v_cndmask_b32_e64 v16, 0, v16, s[18:19]
	v_cndmask_b32_e32 v28, v16, v59, vcc
	v_or_b32_e32 v29, 0x800000, v17
	v_add_u32_e32 v16, 20, v28
	v_cndmask_b32_e32 v34, v29, v17, vcc
	v_lshlrev_b64 v[16:17], v16, -1
	v_add_u32_e32 v29, 19, v28
	v_lshlrev_b64 v[48:49], v29, 1
	v_bfi_b32 v17, v17, 0, 0
	v_bfi_b32 v16, v16, 0, v34
	v_cmp_eq_u64_e64 s[18:19], v[16:17], v[48:49]
	v_lshrrev_b64 v[16:17], v28, v[34:35]
	v_mov_b32_e32 v49, v17
	v_mov_b32_e32 v48, v16
	s_and_saveexec_b64 s[92:93], s[18:19]
; %bb.7024:                             ;   in Loop: Header=BB4_6139 Depth=2
	v_bfe_u32 v17, v16, 20, 1
	v_add_co_u32_e64 v17, s[18:19], v16, v17
	v_add_co_u32_e64 v48, s[18:19], -1, v17
; %bb.7025:                             ;   in Loop: Header=BB4_6139 Depth=2
	s_or_b64 exec, exec, s[92:93]
	v_add_u32_e32 v8, 0xffffff81, v8
	v_cndmask_b32_e32 v8, v8, v60, vcc
	v_lshrrev_b32_e32 v17, 23, v16
	v_add3_u32 v29, v28, v8, v17
	v_add_u32_e32 v8, 6, v29
	v_and_b32_e32 v17, 0xfffff, v48
	v_add_u32_e32 v34, v17, v16
	v_cmp_ne_u32_e32 vcc, 0, v8
                                        ; implicit-def: $vgpr16_vgpr17
                                        ; implicit-def: $vgpr28
	s_and_saveexec_b64 s[18:19], vcc
	s_xor_b64 s[18:19], exec, s[18:19]
; %bb.7026:                             ;   in Loop: Header=BB4_6139 Depth=2
	v_cmp_lt_u64_e32 vcc, s[58:59], v[34:35]
	v_add_u32_e32 v16, 7, v29
	v_cndmask_b32_e32 v28, v8, v16, vcc
	v_cndmask_b32_e64 v8, 0, 1, vcc
	v_lshrrev_b64 v[16:17], v8, v[34:35]
; %bb.7027:                             ;   in Loop: Header=BB4_6139 Depth=2
	s_andn2_saveexec_b64 s[18:19], s[18:19]
; %bb.7028:                             ;   in Loop: Header=BB4_6139 Depth=2
	v_mov_b32_e32 v16, v34
	v_bfe_u32 v28, v34, 23, 1
	v_mov_b32_e32 v17, v35
; %bb.7029:                             ;   in Loop: Header=BB4_6139 Depth=2
	s_or_b64 exec, exec, s[18:19]
	v_lshrrev_b64 v[16:17], 20, v[16:17]
	v_cmp_gt_i32_e32 vcc, 16, v28
	v_cndmask_b32_e32 v17, 0, v17, vcc
	v_cndmask_b32_e32 v16, 7, v16, vcc
	v_cmp_ne_u64_e32 vcc, 0, v[16:17]
	v_cmp_ne_u32_e64 s[18:19], 0, v28
	s_or_b64 s[18:19], s[18:19], vcc
                                        ; implicit-def: $vgpr8
	s_and_saveexec_b64 s[92:93], s[18:19]
	s_xor_b64 s[18:19], exec, s[92:93]
; %bb.7030:                             ;   in Loop: Header=BB4_6139 Depth=2
	v_min_i32_e32 v8, 15, v28
	v_lshl_or_b32 v8, v8, 3, v22
	v_and_or_b32 v8, v16, 7, v8
                                        ; implicit-def: $vgpr22
; %bb.7031:                             ;   in Loop: Header=BB4_6139 Depth=2
	s_andn2_saveexec_b64 s[18:19], s[18:19]
; %bb.7032:                             ;   in Loop: Header=BB4_6139 Depth=2
	v_mov_b32_e32 v8, v22
; %bb.7033:                             ;   in Loop: Header=BB4_6139 Depth=2
	s_or_b64 exec, exec, s[18:19]
.LBB4_7034:                             ;   in Loop: Header=BB4_6139 Depth=2
	s_or_b64 exec, exec, s[90:91]
                                        ; implicit-def: $vgpr22
.LBB4_7035:                             ;   in Loop: Header=BB4_6139 Depth=2
	s_andn2_saveexec_b64 s[18:19], s[88:89]
; %bb.7036:                             ;   in Loop: Header=BB4_6139 Depth=2
	v_or_b32_e32 v8, 0x7e, v22
; %bb.7037:                             ;   in Loop: Header=BB4_6139 Depth=2
	s_or_b64 exec, exec, s[18:19]
                                        ; implicit-def: $vgpr16
.LBB4_7038:                             ;   in Loop: Header=BB4_6139 Depth=2
	s_andn2_saveexec_b64 s[18:19], s[78:79]
; %bb.7039:                             ;   in Loop: Header=BB4_6139 Depth=2
	v_or_b32_sdwa v8, v16, s39 dst_sel:DWORD dst_unused:UNUSED_PAD src0_sel:BYTE_3 src1_sel:DWORD
; %bb.7040:                             ;   in Loop: Header=BB4_6139 Depth=2
	s_or_b64 exec, exec, s[18:19]
	v_and_b32_e32 v16, 0xff, v2
	v_cmp_ne_u16_e32 vcc, 0, v16
	v_mov_b32_e32 v17, 0
	v_mov_b32_e32 v22, 0
	s_and_saveexec_b64 s[18:19], vcc
	s_cbranch_execz .LBB4_7046
; %bb.7041:                             ;   in Loop: Header=BB4_6139 Depth=2
	v_cmp_ne_u16_e32 vcc, s50, v16
	v_bfrev_b32_e32 v22, 1
	s_and_saveexec_b64 s[78:79], vcc
	s_cbranch_execz .LBB4_7045
; %bb.7042:                             ;   in Loop: Header=BB4_6139 Depth=2
	v_and_b32_e32 v28, 0x7f, v2
	v_cmp_ne_u32_e32 vcc, s39, v28
	v_mov_b32_e32 v22, 0x7f800001
	s_and_saveexec_b64 s[88:89], vcc
	s_cbranch_execz .LBB4_7044
; %bb.7043:                             ;   in Loop: Header=BB4_6139 Depth=2
	v_and_b32_e32 v22, 7, v16
	v_lshrrev_b32_e32 v32, 3, v28
	v_cmp_gt_u32_e32 vcc, 8, v28
	v_ffbh_u32_e32 v28, v22
	v_min_u32_e32 v34, 32, v28
	v_subrev_u32_e32 v28, 28, v34
	v_lshlrev_b64 v[28:29], v28, v[16:17]
	v_sub_u32_e32 v16, 29, v34
	v_and_b32_e32 v28, 7, v28
	v_cndmask_b32_e32 v16, v32, v16, vcc
	v_cndmask_b32_e32 v22, v22, v28, vcc
	v_lshlrev_b32_e32 v2, 24, v2
	v_lshlrev_b32_e32 v22, 20, v22
	v_and_b32_e32 v2, 0x80000000, v2
	v_lshl_add_u32 v16, v16, 23, v58
	v_or3_b32 v22, v2, v16, v22
.LBB4_7044:                             ;   in Loop: Header=BB4_6139 Depth=2
	s_or_b64 exec, exec, s[88:89]
.LBB4_7045:                             ;   in Loop: Header=BB4_6139 Depth=2
	s_or_b64 exec, exec, s[78:79]
.LBB4_7046:                             ;   in Loop: Header=BB4_6139 Depth=2
	s_or_b64 exec, exec, s[18:19]
	v_and_b32_e32 v16, 0xff, v6
	v_cmp_ne_u16_e32 vcc, 0, v16
	s_and_saveexec_b64 s[18:19], vcc
	s_cbranch_execz .LBB4_7052
; %bb.7047:                             ;   in Loop: Header=BB4_6139 Depth=2
	v_cmp_ne_u16_e32 vcc, s50, v16
	v_bfrev_b32_e32 v17, 1
	s_and_saveexec_b64 s[78:79], vcc
	s_cbranch_execz .LBB4_7051
; %bb.7048:                             ;   in Loop: Header=BB4_6139 Depth=2
	v_and_b32_e32 v2, 0x7f, v6
	v_cmp_ne_u32_e32 vcc, s39, v2
	v_mov_b32_e32 v17, 0x7f800001
	s_and_saveexec_b64 s[88:89], vcc
	s_cbranch_execz .LBB4_7050
; %bb.7049:                             ;   in Loop: Header=BB4_6139 Depth=2
	v_and_b32_e32 v28, 7, v16
	v_lshrrev_b32_e32 v29, 3, v2
	v_cmp_gt_u32_e32 vcc, 8, v2
	v_ffbh_u32_e32 v2, v28
	v_min_u32_e32 v2, 32, v2
	v_subrev_u32_e32 v17, 28, v2
	v_lshlrev_b64 v[16:17], v17, v[16:17]
	v_sub_u32_e32 v2, 29, v2
	v_and_b32_e32 v16, 7, v16
	v_cndmask_b32_e32 v2, v29, v2, vcc
	v_cndmask_b32_e32 v16, v28, v16, vcc
	v_lshlrev_b32_e32 v6, 24, v6
	v_lshlrev_b32_e32 v16, 20, v16
	v_and_b32_e32 v6, 0x80000000, v6
	v_lshl_add_u32 v2, v2, 23, v58
	v_or3_b32 v17, v6, v2, v16
.LBB4_7050:                             ;   in Loop: Header=BB4_6139 Depth=2
	s_or_b64 exec, exec, s[88:89]
.LBB4_7051:                             ;   in Loop: Header=BB4_6139 Depth=2
	s_or_b64 exec, exec, s[78:79]
.LBB4_7052:                             ;   in Loop: Header=BB4_6139 Depth=2
	s_or_b64 exec, exec, s[18:19]
	v_add_f32_e32 v16, v22, v17
	v_and_b32_e32 v34, 0x7f800000, v16
	v_cmp_ne_u64_e32 vcc, s[46:47], v[34:35]
                                        ; implicit-def: $vgpr2
	s_and_saveexec_b64 s[18:19], vcc
	s_xor_b64 s[78:79], exec, s[18:19]
	s_cbranch_execz .LBB4_7070
; %bb.7053:                             ;   in Loop: Header=BB4_6139 Depth=2
	v_and_b32_e32 v34, 0x7fffffff, v16
	v_cmp_gt_u64_e32 vcc, s[56:57], v[34:35]
	v_and_b32_sdwa v6, v16, s50 dst_sel:DWORD dst_unused:UNUSED_PAD src0_sel:BYTE_3 src1_sel:DWORD
                                        ; implicit-def: $vgpr2
	s_and_saveexec_b64 s[18:19], vcc
	s_xor_b64 s[88:89], exec, s[18:19]
	s_cbranch_execz .LBB4_7067
; %bb.7054:                             ;   in Loop: Header=BB4_6139 Depth=2
	v_cmp_ne_u32_e32 vcc, 0, v16
	v_mov_b32_e32 v2, 0
	s_and_saveexec_b64 s[90:91], vcc
	s_cbranch_execz .LBB4_7066
; %bb.7055:                             ;   in Loop: Header=BB4_6139 Depth=2
	v_bfe_u32 v2, v16, 23, 8
	v_and_b32_e32 v17, 0x7fffff, v16
	v_cmp_gt_u32_e64 s[18:19], s51, v2
	v_sub_u32_e32 v16, 0x79, v2
	v_cmp_eq_u32_e32 vcc, 0, v2
	v_cndmask_b32_e64 v16, 0, v16, s[18:19]
	v_cndmask_b32_e32 v22, v16, v59, vcc
	v_or_b32_e32 v28, 0x800000, v17
	v_add_u32_e32 v16, 20, v22
	v_cndmask_b32_e32 v34, v28, v17, vcc
	v_lshlrev_b64 v[16:17], v16, -1
	v_add_u32_e32 v28, 19, v22
	v_lshlrev_b64 v[28:29], v28, 1
	v_bfi_b32 v17, v17, 0, 0
	v_bfi_b32 v16, v16, 0, v34
	v_cmp_eq_u64_e64 s[18:19], v[16:17], v[28:29]
	v_lshrrev_b64 v[16:17], v22, v[34:35]
	v_mov_b32_e32 v49, v17
	v_mov_b32_e32 v48, v16
	s_and_saveexec_b64 s[92:93], s[18:19]
; %bb.7056:                             ;   in Loop: Header=BB4_6139 Depth=2
	v_bfe_u32 v17, v16, 20, 1
	v_add_co_u32_e64 v17, s[18:19], v16, v17
	v_add_co_u32_e64 v48, s[18:19], -1, v17
; %bb.7057:                             ;   in Loop: Header=BB4_6139 Depth=2
	s_or_b64 exec, exec, s[92:93]
	v_add_u32_e32 v2, 0xffffff81, v2
	v_cndmask_b32_e32 v2, v2, v60, vcc
	v_lshrrev_b32_e32 v17, 23, v16
	v_add3_u32 v28, v22, v2, v17
	v_add_u32_e32 v2, 6, v28
	v_and_b32_e32 v17, 0xfffff, v48
	v_add_u32_e32 v34, v17, v16
	v_cmp_ne_u32_e32 vcc, 0, v2
                                        ; implicit-def: $vgpr16_vgpr17
                                        ; implicit-def: $vgpr22
	s_and_saveexec_b64 s[18:19], vcc
	s_xor_b64 s[18:19], exec, s[18:19]
; %bb.7058:                             ;   in Loop: Header=BB4_6139 Depth=2
	v_cmp_lt_u64_e32 vcc, s[58:59], v[34:35]
	v_add_u32_e32 v16, 7, v28
	v_cndmask_b32_e32 v22, v2, v16, vcc
	v_cndmask_b32_e64 v2, 0, 1, vcc
	v_lshrrev_b64 v[16:17], v2, v[34:35]
; %bb.7059:                             ;   in Loop: Header=BB4_6139 Depth=2
	s_andn2_saveexec_b64 s[18:19], s[18:19]
; %bb.7060:                             ;   in Loop: Header=BB4_6139 Depth=2
	v_mov_b32_e32 v16, v34
	v_bfe_u32 v22, v34, 23, 1
	v_mov_b32_e32 v17, v35
; %bb.7061:                             ;   in Loop: Header=BB4_6139 Depth=2
	s_or_b64 exec, exec, s[18:19]
	v_lshrrev_b64 v[16:17], 20, v[16:17]
	v_cmp_gt_i32_e32 vcc, 16, v22
	v_cndmask_b32_e32 v17, 0, v17, vcc
	v_cndmask_b32_e32 v16, 7, v16, vcc
	v_cmp_ne_u64_e32 vcc, 0, v[16:17]
	v_cmp_ne_u32_e64 s[18:19], 0, v22
	s_or_b64 s[18:19], s[18:19], vcc
                                        ; implicit-def: $vgpr2
	s_and_saveexec_b64 s[92:93], s[18:19]
	s_xor_b64 s[18:19], exec, s[92:93]
; %bb.7062:                             ;   in Loop: Header=BB4_6139 Depth=2
	v_min_i32_e32 v2, 15, v22
	v_lshl_or_b32 v2, v2, 3, v6
	v_and_or_b32 v2, v16, 7, v2
                                        ; implicit-def: $vgpr6
; %bb.7063:                             ;   in Loop: Header=BB4_6139 Depth=2
	s_andn2_saveexec_b64 s[18:19], s[18:19]
; %bb.7064:                             ;   in Loop: Header=BB4_6139 Depth=2
	v_mov_b32_e32 v2, v6
; %bb.7065:                             ;   in Loop: Header=BB4_6139 Depth=2
	s_or_b64 exec, exec, s[18:19]
.LBB4_7066:                             ;   in Loop: Header=BB4_6139 Depth=2
	s_or_b64 exec, exec, s[90:91]
                                        ; implicit-def: $vgpr6
.LBB4_7067:                             ;   in Loop: Header=BB4_6139 Depth=2
	s_andn2_saveexec_b64 s[18:19], s[88:89]
; %bb.7068:                             ;   in Loop: Header=BB4_6139 Depth=2
	v_or_b32_e32 v2, 0x7e, v6
; %bb.7069:                             ;   in Loop: Header=BB4_6139 Depth=2
	s_or_b64 exec, exec, s[18:19]
                                        ; implicit-def: $vgpr16
.LBB4_7070:                             ;   in Loop: Header=BB4_6139 Depth=2
	s_andn2_saveexec_b64 s[18:19], s[78:79]
	s_cbranch_execz .LBB4_6138
; %bb.7071:                             ;   in Loop: Header=BB4_6139 Depth=2
	v_or_b32_sdwa v2, v16, s39 dst_sel:DWORD dst_unused:UNUSED_PAD src0_sel:BYTE_3 src1_sel:DWORD
	s_branch .LBB4_6138
.LBB4_7072:                             ;   in Loop: Header=BB4_3637 Depth=1
	s_or_b64 exec, exec, s[76:77]
.LBB4_7073:                             ;   in Loop: Header=BB4_3637 Depth=1
	s_or_b64 exec, exec, s[74:75]
	v_and_b32_e32 v2, 0xfffffc00, v1
	v_cmp_ne_u32_e32 vcc, v1, v2
	s_and_b64 exec, exec, vcc
	s_cbranch_execz .LBB4_7140
; %bb.7074:                             ;   in Loop: Header=BB4_3637 Depth=1
	v_lshlrev_b32_e32 v4, 6, v4
	v_sub_u32_e32 v3, v3, v4
	v_lshlrev_b32_e32 v4, 6, v5
	v_sub_u32_e32 v3, v3, v4
	v_and_b32_e32 v1, 0x3ff, v1
	v_sub_u32_e32 v1, v1, v3
	v_cmp_lt_i32_e32 vcc, 0, v1
	s_and_b64 exec, exec, vcc
	s_cbranch_execz .LBB4_7140
; %bb.7075:                             ;   in Loop: Header=BB4_3637 Depth=1
	s_trap 2
	ds_read_b128 v[4:7], v0
	v_add3_u32 v0, v2, v0, v3
	ds_read_b64 v[2:3], v0
	v_ashrrev_i32_e32 v8, 31, v0
	s_mov_b64 s[74:75], 0
	s_waitcnt lgkmcnt(0)
	v_add_co_u32_e32 v10, vcc, v4, v0
	v_addc_co_u32_e32 v11, vcc, v5, v8, vcc
	v_add_co_u32_e32 v12, vcc, v6, v0
	v_addc_co_u32_e32 v13, vcc, v7, v8, vcc
	v_add_co_u32_e32 v14, vcc, v2, v0
	v_addc_co_u32_e32 v15, vcc, v3, v8, vcc
	s_branch .LBB4_7077
.LBB4_7076:                             ;   in Loop: Header=BB4_7077 Depth=2
	s_or_b64 exec, exec, s[18:19]
	v_add_co_u32_e32 v10, vcc, v10, v56
	v_addc_co_u32_e32 v11, vcc, 0, v11, vcc
	v_add_co_u32_e32 v12, vcc, v12, v56
	v_addc_co_u32_e32 v13, vcc, 0, v13, vcc
	v_sub_u32_e32 v1, v1, v56
	v_cmp_gt_i32_e32 vcc, 1, v1
	flat_store_byte v[14:15], v2 glc slc
	s_or_b64 s[74:75], vcc, s[74:75]
	v_add_co_u32_e32 v14, vcc, v14, v56
	v_addc_co_u32_e32 v15, vcc, 0, v15, vcc
	s_andn2_b64 exec, exec, s[74:75]
	s_cbranch_execz .LBB4_7140
.LBB4_7077:                             ;   Parent Loop BB4_3637 Depth=1
                                        ; =>  This Inner Loop Header: Depth=2
	s_trap 2
	ds_read_b64 v[16:17], v0
	s_waitcnt lgkmcnt(0)
	v_cmp_eq_u32_sdwa s[76:77], v16, v35 src0_sel:BYTE_0 src1_sel:DWORD
	v_readfirstlane_b32 s18, v16
	s_and_b64 vcc, exec, s[76:77]
	v_readfirstlane_b32 s19, v17
	s_cbranch_vccnz .LBB4_7081
; %bb.7078:                             ;   in Loop: Header=BB4_7077 Depth=2
	v_cmp_eq_u32_sdwa s[76:77], v16, s50 src0_sel:BYTE_0 src1_sel:DWORD
	s_and_b64 vcc, exec, s[76:77]
	s_brev_b32 s88, 1
	s_cbranch_vccnz .LBB4_7082
; %bb.7079:                             ;   in Loop: Header=BB4_7077 Depth=2
	s_and_b32 s76, s18, 0x7f
	s_cmpk_eq_i32 s76, 0x7f
	s_mov_b32 s88, 0x7f800001
	s_cbranch_scc1 .LBB4_7082
; %bb.7080:                             ;   in Loop: Header=BB4_7077 Depth=2
	s_and_b32 s77, s18, 7
	s_flbit_i32_b32 s77, s77
	s_min_u32 s77, s77, 32
	s_lshr_b32 s78, s76, 3
	s_sub_i32 s79, s77, 28
	s_sub_i32 s77, 29, s77
	s_cmp_lt_u32 s76, 8
	s_cselect_b32 s76, s79, 0
	s_cselect_b32 s78, s77, s78
	s_lshl_b64 s[76:77], s[18:19], s76
	s_lshl_b32 s19, s76, 20
	s_lshl_b32 s18, s18, 24
	;; [unrolled: 1-line block ×3, first 2 shown]
	s_and_b32 s18, s18, 0x80000000
	s_add_i32 s76, s76, 0x3c000000
	s_and_b32 s19, s19, 0x700000
	s_or_b32 s18, s18, s76
	s_or_b32 s88, s18, s19
	s_branch .LBB4_7082
.LBB4_7081:                             ;   in Loop: Header=BB4_7077 Depth=2
	s_mov_b32 s88, 0
.LBB4_7082:                             ;   in Loop: Header=BB4_7077 Depth=2
	flat_load_ubyte v0, v[10:11] glc slc
	v_mov_b32_e32 v2, 0
	s_waitcnt vmcnt(0) lgkmcnt(0)
	v_cmp_ne_u16_e32 vcc, 0, v0
	s_and_saveexec_b64 s[18:19], vcc
	s_cbranch_execz .LBB4_7088
; %bb.7083:                             ;   in Loop: Header=BB4_7077 Depth=2
	v_cmp_ne_u16_e32 vcc, s50, v0
	v_bfrev_b32_e32 v2, 1
	s_and_saveexec_b64 s[76:77], vcc
	s_cbranch_execz .LBB4_7087
; %bb.7084:                             ;   in Loop: Header=BB4_7077 Depth=2
	v_and_b32_e32 v16, 0xffff, v0
	v_and_b32_e32 v3, 0x7f, v16
	v_cmp_ne_u32_e32 vcc, s39, v3
	v_mov_b32_e32 v2, 0x7f800001
	s_and_saveexec_b64 s[78:79], vcc
	s_cbranch_execz .LBB4_7086
; %bb.7085:                             ;   in Loop: Header=BB4_7077 Depth=2
	v_and_b32_e32 v2, 7, v16
	v_ffbh_u32_e32 v4, v2
	v_min_u32_e32 v7, 32, v4
	v_subrev_u32_e32 v4, 28, v7
	v_lshlrev_b64 v[4:5], v4, v[16:17]
	v_lshrrev_b32_e32 v6, 3, v3
	v_sub_u32_e32 v5, 29, v7
	v_and_b32_e32 v4, 7, v4
	v_cmp_gt_u32_e32 vcc, 8, v3
	v_cndmask_b32_e32 v3, v6, v5, vcc
	v_cndmask_b32_e32 v2, v2, v4, vcc
	v_lshlrev_b32_e32 v0, 24, v0
	v_lshlrev_b32_e32 v2, 20, v2
	v_and_b32_e32 v0, 0x80000000, v0
	v_lshl_add_u32 v3, v3, 23, v58
	v_or3_b32 v2, v0, v3, v2
.LBB4_7086:                             ;   in Loop: Header=BB4_7077 Depth=2
	s_or_b64 exec, exec, s[78:79]
.LBB4_7087:                             ;   in Loop: Header=BB4_7077 Depth=2
	s_or_b64 exec, exec, s[76:77]
.LBB4_7088:                             ;   in Loop: Header=BB4_7077 Depth=2
	s_or_b64 exec, exec, s[18:19]
	v_mul_f32_e32 v3, s88, v2
	v_and_b32_e32 v34, 0x7f800000, v3
	v_cmp_ne_u64_e32 vcc, s[46:47], v[34:35]
                                        ; implicit-def: $vgpr2
	s_and_saveexec_b64 s[18:19], vcc
	s_xor_b64 s[76:77], exec, s[18:19]
	s_cbranch_execz .LBB4_7106
; %bb.7089:                             ;   in Loop: Header=BB4_7077 Depth=2
	v_and_b32_e32 v34, 0x7fffffff, v3
	v_cmp_gt_u64_e32 vcc, s[56:57], v[34:35]
	v_and_b32_sdwa v0, v3, s50 dst_sel:DWORD dst_unused:UNUSED_PAD src0_sel:BYTE_3 src1_sel:DWORD
                                        ; implicit-def: $vgpr2
	s_and_saveexec_b64 s[18:19], vcc
	s_xor_b64 s[78:79], exec, s[18:19]
	s_cbranch_execz .LBB4_7103
; %bb.7090:                             ;   in Loop: Header=BB4_7077 Depth=2
	v_cmp_ne_u32_e32 vcc, 0, v3
	v_mov_b32_e32 v2, 0
	s_and_saveexec_b64 s[88:89], vcc
	s_cbranch_execz .LBB4_7102
; %bb.7091:                             ;   in Loop: Header=BB4_7077 Depth=2
	v_bfe_u32 v2, v3, 23, 8
	v_and_b32_e32 v4, 0x7fffff, v3
	v_cmp_gt_u32_e64 s[18:19], s51, v2
	v_sub_u32_e32 v3, 0x79, v2
	v_cmp_eq_u32_e32 vcc, 0, v2
	v_cndmask_b32_e64 v3, 0, v3, s[18:19]
	v_or_b32_e32 v5, 0x800000, v4
	v_cndmask_b32_e32 v3, v3, v59, vcc
	v_cndmask_b32_e32 v34, v5, v4, vcc
	v_add_u32_e32 v4, 20, v3
	v_lshlrev_b64 v[4:5], v4, -1
	v_add_u32_e32 v6, 19, v3
	v_lshlrev_b64 v[6:7], v6, 1
	v_lshrrev_b64 v[16:17], v3, v[34:35]
	v_bfi_b32 v5, v5, 0, 0
	v_bfi_b32 v4, v4, 0, v34
	v_cmp_eq_u64_e64 s[18:19], v[4:5], v[6:7]
	v_mov_b32_e32 v49, v17
	v_mov_b32_e32 v48, v16
	s_and_saveexec_b64 s[90:91], s[18:19]
; %bb.7092:                             ;   in Loop: Header=BB4_7077 Depth=2
	v_bfe_u32 v4, v16, 20, 1
	v_add_co_u32_e64 v4, s[18:19], v16, v4
	v_add_co_u32_e64 v48, s[18:19], -1, v4
; %bb.7093:                             ;   in Loop: Header=BB4_7077 Depth=2
	s_or_b64 exec, exec, s[90:91]
	v_add_u32_e32 v2, 0xffffff81, v2
	v_cndmask_b32_e32 v2, v2, v60, vcc
	v_lshrrev_b32_e32 v4, 23, v16
	v_add3_u32 v4, v3, v2, v4
	v_add_u32_e32 v2, 6, v4
	v_and_b32_e32 v3, 0xfffff, v48
	v_add_u32_e32 v34, v3, v16
	v_cmp_ne_u32_e32 vcc, 0, v2
                                        ; implicit-def: $vgpr16_vgpr17
                                        ; implicit-def: $vgpr3
	s_and_saveexec_b64 s[18:19], vcc
	s_xor_b64 s[18:19], exec, s[18:19]
; %bb.7094:                             ;   in Loop: Header=BB4_7077 Depth=2
	v_cmp_lt_u64_e32 vcc, s[58:59], v[34:35]
	v_add_u32_e32 v3, 7, v4
	v_cndmask_b32_e32 v3, v2, v3, vcc
	v_cndmask_b32_e64 v2, 0, 1, vcc
	v_lshrrev_b64 v[16:17], v2, v[34:35]
; %bb.7095:                             ;   in Loop: Header=BB4_7077 Depth=2
	s_andn2_saveexec_b64 s[18:19], s[18:19]
; %bb.7096:                             ;   in Loop: Header=BB4_7077 Depth=2
	v_mov_b32_e32 v16, v34
	v_bfe_u32 v3, v34, 23, 1
	v_mov_b32_e32 v17, v35
; %bb.7097:                             ;   in Loop: Header=BB4_7077 Depth=2
	s_or_b64 exec, exec, s[18:19]
	v_lshrrev_b64 v[4:5], 20, v[16:17]
	v_cmp_gt_i32_e32 vcc, 16, v3
	v_cndmask_b32_e32 v17, 0, v5, vcc
	v_cndmask_b32_e32 v16, 7, v4, vcc
	v_cmp_ne_u64_e32 vcc, 0, v[16:17]
	v_cmp_ne_u32_e64 s[18:19], 0, v3
	s_or_b64 s[18:19], s[18:19], vcc
                                        ; implicit-def: $vgpr2
	s_and_saveexec_b64 s[90:91], s[18:19]
	s_xor_b64 s[18:19], exec, s[90:91]
; %bb.7098:                             ;   in Loop: Header=BB4_7077 Depth=2
	v_min_i32_e32 v2, 15, v3
	v_lshl_or_b32 v0, v2, 3, v0
	v_and_or_b32 v2, v16, 7, v0
                                        ; implicit-def: $vgpr0
; %bb.7099:                             ;   in Loop: Header=BB4_7077 Depth=2
	s_andn2_saveexec_b64 s[18:19], s[18:19]
; %bb.7100:                             ;   in Loop: Header=BB4_7077 Depth=2
	v_mov_b32_e32 v2, v0
; %bb.7101:                             ;   in Loop: Header=BB4_7077 Depth=2
	s_or_b64 exec, exec, s[18:19]
.LBB4_7102:                             ;   in Loop: Header=BB4_7077 Depth=2
	s_or_b64 exec, exec, s[88:89]
                                        ; implicit-def: $vgpr0
.LBB4_7103:                             ;   in Loop: Header=BB4_7077 Depth=2
	s_andn2_saveexec_b64 s[18:19], s[78:79]
; %bb.7104:                             ;   in Loop: Header=BB4_7077 Depth=2
	v_or_b32_e32 v2, 0x7e, v0
; %bb.7105:                             ;   in Loop: Header=BB4_7077 Depth=2
	s_or_b64 exec, exec, s[18:19]
                                        ; implicit-def: $vgpr3
.LBB4_7106:                             ;   in Loop: Header=BB4_7077 Depth=2
	s_andn2_saveexec_b64 s[18:19], s[76:77]
; %bb.7107:                             ;   in Loop: Header=BB4_7077 Depth=2
	v_or_b32_sdwa v2, v3, s39 dst_sel:DWORD dst_unused:UNUSED_PAD src0_sel:BYTE_3 src1_sel:DWORD
; %bb.7108:                             ;   in Loop: Header=BB4_7077 Depth=2
	s_or_b64 exec, exec, s[18:19]
	flat_load_ubyte v3, v[12:13] glc slc
	v_and_b32_e32 v16, 0xff, v2
	v_cmp_ne_u16_e32 vcc, 0, v16
	v_mov_b32_e32 v0, 0
	v_mov_b32_e32 v4, 0
	s_and_saveexec_b64 s[18:19], vcc
	s_cbranch_execz .LBB4_7114
; %bb.7109:                             ;   in Loop: Header=BB4_7077 Depth=2
	v_cmp_ne_u16_e32 vcc, s50, v16
	v_bfrev_b32_e32 v4, 1
	s_and_saveexec_b64 s[76:77], vcc
	s_cbranch_execz .LBB4_7113
; %bb.7110:                             ;   in Loop: Header=BB4_7077 Depth=2
	v_and_b32_e32 v5, 0x7f, v2
	v_cmp_ne_u32_e32 vcc, s39, v5
	v_mov_b32_e32 v4, 0x7f800001
	s_and_saveexec_b64 s[78:79], vcc
	s_cbranch_execz .LBB4_7112
; %bb.7111:                             ;   in Loop: Header=BB4_7077 Depth=2
	v_and_b32_e32 v6, 7, v16
	v_ffbh_u32_e32 v4, v6
	v_min_u32_e32 v8, 32, v4
	v_subrev_u32_e32 v4, 28, v8
	v_lshrrev_b32_e32 v7, 3, v5
	v_cmp_gt_u32_e32 vcc, 8, v5
	v_lshlrev_b64 v[4:5], v4, v[16:17]
	v_sub_u32_e32 v5, 29, v8
	v_and_b32_e32 v4, 7, v4
	v_cndmask_b32_e32 v5, v7, v5, vcc
	v_cndmask_b32_e32 v4, v6, v4, vcc
	v_lshlrev_b32_e32 v2, 24, v2
	v_lshlrev_b32_e32 v4, 20, v4
	v_and_b32_e32 v2, 0x80000000, v2
	v_lshl_add_u32 v5, v5, 23, v58
	v_or3_b32 v4, v2, v5, v4
.LBB4_7112:                             ;   in Loop: Header=BB4_7077 Depth=2
	s_or_b64 exec, exec, s[78:79]
.LBB4_7113:                             ;   in Loop: Header=BB4_7077 Depth=2
	s_or_b64 exec, exec, s[76:77]
.LBB4_7114:                             ;   in Loop: Header=BB4_7077 Depth=2
	s_or_b64 exec, exec, s[18:19]
	s_waitcnt vmcnt(0) lgkmcnt(0)
	v_and_b32_e32 v16, 0xff, v3
	v_cmp_ne_u16_e32 vcc, 0, v16
	s_and_saveexec_b64 s[18:19], vcc
	s_cbranch_execz .LBB4_7120
; %bb.7115:                             ;   in Loop: Header=BB4_7077 Depth=2
	v_cmp_ne_u16_e32 vcc, s50, v16
	v_bfrev_b32_e32 v0, 1
	s_and_saveexec_b64 s[76:77], vcc
	s_cbranch_execz .LBB4_7119
; %bb.7116:                             ;   in Loop: Header=BB4_7077 Depth=2
	v_and_b32_e32 v2, 0x7f, v3
	v_cmp_ne_u32_e32 vcc, s39, v2
	v_mov_b32_e32 v0, 0x7f800001
	s_and_saveexec_b64 s[78:79], vcc
	s_cbranch_execz .LBB4_7118
; %bb.7117:                             ;   in Loop: Header=BB4_7077 Depth=2
	v_and_b32_e32 v0, 7, v16
	v_lshrrev_b32_e32 v5, 3, v2
	v_cmp_gt_u32_e32 vcc, 8, v2
	v_ffbh_u32_e32 v2, v0
	v_min_u32_e32 v7, 32, v2
	v_lshlrev_b32_e32 v3, 24, v3
	v_subrev_u32_e32 v2, 28, v7
	v_and_b32_e32 v6, 0x80000000, v3
	v_lshlrev_b64 v[2:3], v2, v[16:17]
	v_sub_u32_e32 v3, 29, v7
	v_and_b32_e32 v2, 7, v2
	v_cndmask_b32_e32 v3, v5, v3, vcc
	v_cndmask_b32_e32 v0, v0, v2, vcc
	v_lshlrev_b32_e32 v0, 20, v0
	v_lshl_add_u32 v2, v3, 23, v58
	v_or3_b32 v0, v6, v2, v0
.LBB4_7118:                             ;   in Loop: Header=BB4_7077 Depth=2
	s_or_b64 exec, exec, s[78:79]
.LBB4_7119:                             ;   in Loop: Header=BB4_7077 Depth=2
	s_or_b64 exec, exec, s[76:77]
.LBB4_7120:                             ;   in Loop: Header=BB4_7077 Depth=2
	s_or_b64 exec, exec, s[18:19]
	v_add_f32_e32 v3, v4, v0
	v_and_b32_e32 v34, 0x7f800000, v3
	v_cmp_ne_u64_e32 vcc, s[46:47], v[34:35]
                                        ; implicit-def: $vgpr2
	s_and_saveexec_b64 s[18:19], vcc
	s_xor_b64 s[76:77], exec, s[18:19]
	s_cbranch_execz .LBB4_7138
; %bb.7121:                             ;   in Loop: Header=BB4_7077 Depth=2
	v_and_b32_e32 v34, 0x7fffffff, v3
	v_cmp_gt_u64_e32 vcc, s[56:57], v[34:35]
	v_and_b32_sdwa v0, v3, s50 dst_sel:DWORD dst_unused:UNUSED_PAD src0_sel:BYTE_3 src1_sel:DWORD
                                        ; implicit-def: $vgpr2
	s_and_saveexec_b64 s[18:19], vcc
	s_xor_b64 s[78:79], exec, s[18:19]
	s_cbranch_execz .LBB4_7135
; %bb.7122:                             ;   in Loop: Header=BB4_7077 Depth=2
	v_cmp_ne_u32_e32 vcc, 0, v3
	v_mov_b32_e32 v2, 0
	s_and_saveexec_b64 s[88:89], vcc
	s_cbranch_execz .LBB4_7134
; %bb.7123:                             ;   in Loop: Header=BB4_7077 Depth=2
	v_bfe_u32 v2, v3, 23, 8
	v_and_b32_e32 v4, 0x7fffff, v3
	v_cmp_gt_u32_e64 s[18:19], s51, v2
	v_sub_u32_e32 v3, 0x79, v2
	v_cmp_eq_u32_e32 vcc, 0, v2
	v_cndmask_b32_e64 v3, 0, v3, s[18:19]
	v_or_b32_e32 v5, 0x800000, v4
	v_cndmask_b32_e32 v3, v3, v59, vcc
	v_cndmask_b32_e32 v34, v5, v4, vcc
	v_add_u32_e32 v4, 20, v3
	v_lshlrev_b64 v[4:5], v4, -1
	v_add_u32_e32 v6, 19, v3
	v_lshlrev_b64 v[6:7], v6, 1
	v_lshrrev_b64 v[16:17], v3, v[34:35]
	v_bfi_b32 v5, v5, 0, 0
	v_bfi_b32 v4, v4, 0, v34
	v_cmp_eq_u64_e64 s[18:19], v[4:5], v[6:7]
	v_mov_b32_e32 v49, v17
	v_mov_b32_e32 v48, v16
	s_and_saveexec_b64 s[90:91], s[18:19]
; %bb.7124:                             ;   in Loop: Header=BB4_7077 Depth=2
	v_bfe_u32 v4, v16, 20, 1
	v_add_co_u32_e64 v4, s[18:19], v16, v4
	v_add_co_u32_e64 v48, s[18:19], -1, v4
; %bb.7125:                             ;   in Loop: Header=BB4_7077 Depth=2
	s_or_b64 exec, exec, s[90:91]
	v_add_u32_e32 v2, 0xffffff81, v2
	v_cndmask_b32_e32 v2, v2, v60, vcc
	v_lshrrev_b32_e32 v4, 23, v16
	v_add3_u32 v4, v3, v2, v4
	v_add_u32_e32 v2, 6, v4
	v_and_b32_e32 v3, 0xfffff, v48
	v_add_u32_e32 v34, v3, v16
	v_cmp_ne_u32_e32 vcc, 0, v2
                                        ; implicit-def: $vgpr16_vgpr17
                                        ; implicit-def: $vgpr3
	s_and_saveexec_b64 s[18:19], vcc
	s_xor_b64 s[18:19], exec, s[18:19]
; %bb.7126:                             ;   in Loop: Header=BB4_7077 Depth=2
	v_cmp_lt_u64_e32 vcc, s[58:59], v[34:35]
	v_add_u32_e32 v3, 7, v4
	v_cndmask_b32_e32 v3, v2, v3, vcc
	v_cndmask_b32_e64 v2, 0, 1, vcc
	v_lshrrev_b64 v[16:17], v2, v[34:35]
; %bb.7127:                             ;   in Loop: Header=BB4_7077 Depth=2
	s_andn2_saveexec_b64 s[18:19], s[18:19]
; %bb.7128:                             ;   in Loop: Header=BB4_7077 Depth=2
	v_mov_b32_e32 v16, v34
	v_bfe_u32 v3, v34, 23, 1
	v_mov_b32_e32 v17, v35
; %bb.7129:                             ;   in Loop: Header=BB4_7077 Depth=2
	s_or_b64 exec, exec, s[18:19]
	v_lshrrev_b64 v[4:5], 20, v[16:17]
	v_cmp_gt_i32_e32 vcc, 16, v3
	v_cndmask_b32_e32 v17, 0, v5, vcc
	v_cndmask_b32_e32 v16, 7, v4, vcc
	v_cmp_ne_u64_e32 vcc, 0, v[16:17]
	v_cmp_ne_u32_e64 s[18:19], 0, v3
	s_or_b64 s[18:19], s[18:19], vcc
                                        ; implicit-def: $vgpr2
	s_and_saveexec_b64 s[90:91], s[18:19]
	s_xor_b64 s[18:19], exec, s[90:91]
; %bb.7130:                             ;   in Loop: Header=BB4_7077 Depth=2
	v_min_i32_e32 v2, 15, v3
	v_lshl_or_b32 v0, v2, 3, v0
	v_and_or_b32 v2, v16, 7, v0
                                        ; implicit-def: $vgpr0
; %bb.7131:                             ;   in Loop: Header=BB4_7077 Depth=2
	s_andn2_saveexec_b64 s[18:19], s[18:19]
; %bb.7132:                             ;   in Loop: Header=BB4_7077 Depth=2
	v_mov_b32_e32 v2, v0
; %bb.7133:                             ;   in Loop: Header=BB4_7077 Depth=2
	s_or_b64 exec, exec, s[18:19]
.LBB4_7134:                             ;   in Loop: Header=BB4_7077 Depth=2
	s_or_b64 exec, exec, s[88:89]
                                        ; implicit-def: $vgpr0
.LBB4_7135:                             ;   in Loop: Header=BB4_7077 Depth=2
	s_andn2_saveexec_b64 s[18:19], s[78:79]
; %bb.7136:                             ;   in Loop: Header=BB4_7077 Depth=2
	v_or_b32_e32 v2, 0x7e, v0
; %bb.7137:                             ;   in Loop: Header=BB4_7077 Depth=2
	s_or_b64 exec, exec, s[18:19]
                                        ; implicit-def: $vgpr3
.LBB4_7138:                             ;   in Loop: Header=BB4_7077 Depth=2
	s_andn2_saveexec_b64 s[18:19], s[76:77]
	s_cbranch_execz .LBB4_7076
; %bb.7139:                             ;   in Loop: Header=BB4_7077 Depth=2
	v_or_b32_sdwa v2, v3, s39 dst_sel:DWORD dst_unused:UNUSED_PAD src0_sel:BYTE_3 src1_sel:DWORD
	s_branch .LBB4_7076
.LBB4_7140:                             ;   in Loop: Header=BB4_3637 Depth=1
	s_or_b64 exec, exec, s[20:21]
	buffer_load_dword v0, off, s[0:3], s33 offset:140 ; 4-byte Folded Reload
	s_waitcnt vmcnt(0)
	v_cmp_ne_u32_e64 s[18:19], 0, v0
	s_and_saveexec_b64 s[20:21], s[10:11]
	s_cbranch_execz .LBB4_7159
.LBB4_7141:                             ;   in Loop: Header=BB4_3637 Depth=1
	s_and_saveexec_b64 s[74:75], s[40:41]
	s_xor_b64 s[74:75], exec, s[74:75]
	s_cbranch_execz .LBB4_7156
; %bb.7142:                             ;   in Loop: Header=BB4_3637 Depth=1
	s_and_saveexec_b64 s[76:77], s[12:13]
	s_cbranch_execz .LBB4_7155
; %bb.7143:                             ;   in Loop: Header=BB4_3637 Depth=1
	s_mov_b64 s[88:89], exec
	v_mbcnt_lo_u32_b32 v0, s88, 0
	v_mbcnt_hi_u32_b32 v0, s89, v0
	v_cmp_eq_u32_e32 vcc, 0, v0
	s_waitcnt vmcnt(0) lgkmcnt(0)
	buffer_wbinvl1_vol
	s_and_saveexec_b64 s[78:79], vcc
	s_cbranch_execz .LBB4_7145
; %bb.7144:                             ;   in Loop: Header=BB4_3637 Depth=1
	s_bcnt1_i32_b64 s88, s[88:89]
	v_mov_b32_e32 v34, s88
	ds_add_u64 v0, v[34:35]
	s_trap 2
.LBB4_7145:                             ;   in Loop: Header=BB4_3637 Depth=1
	s_or_b64 exec, exec, s[78:79]
	s_trap 2
	ds_read_b64 v[0:1], v0
	s_waitcnt lgkmcnt(0)
	buffer_load_dword v2, off, s[0:3], s33 offset:80 ; 4-byte Folded Reload
	buffer_load_dword v3, off, s[0:3], s33 offset:84 ; 4-byte Folded Reload
	s_waitcnt vmcnt(1)
	v_add_co_u32_e32 v2, vcc, v2, v46
	s_waitcnt vmcnt(0)
	v_addc_co_u32_e32 v3, vcc, 0, v3, vcc
	buffer_store_dword v2, off, s[0:3], s33 offset:80 ; 4-byte Folded Spill
	s_nop 0
	buffer_store_dword v3, off, s[0:3], s33 offset:84 ; 4-byte Folded Spill
	v_cmp_lt_u64_e32 vcc, v[0:1], v[2:3]
	s_and_saveexec_b64 s[78:79], vcc
	s_cbranch_execz .LBB4_7154
; %bb.7146:                             ;   in Loop: Header=BB4_3637 Depth=1
	s_mov_b32 s34, 0
	s_mov_b64 s[88:89], 0
                                        ; implicit-def: $sgpr90_sgpr91
                                        ; implicit-def: $sgpr92_sgpr93
	s_branch .LBB4_7148
.LBB4_7147:                             ;   in Loop: Header=BB4_7148 Depth=2
	s_or_b64 exec, exec, s[30:31]
	s_and_b64 s[94:95], exec, vcc
	s_or_b64 s[88:89], s[94:95], s[88:89]
	s_andn2_b64 s[90:91], s[90:91], exec
	s_and_b64 s[94:95], s[92:93], exec
	s_or_b64 s[90:91], s[90:91], s[94:95]
	s_andn2_b64 exec, exec, s[88:89]
	s_cbranch_execz .LBB4_7152
.LBB4_7148:                             ;   Parent Loop BB4_3637 Depth=1
                                        ; =>  This Inner Loop Header: Depth=2
	s_add_i32 s34, s34, 1
	s_cmpk_lg_i32 s34, 0x2710
	s_cselect_b64 s[94:95], -1, 0
	s_and_b64 vcc, exec, s[94:95]
	s_cbranch_vccz .LBB4_7150
; %bb.7149:                             ;   in Loop: Header=BB4_7148 Depth=2
	s_mov_b64 vcc, -1
	s_or_b64 s[92:93], s[92:93], exec
	s_and_saveexec_b64 s[30:31], s[94:95]
	s_cbranch_execz .LBB4_7147
	s_branch .LBB4_7151
.LBB4_7150:                             ;   in Loop: Header=BB4_7148 Depth=2
	s_trap 2
	ds_read_b64 v[0:1], v0
	s_andn2_b64 s[94:95], s[94:95], exec
	s_mov_b32 s34, 0
	s_waitcnt vmcnt(0) lgkmcnt(0)
	flat_load_dword v0, v[0:1] glc
	s_waitcnt vmcnt(0) lgkmcnt(0)
	buffer_wbinvl1_vol
	v_cmp_eq_u32_e32 vcc, 0, v0
	s_and_b64 vcc, vcc, exec
	s_or_b64 s[94:95], s[94:95], vcc
	s_mov_b64 vcc, -1
	s_or_b64 s[92:93], s[92:93], exec
	s_and_saveexec_b64 s[30:31], s[94:95]
	s_cbranch_execz .LBB4_7147
.LBB4_7151:                             ;   in Loop: Header=BB4_7148 Depth=2
	s_sleep 1
	s_trap 2
	ds_read_b64 v[0:1], v0
	s_waitcnt lgkmcnt(0)
	buffer_load_dword v2, off, s[0:3], s33 offset:80 ; 4-byte Folded Reload
	buffer_load_dword v3, off, s[0:3], s33 offset:84 ; 4-byte Folded Reload
	s_andn2_b64 s[92:93], s[92:93], exec
	s_waitcnt vmcnt(0)
	v_cmp_ge_u64_e32 vcc, v[0:1], v[2:3]
	s_orn2_b64 vcc, vcc, exec
	s_branch .LBB4_7147
.LBB4_7152:                             ;   in Loop: Header=BB4_3637 Depth=1
	s_or_b64 exec, exec, s[88:89]
	s_and_saveexec_b64 s[88:89], s[90:91]
	s_xor_b64 s[88:89], exec, s[88:89]
	s_cbranch_execz .LBB4_7154
; %bb.7153:                             ;   in Loop: Header=BB4_3637 Depth=1
	v_mov_b32_e32 v0, 1
	ds_write_b32 v0, v0
	s_trap 2
.LBB4_7154:                             ;   in Loop: Header=BB4_3637 Depth=1
	s_or_b64 exec, exec, s[78:79]
	;;#ASMSTART
	s_wakeup
	;;#ASMEND
.LBB4_7155:                             ;   in Loop: Header=BB4_3637 Depth=1
	s_or_b64 exec, exec, s[76:77]
.LBB4_7156:                             ;   in Loop: Header=BB4_3637 Depth=1
	s_andn2_saveexec_b64 s[74:75], s[74:75]
	s_cbranch_execz .LBB4_7158
; %bb.7157:                             ;   in Loop: Header=BB4_3637 Depth=1
	s_waitcnt vmcnt(0) lgkmcnt(0)
	buffer_wbinvl1_vol
	s_barrier
.LBB4_7158:                             ;   in Loop: Header=BB4_3637 Depth=1
	s_or_b64 exec, exec, s[74:75]
.LBB4_7159:                             ;   in Loop: Header=BB4_3637 Depth=1
	s_or_b64 exec, exec, s[20:21]
	buffer_load_dword v0, off, s[0:3], s33 offset:76 ; 4-byte Folded Reload
	s_waitcnt vmcnt(0)
	v_and_b32_e32 v0, 16, v0
	v_cmp_ne_u32_e32 vcc, 0, v0
	s_and_b64 s[20:21], vcc, s[18:19]
	s_and_saveexec_b64 s[18:19], s[20:21]
	s_cbranch_execz .LBB4_7161
; %bb.7160:                             ;   in Loop: Header=BB4_3637 Depth=1
	s_waitcnt lgkmcnt(0)
	buffer_wbinvl1_vol
.LBB4_7161:                             ;   in Loop: Header=BB4_3637 Depth=1
	s_or_b64 exec, exec, s[18:19]
	buffer_load_dword v0, off, s[0:3], s33 offset:76 ; 4-byte Folded Reload
	s_waitcnt vmcnt(0)
	v_and_b32_e32 v0, 32, v0
	v_cmp_ne_u32_e32 vcc, 0, v0
	s_and_saveexec_b64 s[18:19], vcc
	s_cbranch_execz .LBB4_7163
; %bb.7162:                             ;   in Loop: Header=BB4_3637 Depth=1
	buffer_load_dword v0, off, s[0:3], s33 offset:88 ; 4-byte Folded Reload
	buffer_load_dword v1, off, s[0:3], s33 offset:92 ; 4-byte Folded Reload
	buffer_load_dword v2, off, s[0:3], s33 offset:96 ; 4-byte Folded Reload
	buffer_load_dword v3, off, s[0:3], s33 offset:100 ; 4-byte Folded Reload
	s_waitcnt vmcnt(0)
	v_add_co_u32_e32 v2, vcc, 1, v2
	v_addc_co_u32_e32 v3, vcc, 0, v3, vcc
	buffer_store_dword v0, off, s[0:3], s33 offset:88 ; 4-byte Folded Spill
	s_nop 0
	buffer_store_dword v1, off, s[0:3], s33 offset:92 ; 4-byte Folded Spill
	buffer_store_dword v2, off, s[0:3], s33 offset:96 ; 4-byte Folded Spill
	;; [unrolled: 1-line block ×3, first 2 shown]
	buffer_load_dword v0, off, s[0:3], s33 offset:60 ; 4-byte Folded Reload
	s_nop 0
	buffer_load_dword v1, off, s[0:3], s33 offset:64 ; 4-byte Folded Reload
	s_waitcnt vmcnt(0)
	flat_store_dwordx2 v[0:1], v[2:3]
.LBB4_7163:                             ;   in Loop: Header=BB4_3637 Depth=1
	s_or_b64 exec, exec, s[18:19]
	v_mov_b32_e32 v0, v57
.LBB4_7164:                             ;   in Loop: Header=BB4_3637 Depth=1
	s_or_b64 exec, exec, s[72:73]
	s_and_saveexec_b64 s[20:21], s[62:63]
	s_cbranch_execz .LBB4_3636
; %bb.7165:                             ;   in Loop: Header=BB4_3637 Depth=1
	buffer_load_dword v1, off, s[0:3], s33 offset:76 ; 4-byte Folded Reload
	s_waitcnt vmcnt(0)
	v_and_b32_e32 v1, 4, v1
	v_cmp_ne_u32_e32 vcc, 0, v1
	s_and_saveexec_b64 s[62:63], vcc
	s_cbranch_execz .LBB4_7187
; %bb.7166:                             ;   in Loop: Header=BB4_3637 Depth=1
	buffer_load_dword v1, off, s[0:3], s33 offset:88 ; 4-byte Folded Reload
	buffer_load_dword v2, off, s[0:3], s33 offset:92 ; 4-byte Folded Reload
	;; [unrolled: 1-line block ×6, first 2 shown]
	s_waitcnt vmcnt(0)
	v_add_co_u32_e32 v10, vcc, 1, v3
	v_addc_co_u32_e32 v11, vcc, 0, v4, vcc
	v_cmp_lt_u64_e32 vcc, v[1:2], v[10:11]
	s_and_saveexec_b64 s[72:73], vcc
	s_cbranch_execz .LBB4_7178
; %bb.7167:                             ;   in Loop: Header=BB4_3637 Depth=1
	buffer_load_dword v1, off, s[0:3], s33 offset:76 ; 4-byte Folded Reload
	s_mov_b32 s36, 0
	s_mov_b64 s[74:75], 0
                                        ; implicit-def: $sgpr76_sgpr77
                                        ; implicit-def: $sgpr78_sgpr79
                                        ; implicit-def: $sgpr88_sgpr89
	s_waitcnt vmcnt(0)
	v_and_b32_e32 v1, 64, v1
	v_cmp_eq_u32_e32 vcc, 0, v1
	s_branch .LBB4_7170
.LBB4_7168:                             ;   in Loop: Header=BB4_7170 Depth=2
	s_or_b64 exec, exec, s[34:35]
	s_andn2_b64 s[18:19], s[88:89], exec
	s_and_b64 s[88:89], s[94:95], exec
	s_or_b64 s[88:89], s[18:19], s[88:89]
	s_andn2_b64 s[18:19], s[78:79], exec
	s_and_b64 s[78:79], s[92:93], exec
	s_or_b64 s[78:79], s[18:19], s[78:79]
.LBB4_7169:                             ;   in Loop: Header=BB4_7170 Depth=2
	s_or_b64 exec, exec, s[90:91]
	s_and_b64 s[18:19], exec, s[78:79]
	s_or_b64 s[74:75], s[18:19], s[74:75]
	s_andn2_b64 s[18:19], s[76:77], exec
	s_and_b64 s[76:77], s[88:89], exec
	s_or_b64 s[76:77], s[18:19], s[76:77]
	s_andn2_b64 exec, exec, s[74:75]
	s_cbranch_execz .LBB4_7175
.LBB4_7170:                             ;   Parent Loop BB4_3637 Depth=1
                                        ; =>  This Inner Loop Header: Depth=2
	s_sleep 1
	buffer_load_dword v1, off, s[0:3], s33 offset:60 ; 4-byte Folded Reload
	buffer_load_dword v2, off, s[0:3], s33 offset:64 ; 4-byte Folded Reload
	s_or_b64 s[88:89], s[88:89], exec
	s_or_b64 s[78:79], s[78:79], exec
	s_waitcnt vmcnt(0)
	flat_load_dwordx2 v[1:2], v[1:2] glc
	s_waitcnt vmcnt(0) lgkmcnt(0)
	buffer_store_dword v1, off, s[0:3], s33 offset:68 ; 4-byte Folded Spill
	s_nop 0
	buffer_store_dword v2, off, s[0:3], s33 offset:72 ; 4-byte Folded Spill
                                        ; implicit-def: $vgpr1
	s_and_saveexec_b64 s[90:91], vcc
	s_cbranch_execz .LBB4_7169
; %bb.7171:                             ;   in Loop: Header=BB4_7170 Depth=2
	s_cmpk_lt_i32 s36, 0x270f
	s_cselect_b64 s[30:31], -1, 0
	s_cmpk_gt_i32 s36, 0x270e
	s_mov_b64 s[92:93], -1
	s_cbranch_scc0 .LBB4_7173
; %bb.7172:                             ;   in Loop: Header=BB4_7170 Depth=2
	s_trap 2
	ds_read_b64 v[1:2], v0
	s_andn2_b64 s[30:31], s[30:31], exec
	s_mov_b32 s36, 0
	s_mov_b64 s[94:95], 0
	s_waitcnt vmcnt(0) lgkmcnt(0)
	flat_load_dword v1, v[1:2] glc
	s_waitcnt vmcnt(0) lgkmcnt(0)
	buffer_wbinvl1_vol
	v_cmp_eq_u32_e64 s[18:19], 0, v1
	s_and_b64 s[18:19], s[18:19], exec
	s_or_b64 s[30:31], s[30:31], s[18:19]
	s_and_saveexec_b64 s[34:35], s[30:31]
	s_cbranch_execz .LBB4_7168
	s_branch .LBB4_7174
.LBB4_7173:                             ;   in Loop: Header=BB4_7170 Depth=2
	s_add_i32 s36, s36, 1
	s_mov_b64 s[94:95], -1
                                        ; implicit-def: $vgpr1
	s_and_saveexec_b64 s[34:35], s[30:31]
	s_cbranch_execz .LBB4_7168
.LBB4_7174:                             ;   in Loop: Header=BB4_7170 Depth=2
	buffer_load_dword v2, off, s[0:3], s33 offset:68 ; 4-byte Folded Reload
	buffer_load_dword v3, off, s[0:3], s33 offset:72 ; 4-byte Folded Reload
	s_or_b64 s[94:95], s[94:95], exec
	s_waitcnt vmcnt(0)
	v_cmp_ge_u64_e64 s[18:19], v[2:3], v[10:11]
	s_orn2_b64 s[92:93], s[18:19], exec
	s_branch .LBB4_7168
.LBB4_7175:                             ;   in Loop: Header=BB4_3637 Depth=1
	s_or_b64 exec, exec, s[74:75]
	s_xor_b64 s[18:19], s[76:77], -1
	s_and_saveexec_b64 s[74:75], s[18:19]
	s_xor_b64 s[18:19], exec, s[74:75]
	s_cbranch_execz .LBB4_7177
; %bb.7176:                             ;   in Loop: Header=BB4_3637 Depth=1
	ds_write_b32 v0, v1
	s_trap 2
	buffer_load_dword v1, off, s[0:3], s33 offset:76 ; 4-byte Folded Reload
	s_waitcnt vmcnt(0)
	v_or_b32_e32 v1, 64, v1
	buffer_store_dword v1, off, s[0:3], s33 offset:76 ; 4-byte Folded Spill
.LBB4_7177:                             ;   in Loop: Header=BB4_3637 Depth=1
	s_or_b64 exec, exec, s[18:19]
.LBB4_7178:                             ;   in Loop: Header=BB4_3637 Depth=1
	s_or_b64 exec, exec, s[72:73]
	;;#ASMSTART
	s_wakeup
	;;#ASMEND
	buffer_load_dword v1, off, s[0:3], s33 offset:76 ; 4-byte Folded Reload
	s_mov_b64 s[18:19], -1
                                        ; implicit-def: $vgpr8_vgpr9
	s_waitcnt vmcnt(0)
	v_and_b32_e32 v1, 0x100, v1
	v_cmp_ne_u32_e32 vcc, 0, v1
	buffer_load_dword v1, off, s[0:3], s33 offset:88 ; 4-byte Folded Reload
	buffer_load_dword v2, off, s[0:3], s33 offset:92 ; 4-byte Folded Reload
	;; [unrolled: 1-line block ×4, first 2 shown]
	s_waitcnt vmcnt(0)
	v_and_b32_e32 v1, 7, v3
	s_and_saveexec_b64 s[72:73], vcc
	s_cbranch_execz .LBB4_7182
; %bb.7179:                             ;   in Loop: Header=BB4_3637 Depth=1
	buffer_load_dword v2, off, s[0:3], s33 offset:88 ; 4-byte Folded Reload
	buffer_load_dword v3, off, s[0:3], s33 offset:92 ; 4-byte Folded Reload
	buffer_load_dword v4, off, s[0:3], s33 offset:96 ; 4-byte Folded Reload
	buffer_load_dword v5, off, s[0:3], s33 offset:100 ; 4-byte Folded Reload
                                        ; implicit-def: $vgpr8_vgpr9
	s_waitcnt vmcnt(0)
	v_mad_u64_u32 v[12:13], s[18:19], v1, 24, v[2:3]
	flat_load_dword v2, v[12:13]
	s_waitcnt vmcnt(0) lgkmcnt(0)
	v_cmp_ne_u32_e32 vcc, 1, v2
	v_cmp_eq_u32_e64 s[18:19], 1, v2
	s_and_saveexec_b64 s[74:75], s[18:19]
	s_cbranch_execz .LBB4_7181
; %bb.7180:                             ;   in Loop: Header=BB4_3637 Depth=1
	flat_load_dword v8, v[12:13] offset:4 glc
	s_waitcnt vmcnt(0) lgkmcnt(0)
	v_ashrrev_i32_e32 v9, 31, v8
.LBB4_7181:                             ;   in Loop: Header=BB4_3637 Depth=1
	s_or_b64 exec, exec, s[74:75]
	s_orn2_b64 s[18:19], vcc, exec
.LBB4_7182:                             ;   in Loop: Header=BB4_3637 Depth=1
	s_or_b64 exec, exec, s[72:73]
	s_and_saveexec_b64 s[72:73], s[18:19]
	s_cbranch_execz .LBB4_7184
; %bb.7183:                             ;   in Loop: Header=BB4_3637 Depth=1
	buffer_load_dword v2, off, s[0:3], s33 offset:312 ; 4-byte Folded Reload
	s_waitcnt vmcnt(0)
	v_mad_i64_i32 v[8:9], s[18:19], v1, v2, 0
.LBB4_7184:                             ;   in Loop: Header=BB4_3637 Depth=1
	s_or_b64 exec, exec, s[72:73]
	buffer_load_dword v1, off, s[0:3], s33 offset:260 ; 4-byte Folded Reload
	buffer_load_dword v2, off, s[0:3], s33 offset:264 ; 4-byte Folded Reload
	s_waitcnt vmcnt(0)
	v_add_co_u32_e32 v1, vcc, v1, v8
	v_addc_co_u32_e32 v2, vcc, v2, v9, vcc
	ds_write_b64 v0, v[1:2] offset:728
	buffer_load_dword v1, off, s[0:3], s33 offset:76 ; 4-byte Folded Reload
	s_waitcnt vmcnt(0)
	v_and_b32_e32 v1, 0x2000, v1
	v_cmp_ne_u32_e32 vcc, 0, v1
	s_and_saveexec_b64 s[18:19], vcc
	s_cbranch_execz .LBB4_7186
; %bb.7185:                             ;   in Loop: Header=BB4_3637 Depth=1
	ds_read_b64 v[1:2], v0 offset:872
	s_waitcnt lgkmcnt(0)
	v_add_co_u32_e32 v1, vcc, 1, v1
	v_addc_co_u32_e32 v2, vcc, 0, v2, vcc
	ds_write_b64 v0, v[1:2] offset:872
.LBB4_7186:                             ;   in Loop: Header=BB4_3637 Depth=1
	s_or_b64 exec, exec, s[18:19]
	buffer_load_dword v1, off, s[0:3], s33 offset:88 ; 4-byte Folded Reload
	buffer_load_dword v2, off, s[0:3], s33 offset:92 ; 4-byte Folded Reload
	;; [unrolled: 1-line block ×4, first 2 shown]
	s_waitcnt vmcnt(0)
	v_mov_b32_e32 v3, v10
	v_mov_b32_e32 v4, v11
	buffer_store_dword v1, off, s[0:3], s33 offset:88 ; 4-byte Folded Spill
	s_nop 0
	buffer_store_dword v2, off, s[0:3], s33 offset:92 ; 4-byte Folded Spill
	buffer_store_dword v3, off, s[0:3], s33 offset:96 ; 4-byte Folded Spill
	;; [unrolled: 1-line block ×3, first 2 shown]
.LBB4_7187:                             ;   in Loop: Header=BB4_3637 Depth=1
	s_or_b64 exec, exec, s[62:63]
	s_and_saveexec_b64 s[18:19], s[10:11]
	s_cbranch_execz .LBB4_7206
; %bb.7188:                             ;   in Loop: Header=BB4_3637 Depth=1
	s_and_saveexec_b64 s[62:63], s[40:41]
	s_xor_b64 s[62:63], exec, s[62:63]
	s_cbranch_execz .LBB4_7203
; %bb.7189:                             ;   in Loop: Header=BB4_3637 Depth=1
	s_and_saveexec_b64 s[72:73], s[12:13]
	s_cbranch_execz .LBB4_7202
; %bb.7190:                             ;   in Loop: Header=BB4_3637 Depth=1
	s_mov_b64 s[76:77], exec
	v_mbcnt_lo_u32_b32 v1, s76, 0
	v_mbcnt_hi_u32_b32 v1, s77, v1
	v_cmp_eq_u32_e32 vcc, 0, v1
	s_waitcnt vmcnt(0) lgkmcnt(0)
	buffer_wbinvl1_vol
	s_and_saveexec_b64 s[74:75], vcc
	s_cbranch_execz .LBB4_7192
; %bb.7191:                             ;   in Loop: Header=BB4_3637 Depth=1
	s_bcnt1_i32_b64 s76, s[76:77]
	v_mov_b32_e32 v34, s76
	ds_add_u64 v0, v[34:35]
	s_trap 2
.LBB4_7192:                             ;   in Loop: Header=BB4_3637 Depth=1
	s_or_b64 exec, exec, s[74:75]
	s_trap 2
	ds_read_b64 v[1:2], v0
	s_waitcnt lgkmcnt(0)
	buffer_load_dword v3, off, s[0:3], s33 offset:80 ; 4-byte Folded Reload
	buffer_load_dword v4, off, s[0:3], s33 offset:84 ; 4-byte Folded Reload
	s_waitcnt vmcnt(1)
	v_add_co_u32_e32 v3, vcc, v3, v46
	s_waitcnt vmcnt(0)
	v_addc_co_u32_e32 v4, vcc, 0, v4, vcc
	buffer_store_dword v3, off, s[0:3], s33 offset:80 ; 4-byte Folded Spill
	s_nop 0
	buffer_store_dword v4, off, s[0:3], s33 offset:84 ; 4-byte Folded Spill
	v_cmp_lt_u64_e32 vcc, v[1:2], v[3:4]
	s_and_saveexec_b64 s[74:75], vcc
	s_cbranch_execz .LBB4_7201
; %bb.7193:                             ;   in Loop: Header=BB4_3637 Depth=1
	s_mov_b32 s30, 0
	s_mov_b64 s[76:77], 0
                                        ; implicit-def: $sgpr78_sgpr79
                                        ; implicit-def: $sgpr88_sgpr89
	s_branch .LBB4_7195
.LBB4_7194:                             ;   in Loop: Header=BB4_7195 Depth=2
	s_or_b64 exec, exec, s[92:93]
	s_and_b64 s[90:91], exec, s[94:95]
	s_or_b64 s[76:77], s[90:91], s[76:77]
	s_andn2_b64 s[78:79], s[78:79], exec
	s_and_b64 s[90:91], s[88:89], exec
	s_or_b64 s[78:79], s[78:79], s[90:91]
	s_andn2_b64 exec, exec, s[76:77]
	s_cbranch_execz .LBB4_7199
.LBB4_7195:                             ;   Parent Loop BB4_3637 Depth=1
                                        ; =>  This Inner Loop Header: Depth=2
	s_add_i32 s30, s30, 1
	s_cmpk_lg_i32 s30, 0x2710
	s_cselect_b64 s[90:91], -1, 0
	s_and_b64 vcc, exec, s[90:91]
	s_cbranch_vccz .LBB4_7197
; %bb.7196:                             ;   in Loop: Header=BB4_7195 Depth=2
	s_mov_b64 s[94:95], -1
	s_or_b64 s[88:89], s[88:89], exec
	s_and_saveexec_b64 s[92:93], s[90:91]
	s_cbranch_execz .LBB4_7194
	s_branch .LBB4_7198
.LBB4_7197:                             ;   in Loop: Header=BB4_7195 Depth=2
	s_trap 2
	ds_read_b64 v[1:2], v0
	s_andn2_b64 s[90:91], s[90:91], exec
	s_mov_b32 s30, 0
	s_waitcnt vmcnt(0) lgkmcnt(0)
	flat_load_dword v1, v[1:2] glc
	s_waitcnt vmcnt(0) lgkmcnt(0)
	buffer_wbinvl1_vol
	v_cmp_eq_u32_e32 vcc, 0, v1
	s_and_b64 s[92:93], vcc, exec
	s_or_b64 s[90:91], s[90:91], s[92:93]
	s_mov_b64 s[94:95], -1
	s_or_b64 s[88:89], s[88:89], exec
	s_and_saveexec_b64 s[92:93], s[90:91]
	s_cbranch_execz .LBB4_7194
.LBB4_7198:                             ;   in Loop: Header=BB4_7195 Depth=2
	s_sleep 1
	s_trap 2
	ds_read_b64 v[1:2], v0
	s_waitcnt lgkmcnt(0)
	buffer_load_dword v3, off, s[0:3], s33 offset:80 ; 4-byte Folded Reload
	buffer_load_dword v4, off, s[0:3], s33 offset:84 ; 4-byte Folded Reload
	s_andn2_b64 s[88:89], s[88:89], exec
	s_waitcnt vmcnt(0)
	v_cmp_ge_u64_e32 vcc, v[1:2], v[3:4]
	s_orn2_b64 s[94:95], vcc, exec
	s_branch .LBB4_7194
.LBB4_7199:                             ;   in Loop: Header=BB4_3637 Depth=1
	s_or_b64 exec, exec, s[76:77]
	s_and_saveexec_b64 s[76:77], s[78:79]
	s_xor_b64 s[76:77], exec, s[76:77]
	s_cbranch_execz .LBB4_7201
; %bb.7200:                             ;   in Loop: Header=BB4_3637 Depth=1
	v_mov_b32_e32 v1, 1
	ds_write_b32 v0, v1
	s_trap 2
.LBB4_7201:                             ;   in Loop: Header=BB4_3637 Depth=1
	s_or_b64 exec, exec, s[74:75]
	;;#ASMSTART
	s_wakeup
	;;#ASMEND
.LBB4_7202:                             ;   in Loop: Header=BB4_3637 Depth=1
	s_or_b64 exec, exec, s[72:73]
.LBB4_7203:                             ;   in Loop: Header=BB4_3637 Depth=1
	s_andn2_saveexec_b64 s[62:63], s[62:63]
	s_cbranch_execz .LBB4_7205
; %bb.7204:                             ;   in Loop: Header=BB4_3637 Depth=1
	s_waitcnt vmcnt(0) lgkmcnt(0)
	buffer_wbinvl1_vol
	s_barrier
.LBB4_7205:                             ;   in Loop: Header=BB4_3637 Depth=1
	s_or_b64 exec, exec, s[62:63]
.LBB4_7206:                             ;   in Loop: Header=BB4_3637 Depth=1
	s_or_b64 exec, exec, s[18:19]
	s_trap 2
	ds_read_b32 v1, v0
	v_sub_u32_e32 v0, v38, v0
	v_min_i32_e32 v0, v57, v0
	v_cmp_lt_i32_e32 vcc, 0, v0
	buffer_load_dword v0, off, s[0:3], s33 offset:76 ; 4-byte Folded Reload
	s_waitcnt lgkmcnt(0)
	v_readfirstlane_b32 s18, v1
	s_cmp_eq_u32 s18, 0
	s_cselect_b64 s[18:19], -1, 0
	s_and_b64 s[18:19], vcc, s[18:19]
	s_waitcnt vmcnt(0)
	v_and_b32_e32 v0, 16, v0
	v_cmp_ne_u32_e32 vcc, 0, v0
	s_and_b64 s[62:63], vcc, s[18:19]
	s_and_saveexec_b64 s[18:19], s[62:63]
	s_cbranch_execz .LBB4_7208
; %bb.7207:                             ;   in Loop: Header=BB4_3637 Depth=1
	buffer_wbinvl1_vol
.LBB4_7208:                             ;   in Loop: Header=BB4_3637 Depth=1
	s_or_b64 exec, exec, s[18:19]
	buffer_load_dword v0, off, s[0:3], s33 offset:76 ; 4-byte Folded Reload
	s_waitcnt vmcnt(0)
	v_and_b32_e32 v0, 32, v0
	v_cmp_ne_u32_e32 vcc, 0, v0
	s_and_saveexec_b64 s[18:19], vcc
	s_cbranch_execz .LBB4_3635
; %bb.7209:                             ;   in Loop: Header=BB4_3637 Depth=1
	buffer_load_dword v0, off, s[0:3], s33 offset:88 ; 4-byte Folded Reload
	buffer_load_dword v1, off, s[0:3], s33 offset:92 ; 4-byte Folded Reload
	;; [unrolled: 1-line block ×4, first 2 shown]
	s_waitcnt vmcnt(1)
	v_add_co_u32_e32 v2, vcc, 1, v2
	s_waitcnt vmcnt(0)
	v_addc_co_u32_e32 v3, vcc, 0, v3, vcc
	buffer_store_dword v0, off, s[0:3], s33 offset:88 ; 4-byte Folded Spill
	s_nop 0
	buffer_store_dword v1, off, s[0:3], s33 offset:92 ; 4-byte Folded Spill
	buffer_store_dword v2, off, s[0:3], s33 offset:96 ; 4-byte Folded Spill
	;; [unrolled: 1-line block ×3, first 2 shown]
	buffer_load_dword v0, off, s[0:3], s33 offset:60 ; 4-byte Folded Reload
	s_nop 0
	buffer_load_dword v1, off, s[0:3], s33 offset:64 ; 4-byte Folded Reload
	s_waitcnt vmcnt(0)
	flat_store_dwordx2 v[0:1], v[2:3]
	s_branch .LBB4_3635
.LBB4_7210:
	s_or_b64 exec, exec, s[42:43]
	buffer_load_dword v18, off, s[0:3], s33 offset:344 ; 4-byte Folded Reload
	buffer_load_dword v34, off, s[0:3], s33 offset:88 ; 4-byte Folded Reload
	;; [unrolled: 1-line block ×5, first 2 shown]
.LBB4_7211:
	s_or_b64 exec, exec, s[28:29]
.LBB4_7212:
	s_or_b64 exec, exec, s[22:23]
                                        ; implicit-def: $vgpr0_vgpr1
                                        ; kill: killed $vgpr0_vgpr1
                                        ; implicit-def: $vgpr0_vgpr1
	buffer_store_dword v0, off, s[0:3], s33 offset:104 ; 4-byte Folded Spill
	s_nop 0
	buffer_store_dword v1, off, s[0:3], s33 offset:108 ; 4-byte Folded Spill
	buffer_store_dword v2, off, s[0:3], s33 offset:112 ; 4-byte Folded Spill
	;; [unrolled: 1-line block ×3, first 2 shown]
                                        ; implicit-def: $vgpr0_vgpr1
                                        ; kill: killed $vgpr0_vgpr1
                                        ; implicit-def: $vgpr0
                                        ; kill: killed $vgpr0
                                        ; implicit-def: $vgpr0_vgpr1
                                        ; kill: killed $vgpr0_vgpr1
                                        ; implicit-def: $vgpr0_vgpr1
                                        ; kill: killed $vgpr0_vgpr1
	;; [unrolled: 2-line block ×3, first 2 shown]
                                        ; implicit-def: $vgpr0
                                        ; kill: killed $vgpr0
                                        ; implicit-def: $vgpr0
                                        ; implicit-def: $vgpr1
	buffer_store_dword v1, off, s[0:3], s33 offset:248 ; 4-byte Folded Spill
	s_nop 0
	buffer_store_dword v2, off, s[0:3], s33 offset:252 ; 4-byte Folded Spill
.LBB4_7213:
	s_andn2_saveexec_b64 s[26:27], s[26:27]
	s_cbranch_execz .LBB4_9615
; %bb.7214:
	v_mov_b32_e32 v1, 0
	v_mov_b32_e32 v2, 0
	buffer_store_dword v1, off, s[0:3], s33 offset:80 ; 4-byte Folded Spill
	s_nop 0
	buffer_store_dword v2, off, s[0:3], s33 offset:84 ; 4-byte Folded Spill
	buffer_load_dword v1, off, s[0:3], s33 offset:104 ; 4-byte Folded Reload
	s_nop 0
	buffer_load_dword v2, off, s[0:3], s33 offset:108 ; 4-byte Folded Reload
	buffer_load_dword v3, off, s[0:3], s33 offset:112 ; 4-byte Folded Reload
	;; [unrolled: 1-line block ×3, first 2 shown]
	s_waitcnt vmcnt(0)
	v_cmp_ne_u64_e32 vcc, 0, v[1:2]
	s_and_saveexec_b64 s[28:29], vcc
	s_cbranch_execz .LBB4_9614
; %bb.7215:
	buffer_load_dword v2, off, s[0:3], s33 offset:268 ; 4-byte Folded Reload
	s_trap 2
	buffer_load_dword v1, off, s[0:3], s33 offset:340 ; 4-byte Folded Reload
	v_lshrrev_b32_e32 v59, 6, v18
	s_ashr_i32 s6, s48, 31
	s_lshr_b32 s6, s6, 24
	s_add_i32 s48, s48, s6
	v_cmp_eq_u32_e32 vcc, 64, v18
	v_mov_b32_e32 v16, 0
	s_mov_b32 s60, -1
	s_ashr_i32 s38, s48, 8
	v_cmp_ne_u32_e64 s[10:11], 64, v18
	v_mov_b32_e32 v15, 0
	v_lshlrev_b32_e32 v52, 10, v59
	s_mov_b64 s[42:43], 0
	v_mov_b32_e32 v17, 0
	s_xor_b64 s[44:45], vcc, -1
	s_movk_i32 s39, 0x7f
	s_movk_i32 s48, 0x80
	s_mov_b64 s[46:47], 0x7f800000
	s_mov_b64 s[56:57], 0x43e00001
	s_movk_i32 s49, 0x7a
	s_mov_b64 s[58:59], 0xffffff
	s_mov_b32 s61, 0xffffff
	s_mov_b32 s50, 0x3ffffc00
	v_mov_b32_e32 v47, 0x78
	v_mov_b32_e32 v44, 0xffffff82
	s_waitcnt vmcnt(0)
	v_cmp_ge_u32_e64 s[6:7], v2, v18
	v_lshrrev_b32_e32 v53, 6, v2
	v_cmp_ne_u32_sdwa s[40:41], v18, v1 src0_sel:DWORD src1_sel:WORD_0
	buffer_load_dword v1, off, s[0:3], s33 offset:324 ; 4-byte Folded Reload
	s_waitcnt vmcnt(0)
	v_and_b32_e32 v1, 63, v1
	v_cmp_eq_u32_e64 s[12:13], 0, v1
	v_and_b32_e32 v1, 63, v2
	v_cmp_eq_u32_e64 s[14:15], 0, v1
	v_cmp_lt_u32_e64 s[16:17], v1, v0
	buffer_store_dword v1, off, s[0:3], s33 offset:348 ; 4-byte Folded Spill
	v_lshlrev_b32_e32 v0, 4, v1
	v_lshlrev_b32_e32 v1, 12, v59
	buffer_store_dword v1, off, s[0:3], s33 offset:256 ; 4-byte Folded Spill
	v_and_b32_e32 v1, 0x3fc0, v18
	buffer_store_dword v1, off, s[0:3], s33 offset:280 ; 4-byte Folded Spill
	buffer_load_dword v1, off, s[0:3], s33 offset:316 ; 4-byte Folded Reload
	s_nop 0
	buffer_load_dword v2, off, s[0:3], s33 offset:320 ; 4-byte Folded Reload
	v_lshl_or_b32 v0, v53, 12, v0
	buffer_store_dword v0, off, s[0:3], s33 offset:244 ; 4-byte Folded Spill
	s_waitcnt vmcnt(0)
	v_cmp_ne_u64_e64 s[18:19], 0, v[1:2]
	v_mov_b32_e32 v0, 0
	v_mov_b32_e32 v1, 0
	buffer_store_dword v0, off, s[0:3], s33 offset:80 ; 4-byte Folded Spill
	s_nop 0
	buffer_store_dword v1, off, s[0:3], s33 offset:84 ; 4-byte Folded Spill
	buffer_load_dword v0, off, s[0:3], s33 offset:104 ; 4-byte Folded Reload
	s_nop 0
	buffer_load_dword v1, off, s[0:3], s33 offset:108 ; 4-byte Folded Reload
	buffer_load_dword v2, off, s[0:3], s33 offset:112 ; 4-byte Folded Reload
	;; [unrolled: 1-line block ×5, first 2 shown]
	s_nop 0
	buffer_store_dword v59, off, s[0:3], s33 offset:328 ; 4-byte Folded Spill
	buffer_store_dword v52, off, s[0:3], s33 offset:308 ; 4-byte Folded Spill
	;; [unrolled: 1-line block ×3, first 2 shown]
	s_branch .LBB4_7219
.LBB4_7216:                             ;   in Loop: Header=BB4_7219 Depth=1
	s_or_b64 exec, exec, s[62:63]
	buffer_load_dword v0, off, s[0:3], s33 offset:60 ; 4-byte Folded Reload
	buffer_load_dword v1, off, s[0:3], s33 offset:64 ; 4-byte Folded Reload
	v_add_co_u32_e32 v36, vcc, 1, v36
	v_addc_co_u32_e32 v37, vcc, 0, v37, vcc
	s_waitcnt vmcnt(0)
	flat_store_dwordx2 v[0:1], v[36:37]
.LBB4_7217:                             ;   in Loop: Header=BB4_7219 Depth=1
	s_or_b64 exec, exec, s[20:21]
.LBB4_7218:                             ;   in Loop: Header=BB4_7219 Depth=1
	s_or_b64 exec, exec, s[22:23]
	buffer_load_dword v4, off, s[0:3], s33 offset:248 ; 4-byte Folded Reload
	buffer_load_dword v5, off, s[0:3], s33 offset:252 ; 4-byte Folded Reload
	;; [unrolled: 1-line block ×6, first 2 shown]
	s_waitcnt vmcnt(0)
	v_add_co_u32_e32 v16, vcc, v16, v4
	v_addc_co_u32_e32 v17, vcc, 0, v17, vcc
	v_cmp_ge_u64_e32 vcc, v[16:17], v[0:1]
	s_or_b64 s[42:43], vcc, s[42:43]
	s_andn2_b64 exec, exec, s[42:43]
	s_cbranch_execz .LBB4_9613
.LBB4_7219:                             ; =>This Loop Header: Depth=1
                                        ;     Child Loop BB4_7227 Depth 2
                                        ;     Child Loop BB4_7252 Depth 2
	;; [unrolled: 1-line block ×10, first 2 shown]
	s_waitcnt vmcnt(0)
	v_sub_co_u32_e32 v0, vcc, v0, v16
	v_subb_co_u32_e32 v1, vcc, v1, v17, vcc
	v_cmp_lt_u64_e32 vcc, v[4:5], v[0:1]
	v_cndmask_b32_e64 v6, v1, 0, vcc
	v_cndmask_b32_e32 v5, v0, v4, vcc
	v_cmp_eq_u64_e32 vcc, 0, v[5:6]
	v_add_u32_e32 v0, 15, v5
	v_and_b32_e32 v0, 0x7ffffff0, v0
	s_or_b64 s[62:63], s[6:7], vcc
	v_max_i32_e32 v6, s38, v0
	s_xor_b64 s[20:21], s[62:63], -1
	v_mov_b32_e32 v0, v15
	s_and_saveexec_b64 s[72:73], s[20:21]
	s_cbranch_execz .LBB4_9566
; %bb.7220:                             ;   in Loop: Header=BB4_7219 Depth=1
	s_and_saveexec_b64 s[20:21], s[4:5]
	s_cbranch_execz .LBB4_7222
; %bb.7221:                             ;   in Loop: Header=BB4_7219 Depth=1
	s_trap 2
	ds_read_b64 v[0:1], v0
	buffer_load_dword v2, off, s[0:3], s33 offset:284 ; 4-byte Folded Reload
	buffer_load_dword v3, off, s[0:3], s33 offset:288 ; 4-byte Folded Reload
	v_mov_b32_e32 v14, v15
	s_waitcnt vmcnt(0) lgkmcnt(0)
	v_add_co_u32_e32 v0, vcc, v0, v2
	v_addc_co_u32_e32 v1, vcc, v1, v3, vcc
	v_add_co_u32_e32 v0, vcc, v0, v16
	v_addc_co_u32_e32 v1, vcc, v1, v17, vcc
	ds_write_b64 v0, v[0:1]
	ds_write_b64 v0, v[14:15]
.LBB4_7222:                             ;   in Loop: Header=BB4_7219 Depth=1
	s_or_b64 exec, exec, s[20:21]
	buffer_load_dword v0, off, s[0:3], s33 offset:76 ; 4-byte Folded Reload
	v_min_u32_e32 v6, v6, v5
	s_waitcnt vmcnt(0)
	v_and_b32_e32 v0, 8, v0
	v_cmp_ne_u32_e32 vcc, 0, v0
	s_and_saveexec_b64 s[22:23], vcc
	s_cbranch_execz .LBB4_7244
; %bb.7223:                             ;   in Loop: Header=BB4_7219 Depth=1
	buffer_load_dword v0, off, s[0:3], s33 offset:68 ; 4-byte Folded Reload
	buffer_load_dword v1, off, s[0:3], s33 offset:72 ; 4-byte Folded Reload
	s_waitcnt vmcnt(0)
	v_add_co_u32_e32 v0, vcc, 8, v0
	v_addc_co_u32_e32 v1, vcc, 0, v1, vcc
	v_add_co_u32_e32 v10, vcc, 1, v36
	v_addc_co_u32_e32 v11, vcc, 0, v37, vcc
	v_cmp_lt_u64_e32 vcc, v[0:1], v[10:11]
	s_and_saveexec_b64 s[74:75], vcc
	s_cbranch_execz .LBB4_7235
; %bb.7224:                             ;   in Loop: Header=BB4_7219 Depth=1
	buffer_load_dword v0, off, s[0:3], s33 offset:76 ; 4-byte Folded Reload
	s_mov_b32 s51, 0
	s_mov_b64 s[76:77], 0
                                        ; implicit-def: $sgpr78_sgpr79
                                        ; implicit-def: $sgpr88_sgpr89
                                        ; implicit-def: $sgpr90_sgpr91
	s_waitcnt vmcnt(0)
	v_and_b32_e32 v0, 64, v0
	v_cmp_eq_u32_e32 vcc, 0, v0
	s_branch .LBB4_7227
.LBB4_7225:                             ;   in Loop: Header=BB4_7227 Depth=2
	s_or_b64 exec, exec, s[36:37]
	s_andn2_b64 s[20:21], s[90:91], exec
	s_and_b64 s[90:91], s[30:31], exec
	s_or_b64 s[90:91], s[20:21], s[90:91]
	s_andn2_b64 s[20:21], s[88:89], exec
	s_and_b64 s[88:89], s[94:95], exec
	s_or_b64 s[88:89], s[20:21], s[88:89]
.LBB4_7226:                             ;   in Loop: Header=BB4_7227 Depth=2
	s_or_b64 exec, exec, s[92:93]
	s_and_b64 s[20:21], exec, s[88:89]
	s_or_b64 s[76:77], s[20:21], s[76:77]
	s_andn2_b64 s[20:21], s[78:79], exec
	s_and_b64 s[78:79], s[90:91], exec
	s_or_b64 s[78:79], s[20:21], s[78:79]
	s_andn2_b64 exec, exec, s[76:77]
	s_cbranch_execz .LBB4_7232
.LBB4_7227:                             ;   Parent Loop BB4_7219 Depth=1
                                        ; =>  This Inner Loop Header: Depth=2
	s_sleep 1
	buffer_load_dword v0, off, s[0:3], s33 offset:60 ; 4-byte Folded Reload
	buffer_load_dword v1, off, s[0:3], s33 offset:64 ; 4-byte Folded Reload
	s_or_b64 s[90:91], s[90:91], exec
	s_or_b64 s[88:89], s[88:89], exec
	s_waitcnt vmcnt(0) lgkmcnt(0)
	flat_load_dwordx2 v[3:4], v[0:1] glc
                                        ; implicit-def: $vgpr0
	s_and_saveexec_b64 s[92:93], vcc
	s_cbranch_execz .LBB4_7226
; %bb.7228:                             ;   in Loop: Header=BB4_7227 Depth=2
	s_cmpk_lt_i32 s51, 0x270f
	s_cselect_b64 s[34:35], -1, 0
	s_cmpk_gt_i32 s51, 0x270e
	s_mov_b64 s[94:95], -1
	s_cbranch_scc0 .LBB4_7230
; %bb.7229:                             ;   in Loop: Header=BB4_7227 Depth=2
	s_trap 2
	ds_read_b64 v[0:1], v0
	s_andn2_b64 s[34:35], s[34:35], exec
	s_mov_b32 s51, 0
	s_mov_b64 s[30:31], 0
	s_waitcnt vmcnt(0) lgkmcnt(0)
	flat_load_dword v0, v[0:1] glc
	s_waitcnt vmcnt(0) lgkmcnt(0)
	buffer_wbinvl1_vol
	v_cmp_eq_u32_e64 s[20:21], 0, v0
	s_and_b64 s[20:21], s[20:21], exec
	s_or_b64 s[34:35], s[34:35], s[20:21]
	s_and_saveexec_b64 s[36:37], s[34:35]
	s_cbranch_execz .LBB4_7225
	s_branch .LBB4_7231
.LBB4_7230:                             ;   in Loop: Header=BB4_7227 Depth=2
	s_add_i32 s51, s51, 1
	s_mov_b64 s[30:31], -1
                                        ; implicit-def: $vgpr0
	s_and_saveexec_b64 s[36:37], s[34:35]
	s_cbranch_execz .LBB4_7225
.LBB4_7231:                             ;   in Loop: Header=BB4_7227 Depth=2
	s_waitcnt vmcnt(0) lgkmcnt(0)
	v_add_co_u32_e64 v1, s[20:21], 8, v3
	v_addc_co_u32_e64 v2, s[20:21], 0, v4, s[20:21]
	v_cmp_ge_u64_e64 s[20:21], v[1:2], v[10:11]
	s_or_b64 s[30:31], s[30:31], exec
	s_orn2_b64 s[94:95], s[20:21], exec
	s_branch .LBB4_7225
.LBB4_7232:                             ;   in Loop: Header=BB4_7219 Depth=1
	s_or_b64 exec, exec, s[76:77]
	s_xor_b64 s[20:21], s[78:79], -1
	s_waitcnt vmcnt(0) lgkmcnt(0)
	buffer_store_dword v3, off, s[0:3], s33 offset:68 ; 4-byte Folded Spill
	s_nop 0
	buffer_store_dword v4, off, s[0:3], s33 offset:72 ; 4-byte Folded Spill
	s_and_saveexec_b64 s[76:77], s[20:21]
	s_xor_b64 s[20:21], exec, s[76:77]
	s_cbranch_execz .LBB4_7234
; %bb.7233:                             ;   in Loop: Header=BB4_7219 Depth=1
	ds_write_b32 v0, v0
	s_trap 2
	buffer_load_dword v0, off, s[0:3], s33 offset:76 ; 4-byte Folded Reload
	s_waitcnt vmcnt(0)
	v_or_b32_e32 v0, 64, v0
	buffer_store_dword v0, off, s[0:3], s33 offset:76 ; 4-byte Folded Spill
.LBB4_7234:                             ;   in Loop: Header=BB4_7219 Depth=1
	s_or_b64 exec, exec, s[20:21]
.LBB4_7235:                             ;   in Loop: Header=BB4_7219 Depth=1
	s_or_b64 exec, exec, s[74:75]
	;;#ASMSTART
	s_wakeup
	;;#ASMEND
	buffer_load_dword v0, off, s[0:3], s33 offset:76 ; 4-byte Folded Reload
	s_mov_b64 s[20:21], -1
                                        ; implicit-def: $vgpr8_vgpr9
	s_waitcnt vmcnt(0)
	v_and_b32_e32 v0, 0x100, v0
	v_cmp_ne_u32_e32 vcc, 0, v0
	v_and_b32_e32 v0, 7, v36
	s_and_saveexec_b64 s[74:75], vcc
	s_cbranch_execz .LBB4_7239
; %bb.7236:                             ;   in Loop: Header=BB4_7219 Depth=1
	v_mad_u64_u32 v[12:13], s[20:21], v0, 24, v[34:35]
	v_mov_b32_e32 v7, v15
                                        ; implicit-def: $vgpr8_vgpr9
	flat_load_dword v1, v[12:13]
	s_nop 0
	flat_store_dwordx2 v[12:13], v[6:7] offset:8
	s_waitcnt vmcnt(0) lgkmcnt(0)
	v_cmp_ne_u32_e32 vcc, 1, v1
	v_cmp_eq_u32_e64 s[20:21], 1, v1
	s_and_saveexec_b64 s[76:77], s[20:21]
	s_cbranch_execz .LBB4_7238
; %bb.7237:                             ;   in Loop: Header=BB4_7219 Depth=1
	flat_load_dword v8, v[12:13] offset:4 glc
	s_waitcnt vmcnt(0) lgkmcnt(0)
	v_ashrrev_i32_e32 v9, 31, v8
.LBB4_7238:                             ;   in Loop: Header=BB4_7219 Depth=1
	s_or_b64 exec, exec, s[76:77]
	s_orn2_b64 s[20:21], vcc, exec
.LBB4_7239:                             ;   in Loop: Header=BB4_7219 Depth=1
	s_or_b64 exec, exec, s[74:75]
	s_and_saveexec_b64 s[74:75], s[20:21]
	s_cbranch_execz .LBB4_7241
; %bb.7240:                             ;   in Loop: Header=BB4_7219 Depth=1
	buffer_load_dword v1, off, s[0:3], s33 offset:312 ; 4-byte Folded Reload
	s_waitcnt vmcnt(0)
	v_mad_i64_i32 v[8:9], s[20:21], v0, v1, 0
.LBB4_7241:                             ;   in Loop: Header=BB4_7219 Depth=1
	s_or_b64 exec, exec, s[74:75]
	buffer_load_dword v0, off, s[0:3], s33 offset:260 ; 4-byte Folded Reload
	buffer_load_dword v1, off, s[0:3], s33 offset:264 ; 4-byte Folded Reload
	s_waitcnt vmcnt(0)
	v_add_co_u32_e32 v0, vcc, v0, v8
	v_addc_co_u32_e32 v1, vcc, v1, v9, vcc
	ds_write_b64 v0, v[0:1] offset:784
	buffer_load_dword v0, off, s[0:3], s33 offset:76 ; 4-byte Folded Reload
	s_waitcnt vmcnt(0)
	v_and_b32_e32 v0, 0x2000, v0
	v_cmp_ne_u32_e32 vcc, 0, v0
	s_and_saveexec_b64 s[20:21], vcc
	s_cbranch_execz .LBB4_7243
; %bb.7242:                             ;   in Loop: Header=BB4_7219 Depth=1
	ds_read_b64 v[0:1], v0 offset:872
	s_waitcnt lgkmcnt(0)
	v_add_co_u32_e32 v0, vcc, 1, v0
	v_addc_co_u32_e32 v1, vcc, 0, v1, vcc
	ds_write_b64 v0, v[0:1] offset:872
.LBB4_7243:                             ;   in Loop: Header=BB4_7219 Depth=1
	s_or_b64 exec, exec, s[20:21]
	v_mov_b32_e32 v37, v11
	v_mov_b32_e32 v36, v10
.LBB4_7244:                             ;   in Loop: Header=BB4_7219 Depth=1
	s_or_b64 exec, exec, s[22:23]
	s_and_saveexec_b64 s[20:21], s[10:11]
	s_cbranch_execz .LBB4_7263
; %bb.7245:                             ;   in Loop: Header=BB4_7219 Depth=1
	s_and_saveexec_b64 s[22:23], s[40:41]
	s_xor_b64 s[22:23], exec, s[22:23]
	s_cbranch_execz .LBB4_7260
; %bb.7246:                             ;   in Loop: Header=BB4_7219 Depth=1
	s_and_saveexec_b64 s[74:75], s[12:13]
	s_cbranch_execz .LBB4_7259
; %bb.7247:                             ;   in Loop: Header=BB4_7219 Depth=1
	s_mov_b64 s[78:79], exec
	v_mbcnt_lo_u32_b32 v0, s78, 0
	v_mbcnt_hi_u32_b32 v0, s79, v0
	v_cmp_eq_u32_e32 vcc, 0, v0
	s_waitcnt lgkmcnt(0)
	buffer_wbinvl1_vol
	s_and_saveexec_b64 s[76:77], vcc
	s_cbranch_execz .LBB4_7249
; %bb.7248:                             ;   in Loop: Header=BB4_7219 Depth=1
	s_bcnt1_i32_b64 s78, s[78:79]
	v_mov_b32_e32 v14, s78
	ds_add_u64 v0, v[14:15]
	s_trap 2
.LBB4_7249:                             ;   in Loop: Header=BB4_7219 Depth=1
	s_or_b64 exec, exec, s[76:77]
	s_trap 2
	ds_read_b64 v[0:1], v0
	s_waitcnt lgkmcnt(0)
	buffer_load_dword v2, off, s[0:3], s33 offset:80 ; 4-byte Folded Reload
	buffer_load_dword v3, off, s[0:3], s33 offset:84 ; 4-byte Folded Reload
	s_waitcnt vmcnt(1)
	v_add_co_u32_e32 v2, vcc, v2, v59
	s_waitcnt vmcnt(0)
	v_addc_co_u32_e32 v3, vcc, 0, v3, vcc
	buffer_store_dword v2, off, s[0:3], s33 offset:80 ; 4-byte Folded Spill
	s_nop 0
	buffer_store_dword v3, off, s[0:3], s33 offset:84 ; 4-byte Folded Spill
	v_cmp_lt_u64_e32 vcc, v[0:1], v[2:3]
	s_and_saveexec_b64 s[76:77], vcc
	s_cbranch_execz .LBB4_7258
; %bb.7250:                             ;   in Loop: Header=BB4_7219 Depth=1
	s_mov_b32 s30, 0
	s_mov_b64 s[78:79], 0
                                        ; implicit-def: $sgpr88_sgpr89
                                        ; implicit-def: $sgpr90_sgpr91
	s_branch .LBB4_7252
.LBB4_7251:                             ;   in Loop: Header=BB4_7252 Depth=2
	s_or_b64 exec, exec, s[94:95]
	s_and_b64 s[92:93], exec, vcc
	s_or_b64 s[78:79], s[92:93], s[78:79]
	s_andn2_b64 s[88:89], s[88:89], exec
	s_and_b64 s[92:93], s[90:91], exec
	s_or_b64 s[88:89], s[88:89], s[92:93]
	s_andn2_b64 exec, exec, s[78:79]
	s_cbranch_execz .LBB4_7256
.LBB4_7252:                             ;   Parent Loop BB4_7219 Depth=1
                                        ; =>  This Inner Loop Header: Depth=2
	s_add_i32 s30, s30, 1
	s_cmpk_lg_i32 s30, 0x2710
	s_cselect_b64 s[92:93], -1, 0
	s_and_b64 vcc, exec, s[92:93]
	s_cbranch_vccz .LBB4_7254
; %bb.7253:                             ;   in Loop: Header=BB4_7252 Depth=2
	s_mov_b64 vcc, -1
	s_or_b64 s[90:91], s[90:91], exec
	s_and_saveexec_b64 s[94:95], s[92:93]
	s_cbranch_execz .LBB4_7251
	s_branch .LBB4_7255
.LBB4_7254:                             ;   in Loop: Header=BB4_7252 Depth=2
	s_trap 2
	ds_read_b64 v[0:1], v0
	s_andn2_b64 s[92:93], s[92:93], exec
	s_mov_b32 s30, 0
	s_waitcnt vmcnt(0) lgkmcnt(0)
	flat_load_dword v0, v[0:1] glc
	s_waitcnt vmcnt(0) lgkmcnt(0)
	buffer_wbinvl1_vol
	v_cmp_eq_u32_e32 vcc, 0, v0
	s_and_b64 s[94:95], vcc, exec
	s_or_b64 s[92:93], s[92:93], s[94:95]
	s_mov_b64 vcc, -1
	s_or_b64 s[90:91], s[90:91], exec
	s_and_saveexec_b64 s[94:95], s[92:93]
	s_cbranch_execz .LBB4_7251
.LBB4_7255:                             ;   in Loop: Header=BB4_7252 Depth=2
	s_sleep 1
	s_trap 2
	ds_read_b64 v[0:1], v0
	s_waitcnt lgkmcnt(0)
	buffer_load_dword v2, off, s[0:3], s33 offset:80 ; 4-byte Folded Reload
	buffer_load_dword v3, off, s[0:3], s33 offset:84 ; 4-byte Folded Reload
	s_andn2_b64 s[90:91], s[90:91], exec
	s_waitcnt vmcnt(0)
	v_cmp_ge_u64_e32 vcc, v[0:1], v[2:3]
	s_orn2_b64 vcc, vcc, exec
	s_branch .LBB4_7251
.LBB4_7256:                             ;   in Loop: Header=BB4_7219 Depth=1
	s_or_b64 exec, exec, s[78:79]
	s_and_saveexec_b64 s[78:79], s[88:89]
	s_xor_b64 s[78:79], exec, s[78:79]
	s_cbranch_execz .LBB4_7258
; %bb.7257:                             ;   in Loop: Header=BB4_7219 Depth=1
	v_mov_b32_e32 v0, 1
	ds_write_b32 v0, v0
	s_trap 2
.LBB4_7258:                             ;   in Loop: Header=BB4_7219 Depth=1
	s_or_b64 exec, exec, s[76:77]
	;;#ASMSTART
	s_wakeup
	;;#ASMEND
.LBB4_7259:                             ;   in Loop: Header=BB4_7219 Depth=1
	s_or_b64 exec, exec, s[74:75]
.LBB4_7260:                             ;   in Loop: Header=BB4_7219 Depth=1
	s_andn2_saveexec_b64 s[22:23], s[22:23]
	s_cbranch_execz .LBB4_7262
; %bb.7261:                             ;   in Loop: Header=BB4_7219 Depth=1
	s_waitcnt vmcnt(0) lgkmcnt(0)
	buffer_wbinvl1_vol
	s_barrier
.LBB4_7262:                             ;   in Loop: Header=BB4_7219 Depth=1
	s_or_b64 exec, exec, s[22:23]
.LBB4_7263:                             ;   in Loop: Header=BB4_7219 Depth=1
	s_or_b64 exec, exec, s[20:21]
	s_trap 2
	buffer_load_dword v1, off, s[0:3], s33 offset:76 ; 4-byte Folded Reload
	ds_read_b32 v0, v0
	s_waitcnt vmcnt(0)
	v_and_b32_e32 v1, 0x4000, v1
	v_cmp_ne_u32_e32 vcc, 0, v1
	s_and_b64 s[22:23], s[44:45], vcc
	s_and_saveexec_b64 s[20:21], s[22:23]
	s_cbranch_execz .LBB4_7282
; %bb.7264:                             ;   in Loop: Header=BB4_7219 Depth=1
	s_and_saveexec_b64 s[22:23], s[40:41]
	s_xor_b64 s[22:23], exec, s[22:23]
	s_cbranch_execz .LBB4_7279
; %bb.7265:                             ;   in Loop: Header=BB4_7219 Depth=1
	s_and_saveexec_b64 s[74:75], s[12:13]
	s_cbranch_execz .LBB4_7278
; %bb.7266:                             ;   in Loop: Header=BB4_7219 Depth=1
	s_mov_b64 s[78:79], exec
	v_mbcnt_lo_u32_b32 v1, s78, 0
	v_mbcnt_hi_u32_b32 v1, s79, v1
	v_cmp_eq_u32_e32 vcc, 0, v1
	s_waitcnt lgkmcnt(0)
	buffer_wbinvl1_vol
	s_and_saveexec_b64 s[76:77], vcc
	s_cbranch_execz .LBB4_7268
; %bb.7267:                             ;   in Loop: Header=BB4_7219 Depth=1
	s_bcnt1_i32_b64 s78, s[78:79]
	v_mov_b32_e32 v14, s78
	ds_add_u64 v0, v[14:15]
	s_trap 2
.LBB4_7268:                             ;   in Loop: Header=BB4_7219 Depth=1
	s_or_b64 exec, exec, s[76:77]
	s_trap 2
	ds_read_b64 v[1:2], v0
	s_waitcnt lgkmcnt(0)
	buffer_load_dword v3, off, s[0:3], s33 offset:80 ; 4-byte Folded Reload
	buffer_load_dword v4, off, s[0:3], s33 offset:84 ; 4-byte Folded Reload
	s_waitcnt vmcnt(1)
	v_add_co_u32_e32 v3, vcc, v3, v59
	s_waitcnt vmcnt(0)
	v_addc_co_u32_e32 v4, vcc, 0, v4, vcc
	buffer_store_dword v3, off, s[0:3], s33 offset:80 ; 4-byte Folded Spill
	s_nop 0
	buffer_store_dword v4, off, s[0:3], s33 offset:84 ; 4-byte Folded Spill
	v_cmp_lt_u64_e32 vcc, v[1:2], v[3:4]
	s_and_saveexec_b64 s[76:77], vcc
	s_cbranch_execz .LBB4_7277
; %bb.7269:                             ;   in Loop: Header=BB4_7219 Depth=1
	s_mov_b32 s30, 0
	s_mov_b64 s[78:79], 0
                                        ; implicit-def: $sgpr88_sgpr89
                                        ; implicit-def: $sgpr90_sgpr91
	s_branch .LBB4_7271
.LBB4_7270:                             ;   in Loop: Header=BB4_7271 Depth=2
	s_or_b64 exec, exec, s[94:95]
	s_and_b64 s[92:93], exec, vcc
	s_or_b64 s[78:79], s[92:93], s[78:79]
	s_andn2_b64 s[88:89], s[88:89], exec
	s_and_b64 s[92:93], s[90:91], exec
	s_or_b64 s[88:89], s[88:89], s[92:93]
	s_andn2_b64 exec, exec, s[78:79]
	s_cbranch_execz .LBB4_7275
.LBB4_7271:                             ;   Parent Loop BB4_7219 Depth=1
                                        ; =>  This Inner Loop Header: Depth=2
	s_add_i32 s30, s30, 1
	s_cmpk_lg_i32 s30, 0x2710
	s_cselect_b64 s[92:93], -1, 0
	s_and_b64 vcc, exec, s[92:93]
	s_cbranch_vccz .LBB4_7273
; %bb.7272:                             ;   in Loop: Header=BB4_7271 Depth=2
	s_mov_b64 vcc, -1
	s_or_b64 s[90:91], s[90:91], exec
	s_and_saveexec_b64 s[94:95], s[92:93]
	s_cbranch_execz .LBB4_7270
	s_branch .LBB4_7274
.LBB4_7273:                             ;   in Loop: Header=BB4_7271 Depth=2
	s_trap 2
	ds_read_b64 v[1:2], v0
	s_andn2_b64 s[92:93], s[92:93], exec
	s_mov_b32 s30, 0
	s_waitcnt vmcnt(0) lgkmcnt(0)
	flat_load_dword v1, v[1:2] glc
	s_waitcnt vmcnt(0) lgkmcnt(0)
	buffer_wbinvl1_vol
	v_cmp_eq_u32_e32 vcc, 0, v1
	s_and_b64 s[94:95], vcc, exec
	s_or_b64 s[92:93], s[92:93], s[94:95]
	s_mov_b64 vcc, -1
	s_or_b64 s[90:91], s[90:91], exec
	s_and_saveexec_b64 s[94:95], s[92:93]
	s_cbranch_execz .LBB4_7270
.LBB4_7274:                             ;   in Loop: Header=BB4_7271 Depth=2
	s_sleep 1
	s_trap 2
	ds_read_b64 v[1:2], v0
	s_waitcnt lgkmcnt(0)
	buffer_load_dword v3, off, s[0:3], s33 offset:80 ; 4-byte Folded Reload
	buffer_load_dword v4, off, s[0:3], s33 offset:84 ; 4-byte Folded Reload
	s_andn2_b64 s[90:91], s[90:91], exec
	s_waitcnt vmcnt(0)
	v_cmp_ge_u64_e32 vcc, v[1:2], v[3:4]
	s_orn2_b64 vcc, vcc, exec
	s_branch .LBB4_7270
.LBB4_7275:                             ;   in Loop: Header=BB4_7219 Depth=1
	s_or_b64 exec, exec, s[78:79]
	s_and_saveexec_b64 s[78:79], s[88:89]
	s_xor_b64 s[78:79], exec, s[78:79]
	s_cbranch_execz .LBB4_7277
; %bb.7276:                             ;   in Loop: Header=BB4_7219 Depth=1
	v_mov_b32_e32 v1, 1
	ds_write_b32 v0, v1
	s_trap 2
.LBB4_7277:                             ;   in Loop: Header=BB4_7219 Depth=1
	s_or_b64 exec, exec, s[76:77]
	;;#ASMSTART
	s_wakeup
	;;#ASMEND
.LBB4_7278:                             ;   in Loop: Header=BB4_7219 Depth=1
	s_or_b64 exec, exec, s[74:75]
.LBB4_7279:                             ;   in Loop: Header=BB4_7219 Depth=1
	s_andn2_saveexec_b64 s[22:23], s[22:23]
	s_cbranch_execz .LBB4_7281
; %bb.7280:                             ;   in Loop: Header=BB4_7219 Depth=1
	s_waitcnt vmcnt(0) lgkmcnt(0)
	buffer_wbinvl1_vol
	s_barrier
.LBB4_7281:                             ;   in Loop: Header=BB4_7219 Depth=1
	s_or_b64 exec, exec, s[22:23]
.LBB4_7282:                             ;   in Loop: Header=BB4_7219 Depth=1
	s_or_b64 exec, exec, s[20:21]
	s_trap 2
	s_waitcnt lgkmcnt(0)
	ds_read_b64 v[38:39], v0
	s_waitcnt lgkmcnt(0)
	v_cmp_eq_u64_e32 vcc, 0, v[38:39]
	s_cbranch_vccnz .LBB4_7290
; %bb.7283:                             ;   in Loop: Header=BB4_7219 Depth=1
	buffer_store_dword v6, off, s[0:3], s33 offset:272 ; 4-byte Folded Spill
	s_nop 0
	buffer_store_dword v7, off, s[0:3], s33 offset:276 ; 4-byte Folded Spill
	buffer_store_dword v5, off, s[0:3], s33 offset:292 ; 4-byte Folded Spill
	s_nop 0
	buffer_store_dword v6, off, s[0:3], s33 offset:296 ; 4-byte Folded Spill
	s_trap 2
	ds_read_b64 v[48:49], v0
	s_waitcnt lgkmcnt(0)
	v_cmp_eq_u64_e32 vcc, 0, v[48:49]
	s_cbranch_vccnz .LBB4_7291
; %bb.7284:                             ;   in Loop: Header=BB4_7219 Depth=1
	s_mov_b64 s[22:23], -1
	s_and_saveexec_b64 s[20:21], s[14:15]
	s_cbranch_execz .LBB4_7286
; %bb.7285:                             ;   in Loop: Header=BB4_7219 Depth=1
	ds_read_b32 v1, v0 offset:720
	s_waitcnt lgkmcnt(0)
	v_and_b32_e32 v1, 15, v1
	v_cmp_eq_u32_e32 vcc, 0, v1
	s_orn2_b64 s[22:23], vcc, exec
.LBB4_7286:                             ;   in Loop: Header=BB4_7219 Depth=1
	s_or_b64 exec, exec, s[20:21]
	s_and_saveexec_b64 s[20:21], s[16:17]
	s_cbranch_execz .LBB4_7288
; %bb.7287:                             ;   in Loop: Header=BB4_7219 Depth=1
	ds_read_b32 v1, v0 offset:784
	s_waitcnt lgkmcnt(0)
	v_and_b32_e32 v1, 15, v1
	v_cmp_eq_u32_e32 vcc, 0, v1
	s_and_b64 s[74:75], s[22:23], vcc
	s_andn2_b64 s[22:23], s[22:23], exec
	s_and_b64 s[74:75], s[74:75], exec
	s_or_b64 s[22:23], s[22:23], s[74:75]
.LBB4_7288:                             ;   in Loop: Header=BB4_7219 Depth=1
	s_or_b64 exec, exec, s[20:21]
	v_cmp_eq_u32_e32 vcc, 0, v0
	buffer_load_dword v0, off, s[0:3], s33 offset:272 ; 4-byte Folded Reload
	buffer_load_dword v1, off, s[0:3], s33 offset:276 ; 4-byte Folded Reload
	buffer_load_dword v2, off, s[0:3], s33 offset:268 ; 4-byte Folded Reload
	s_xor_b64 s[22:23], s[22:23], -1
	s_mov_b64 s[20:21], -1
	s_waitcnt vmcnt(1)
	v_cndmask_b32_e32 v1, 0, v0, vcc
	v_cndmask_b32_e64 v0, 0, 1, s[22:23]
	v_cmp_ne_u32_e32 vcc, 0, v0
	v_mov_b32_e32 v0, 0
	buffer_store_dword v1, off, s[0:3], s33 offset:304 ; 4-byte Folded Spill
	s_cbranch_vccz .LBB4_7292
; %bb.7289:                             ;   in Loop: Header=BB4_7219 Depth=1
	s_and_saveexec_b64 s[22:23], s[20:21]
	s_cbranch_execnz .LBB4_9079
	s_branch .LBB4_9539
.LBB4_7290:                             ;   in Loop: Header=BB4_7219 Depth=1
	s_mov_b64 s[20:21], 0
	s_and_saveexec_b64 s[22:23], s[10:11]
	s_cbranch_execnz .LBB4_9541
	s_branch .LBB4_9559
.LBB4_7291:                             ;   in Loop: Header=BB4_7219 Depth=1
	s_mov_b64 s[20:21], 0
	s_branch .LBB4_9540
.LBB4_7292:                             ;   in Loop: Header=BB4_7219 Depth=1
	buffer_store_dword v34, off, s[0:3], s33 offset:88 ; 4-byte Folded Spill
	s_nop 0
	buffer_store_dword v35, off, s[0:3], s33 offset:92 ; 4-byte Folded Spill
	buffer_store_dword v36, off, s[0:3], s33 offset:96 ; 4-byte Folded Spill
	;; [unrolled: 1-line block ×3, first 2 shown]
	buffer_load_dword v0, off, s[0:3], s33 offset:304 ; 4-byte Folded Reload
	s_waitcnt vmcnt(0)
	v_lshrrev_b32_e32 v0, 12, v0
	v_sub_u32_e32 v34, v0, v53
	v_cmp_lt_i32_e32 vcc, 0, v34
	s_and_saveexec_b64 s[22:23], vcc
	s_cbranch_execz .LBB4_8712
; %bb.7293:                             ;   in Loop: Header=BB4_7219 Depth=1
	s_trap 2
	ds_read_b64 v[0:1], v0
	v_mov_b32_e32 v51, v49
	v_mov_b32_e32 v53, v39
	;; [unrolled: 1-line block ×4, first 2 shown]
	s_waitcnt lgkmcnt(0)
	v_readfirstlane_b32 s20, v0
	s_and_b32 s21, s20, 7
	s_flbit_i32_b32 s21, s21
	s_min_u32 s21, s21, 32
	s_and_b32 s74, s20, 0x7f
	s_bfe_u32 s75, s20, 0x40003
	s_sub_i32 s76, s21, 28
	s_sub_i32 s21, 29, s21
	s_cmp_lt_u32 s74, 8
	s_cselect_b32 s76, s76, 0
	s_cselect_b32 s21, s21, s75
	v_lshlrev_b64 v[0:1], s76, v[0:1]
	s_lshl_b32 s75, s20, 24
	s_lshl_b32 s21, s21, 23
	s_and_b32 s75, s75, 0x80000000
	s_add_i32 s21, s21, 0x3c000000
	v_lshlrev_b32_e32 v0, 20, v0
	s_or_b32 s21, s75, s21
	v_and_b32_e32 v0, 0x700000, v0
	s_cmpk_lg_i32 s74, 0x7f
	v_or_b32_e32 v0, s21, v0
	s_cselect_b64 vcc, -1, 0
	v_mov_b32_e32 v1, 0x7f800001
	v_cndmask_b32_e32 v0, v1, v0, vcc
	s_mov_b64 s[74:75], 0
	s_and_b32 s92, s20, 0xff
	buffer_store_dword v0, off, s[0:3], s33 offset:300 ; 4-byte Folded Spill
	s_branch .LBB4_7295
.LBB4_7294:                             ;   in Loop: Header=BB4_7295 Depth=2
	s_or_b64 exec, exec, s[20:21]
	v_lshl_or_b32 v2, v3, 8, v20
	v_lshlrev_b32_e32 v11, 16, v42
	v_lshlrev_b32_e32 v12, 24, v45
	v_lshl_or_b32 v3, v22, 8, v62
	v_lshlrev_b32_e32 v13, 16, v23
	v_lshlrev_b32_e32 v14, 24, v46
	v_or3_b32 v12, v2, v11, v12
	v_lshl_or_b32 v2, v19, 8, v18
	v_lshlrev_b32_e32 v0, 16, v0
	v_lshlrev_b32_e32 v1, 24, v1
	v_or3_b32 v11, v3, v13, v14
	v_or3_b32 v13, v2, v0, v1
	v_lshl_or_b32 v0, v25, 8, v24
	v_lshlrev_b32_e32 v1, 24, v35
	v_lshlrev_b32_e32 v2, 16, v43
	v_or3_b32 v14, v0, v2, v1
	buffer_load_dword v0, off, s[0:3], s33 offset:224 ; 4-byte Folded Reload
	buffer_load_dword v1, off, s[0:3], s33 offset:228 ; 4-byte Folded Reload
	v_lshl_or_b32 v4, v30, 8, v4
	s_waitcnt vmcnt(2)
	v_sub_u32_e32 v34, v34, v59
	buffer_load_dword v2, off, s[0:3], s33 offset:236 ; 4-byte Folded Reload
	s_waitcnt vmcnt(1)
	v_lshl_or_b32 v0, v1, 8, v0
	buffer_load_dword v1, off, s[0:3], s33 offset:232 ; 4-byte Folded Reload
	s_waitcnt vmcnt(1)
	v_lshlrev_b32_e32 v2, 24, v2
	s_waitcnt vmcnt(0)
	v_lshlrev_b32_e32 v1, 16, v1
	v_or3_b32 v1, v0, v1, v2
	buffer_load_dword v0, off, s[0:3], s33 offset:208 ; 4-byte Folded Reload
	buffer_load_dword v2, off, s[0:3], s33 offset:212 ; 4-byte Folded Reload
	buffer_load_dword v3, off, s[0:3], s33 offset:220 ; 4-byte Folded Reload
	s_waitcnt vmcnt(1)
	v_lshl_or_b32 v0, v2, 8, v0
	buffer_load_dword v2, off, s[0:3], s33 offset:216 ; 4-byte Folded Reload
	s_waitcnt vmcnt(1)
	v_lshlrev_b32_e32 v3, 24, v3
	s_waitcnt vmcnt(0)
	v_lshlrev_b32_e32 v2, 16, v2
	v_or3_b32 v0, v0, v2, v3
	buffer_load_dword v2, off, s[0:3], s33 offset:240 ; 4-byte Folded Reload
	v_lshlrev_b32_e32 v3, 16, v6
	v_lshlrev_b32_e32 v6, 24, v7
	v_lshl_or_b32 v7, v9, 8, v8
	s_waitcnt vmcnt(0)
	v_lshl_or_b32 v2, v56, 8, v2
	v_or3_b32 v2, v2, v3, v6
	v_lshlrev_b32_e32 v3, 24, v57
	v_lshlrev_b32_e32 v6, 16, v37
	v_or3_b32 v3, v7, v6, v3
	buffer_load_dword v6, off, s[0:3], s33 offset:144 ; 4-byte Folded Reload
	buffer_load_dword v7, off, s[0:3], s33 offset:148 ; 4-byte Folded Reload
	buffer_load_dword v8, off, s[0:3], s33 offset:156 ; 4-byte Folded Reload
	s_waitcnt vmcnt(1)
	v_lshl_or_b32 v6, v7, 8, v6
	buffer_load_dword v7, off, s[0:3], s33 offset:152 ; 4-byte Folded Reload
	s_waitcnt vmcnt(1)
	v_lshlrev_b32_e32 v8, 24, v8
	s_waitcnt vmcnt(0)
	v_lshlrev_b32_e32 v7, 16, v7
	v_or3_b32 v7, v6, v7, v8
	buffer_load_dword v6, off, s[0:3], s33 offset:120 ; 4-byte Folded Reload
	buffer_load_dword v8, off, s[0:3], s33 offset:128 ; 4-byte Folded Reload
	buffer_load_dword v9, off, s[0:3], s33 offset:140 ; 4-byte Folded Reload
	s_waitcnt vmcnt(1)
	v_lshl_or_b32 v6, v8, 8, v6
	buffer_load_dword v8, off, s[0:3], s33 offset:136 ; 4-byte Folded Reload
	s_waitcnt vmcnt(1)
	v_lshlrev_b32_e32 v9, 24, v9
	s_waitcnt vmcnt(0)
	;; [unrolled: 11-line block ×3, first 2 shown]
	v_lshlrev_b32_e32 v9, 16, v9
	v_or3_b32 v8, v8, v9, v18
	buffer_load_dword v9, off, s[0:3], s33 offset:204 ; 4-byte Folded Reload
	buffer_load_dword v18, off, s[0:3], s33 offset:200 ; 4-byte Folded Reload
	buffer_load_dword v19, off, s[0:3], s33 offset:192 ; 4-byte Folded Reload
	buffer_load_dword v20, off, s[0:3], s33 offset:196 ; 4-byte Folded Reload
	s_waitcnt vmcnt(3)
	v_lshlrev_b32_e32 v9, 24, v9
	s_waitcnt vmcnt(2)
	v_lshlrev_b32_e32 v18, 16, v18
	s_waitcnt vmcnt(0)
	v_lshl_or_b32 v19, v20, 8, v19
	v_or3_b32 v9, v19, v18, v9
	buffer_load_dword v18, off, s[0:3], s33 offset:244 ; 4-byte Folded Reload
	v_lshlrev_b32_e32 v19, 24, v41
	v_lshlrev_b32_e32 v20, 24, v33
	s_waitcnt vmcnt(0)
	v_add_co_u32_e32 v22, vcc, v18, v50
	v_lshlrev_b32_e32 v18, 16, v40
	v_or3_b32 v19, v4, v18, v19
	v_lshl_or_b32 v4, v21, 8, v60
	v_lshlrev_b32_e32 v18, 16, v32
	v_or3_b32 v18, v4, v18, v20
	v_lshl_or_b32 v4, v36, 8, v5
	v_lshlrev_b32_e32 v5, 16, v26
	v_lshlrev_b32_e32 v20, 24, v28
	v_addc_co_u32_e32 v23, vcc, 0, v51, vcc
	v_or3_b32 v20, v4, v5, v20
	v_lshlrev_b32_e32 v4, 24, v10
	v_lshlrev_b32_e32 v5, 16, v54
	v_lshl_or_b32 v10, v27, 8, v29
	v_or3_b32 v21, v10, v5, v4
	global_store_dwordx4 v[22:23], v[6:9], off glc slc
	global_store_dwordx4 v[22:23], v[0:3], off offset:1024 glc slc
	global_store_dwordx4 v[22:23], v[11:14], off offset:2048 glc slc
	;; [unrolled: 1-line block ×3, first 2 shown]
	buffer_load_dword v0, off, s[0:3], s33 offset:256 ; 4-byte Folded Reload
	s_waitcnt vmcnt(0)
	v_add_co_u32_e32 v52, vcc, v52, v0
	v_addc_co_u32_e32 v53, vcc, 0, v53, vcc
	v_cmp_gt_i32_e32 vcc, 1, v34
	s_or_b64 s[74:75], vcc, s[74:75]
	v_add_co_u32_e32 v50, vcc, v50, v0
	v_addc_co_u32_e32 v51, vcc, 0, v51, vcc
	s_andn2_b64 exec, exec, s[74:75]
	s_cbranch_execz .LBB4_8711
.LBB4_7295:                             ;   Parent Loop BB4_7219 Depth=1
                                        ; =>  This Inner Loop Header: Depth=2
	s_cmpk_lt_i32 s92, 0x80
	s_cbranch_scc1 .LBB4_7299
; %bb.7296:                             ;   in Loop: Header=BB4_7295 Depth=2
	s_and_b32 s20, 0xffff, s92
	s_cmpk_eq_i32 s20, 0x80
	s_mov_b64 s[20:21], -1
	s_cbranch_scc0 .LBB4_7298
; %bb.7297:                             ;   in Loop: Header=BB4_7295 Depth=2
	s_mov_b64 s[20:21], 0
.LBB4_7298:                             ;   in Loop: Header=BB4_7295 Depth=2
	s_brev_b32 s78, 1
	s_branch .LBB4_7301
.LBB4_7299:                             ;   in Loop: Header=BB4_7295 Depth=2
	s_mov_b64 s[20:21], 0
	s_brev_b32 s78, 1
	s_cbranch_execz .LBB4_7301
; %bb.7300:                             ;   in Loop: Header=BB4_7295 Depth=2
	s_and_b32 s20, 0xffff, s92
	s_cmp_lg_u32 s20, 0
	s_mov_b32 s78, 0
	s_cselect_b64 s[20:21], -1, 0
.LBB4_7301:                             ;   in Loop: Header=BB4_7295 Depth=2
	s_andn2_b64 vcc, exec, s[20:21]
	v_mov_b32_e32 v61, s78
	s_cbranch_vccnz .LBB4_7303
; %bb.7302:                             ;   in Loop: Header=BB4_7295 Depth=2
	buffer_load_dword v61, off, s[0:3], s33 offset:300 ; 4-byte Folded Reload
.LBB4_7303:                             ;   in Loop: Header=BB4_7295 Depth=2
	buffer_load_dword v0, off, s[0:3], s33 offset:244 ; 4-byte Folded Reload
	s_waitcnt vmcnt(0)
	v_add_co_u32_e32 v54, vcc, v0, v52
	v_addc_co_u32_e32 v55, vcc, 0, v53, vcc
	global_load_dwordx4 v[10:13], v[54:55], off glc slc
	v_mov_b32_e32 v0, 0
	s_waitcnt vmcnt(0)
	v_cmp_ne_u16_sdwa s[76:77], v10, v15 src0_sel:BYTE_0 src1_sel:DWORD
	s_and_saveexec_b64 s[20:21], s[76:77]
	s_cbranch_execz .LBB4_7309
; %bb.7304:                             ;   in Loop: Header=BB4_7295 Depth=2
	v_cmp_ne_u16_sdwa s[78:79], v10, s48 src0_sel:BYTE_0 src1_sel:DWORD
	v_bfrev_b32_e32 v0, 1
	s_and_saveexec_b64 s[76:77], s[78:79]
	s_cbranch_execz .LBB4_7308
; %bb.7305:                             ;   in Loop: Header=BB4_7295 Depth=2
	v_and_b32_e32 v1, 0x7f, v10
	v_cmp_ne_u32_e32 vcc, s39, v1
	v_mov_b32_e32 v0, 0x7f800001
	s_and_saveexec_b64 s[78:79], vcc
	s_cbranch_execz .LBB4_7307
; %bb.7306:                             ;   in Loop: Header=BB4_7295 Depth=2
	v_and_b32_e32 v0, 7, v10
	v_ffbh_u32_e32 v0, v0
	v_min_u32_e32 v0, 32, v0
	v_lshrrev_b32_e32 v2, 3, v1
	v_cmp_gt_u32_e32 vcc, 8, v1
	v_subrev_u32_e32 v1, 28, v0
	v_sub_u32_e32 v0, 29, v0
	v_cndmask_b32_e32 v2, v2, v0, vcc
	v_cndmask_b32_e32 v0, 0, v1, vcc
	v_lshlrev_b64 v[0:1], v0, v[10:11]
	v_lshlrev_b32_e32 v1, 24, v10
	v_lshlrev_b32_e32 v0, 20, v0
	v_bfrev_b32_e32 v3, 60
	v_and_b32_e32 v0, 0x700000, v0
	v_and_b32_e32 v1, 0x80000000, v1
	v_lshl_add_u32 v2, v2, 23, v3
	v_or3_b32 v0, v1, v2, v0
.LBB4_7307:                             ;   in Loop: Header=BB4_7295 Depth=2
	s_or_b64 exec, exec, s[78:79]
.LBB4_7308:                             ;   in Loop: Header=BB4_7295 Depth=2
	s_or_b64 exec, exec, s[76:77]
.LBB4_7309:                             ;   in Loop: Header=BB4_7295 Depth=2
	s_or_b64 exec, exec, s[20:21]
	v_mul_f32_e32 v1, v61, v0
	v_and_b32_e32 v14, 0x7f800000, v1
	v_cmp_ne_u64_e32 vcc, s[46:47], v[14:15]
                                        ; implicit-def: $vgpr0
                                        ; kill: killed $vgpr0
	s_and_saveexec_b64 s[20:21], vcc
	s_xor_b64 s[76:77], exec, s[20:21]
	s_cbranch_execz .LBB4_7323
; %bb.7310:                             ;   in Loop: Header=BB4_7295 Depth=2
	v_and_b32_e32 v14, 0x7fffffff, v1
	v_cmp_gt_u64_e32 vcc, s[56:57], v[14:15]
	v_and_b32_sdwa v0, v1, s48 dst_sel:DWORD dst_unused:UNUSED_PAD src0_sel:BYTE_3 src1_sel:DWORD
                                        ; implicit-def: $vgpr2
                                        ; kill: killed $vgpr2
	s_and_saveexec_b64 s[20:21], vcc
	s_xor_b64 s[78:79], exec, s[20:21]
	s_cbranch_execz .LBB4_7320
; %bb.7311:                             ;   in Loop: Header=BB4_7295 Depth=2
	v_mov_b32_e32 v2, 0
	v_cmp_ne_u32_e32 vcc, 0, v1
	buffer_store_dword v2, off, s[0:3], s33 offset:120 ; 4-byte Folded Spill
	s_and_saveexec_b64 s[88:89], vcc
	s_cbranch_execz .LBB4_7319
; %bb.7312:                             ;   in Loop: Header=BB4_7295 Depth=2
	v_and_b32_e32 v3, 0x7fffff, v1
	v_bfe_u32 v1, v1, 23, 8
	v_cmp_gt_u32_e64 s[20:21], s49, v1
	v_sub_u32_e32 v2, 0x79, v1
	v_cmp_eq_u32_e32 vcc, 0, v1
	v_cndmask_b32_e64 v2, 0, v2, s[20:21]
	v_or_b32_e32 v4, 0x800000, v3
	v_cndmask_b32_e32 v2, v2, v47, vcc
	v_cndmask_b32_e32 v14, v4, v3, vcc
	v_add_u32_e32 v3, 20, v2
	v_lshlrev_b64 v[3:4], v3, -1
	v_add_u32_e32 v5, 19, v2
	v_lshlrev_b64 v[5:6], v5, 1
	v_lshrrev_b64 v[40:41], v2, v[14:15]
	v_bfi_b32 v4, v4, 0, 0
	v_bfi_b32 v3, v3, 0, v14
	v_cmp_eq_u64_e64 s[20:21], v[3:4], v[5:6]
	v_mov_b32_e32 v42, v41
	v_mov_b32_e32 v41, v40
	s_and_saveexec_b64 s[90:91], s[20:21]
; %bb.7313:                             ;   in Loop: Header=BB4_7295 Depth=2
	v_bfe_u32 v3, v40, 20, 1
	v_add_co_u32_e64 v3, s[20:21], v40, v3
	v_add_co_u32_e64 v41, s[20:21], -1, v3
; %bb.7314:                             ;   in Loop: Header=BB4_7295 Depth=2
	s_or_b64 exec, exec, s[90:91]
	v_add_u32_e32 v1, 0xffffff81, v1
	v_cndmask_b32_e32 v1, v1, v44, vcc
	v_lshrrev_b32_e32 v3, 23, v40
	v_add3_u32 v3, v2, v1, v3
	v_add_u32_e32 v2, 6, v3
	v_and_b32_e32 v1, 0xfffff, v41
	v_add_u32_e32 v14, v1, v40
	v_cmp_ne_u32_e32 vcc, 0, v2
                                        ; implicit-def: $vgpr40_vgpr41
                                        ; implicit-def: $vgpr1
	s_and_saveexec_b64 s[20:21], vcc
	s_xor_b64 s[20:21], exec, s[20:21]
; %bb.7315:                             ;   in Loop: Header=BB4_7295 Depth=2
	v_cmp_lt_u64_e32 vcc, s[58:59], v[14:15]
	v_add_u32_e32 v1, 7, v3
	v_cndmask_b32_e32 v1, v2, v1, vcc
	v_cndmask_b32_e64 v2, 0, 1, vcc
	v_lshrrev_b64 v[40:41], v2, v[14:15]
; %bb.7316:                             ;   in Loop: Header=BB4_7295 Depth=2
	s_andn2_saveexec_b64 s[20:21], s[20:21]
; %bb.7317:                             ;   in Loop: Header=BB4_7295 Depth=2
	v_mov_b32_e32 v41, v15
	v_bfe_u32 v1, v14, 23, 1
	v_mov_b32_e32 v40, v14
; %bb.7318:                             ;   in Loop: Header=BB4_7295 Depth=2
	s_or_b64 exec, exec, s[20:21]
	v_lshrrev_b64 v[2:3], 20, v[40:41]
	v_cmp_gt_i32_e32 vcc, 16, v1
	v_cndmask_b32_e32 v3, 0, v3, vcc
	v_cndmask_b32_e32 v2, 7, v2, vcc
	v_cmp_eq_u32_e32 vcc, 0, v1
	v_min_i32_e32 v1, 15, v1
	v_cmp_eq_u64_e64 s[20:21], 0, v[2:3]
	v_lshlrev_b32_e32 v1, 3, v1
	v_and_b32_e32 v1, 0xf8, v1
	v_and_or_b32 v1, v2, 7, v1
	s_and_b64 s[20:21], vcc, s[20:21]
	v_cndmask_b32_e64 v1, v1, 0, s[20:21]
	v_or_b32_e32 v0, v1, v0
	buffer_store_dword v0, off, s[0:3], s33 offset:120 ; 4-byte Folded Spill
.LBB4_7319:                             ;   in Loop: Header=BB4_7295 Depth=2
	s_or_b64 exec, exec, s[88:89]
                                        ; implicit-def: $vgpr0
.LBB4_7320:                             ;   in Loop: Header=BB4_7295 Depth=2
	s_andn2_saveexec_b64 s[20:21], s[78:79]
	s_cbranch_execz .LBB4_7322
; %bb.7321:                             ;   in Loop: Header=BB4_7295 Depth=2
	v_or_b32_e32 v0, 0x7e, v0
	buffer_store_dword v0, off, s[0:3], s33 offset:120 ; 4-byte Folded Spill
.LBB4_7322:                             ;   in Loop: Header=BB4_7295 Depth=2
	s_or_b64 exec, exec, s[20:21]
                                        ; implicit-def: $vgpr1
.LBB4_7323:                             ;   in Loop: Header=BB4_7295 Depth=2
	s_andn2_saveexec_b64 s[20:21], s[76:77]
	s_cbranch_execz .LBB4_7325
; %bb.7324:                             ;   in Loop: Header=BB4_7295 Depth=2
	v_or_b32_sdwa v0, v1, s39 dst_sel:DWORD dst_unused:UNUSED_PAD src0_sel:BYTE_3 src1_sel:DWORD
	buffer_store_dword v0, off, s[0:3], s33 offset:120 ; 4-byte Folded Spill
.LBB4_7325:                             ;   in Loop: Header=BB4_7295 Depth=2
	s_or_b64 exec, exec, s[20:21]
	v_lshrrev_b16_e32 v14, 8, v10
	v_cmp_ne_u16_e32 vcc, 0, v14
	v_mov_b32_e32 v0, 0
	s_and_saveexec_b64 s[20:21], vcc
	s_cbranch_execz .LBB4_7331
; %bb.7326:                             ;   in Loop: Header=BB4_7295 Depth=2
	v_cmp_ne_u16_e32 vcc, s48, v14
	v_bfrev_b32_e32 v0, 1
	s_and_saveexec_b64 s[76:77], vcc
	s_cbranch_execz .LBB4_7330
; %bb.7327:                             ;   in Loop: Header=BB4_7295 Depth=2
	v_and_b32_e32 v1, 0x7f, v14
	v_cmp_ne_u32_e32 vcc, s39, v1
	v_mov_b32_e32 v0, 0x7f800001
	s_and_saveexec_b64 s[78:79], vcc
	s_cbranch_execz .LBB4_7329
; %bb.7328:                             ;   in Loop: Header=BB4_7295 Depth=2
	v_and_b32_e32 v2, 7, v14
	v_ffbh_u32_e32 v0, v2
	v_min_u32_e32 v4, 32, v0
	v_subrev_u32_e32 v0, 28, v4
	v_lshrrev_b32_e32 v3, 3, v1
	v_cmp_gt_u32_e32 vcc, 8, v1
	v_lshlrev_b64 v[0:1], v0, v[14:15]
	v_sub_u32_e32 v1, 29, v4
	v_and_b32_e32 v0, 7, v0
	v_cndmask_b32_e32 v1, v3, v1, vcc
	v_cndmask_b32_e32 v0, v2, v0, vcc
	v_lshlrev_b32_e32 v2, 16, v10
	v_bfrev_b32_e32 v3, 60
	v_lshlrev_b32_e32 v0, 20, v0
	v_and_b32_e32 v2, 0x80000000, v2
	v_lshl_add_u32 v1, v1, 23, v3
	v_or3_b32 v0, v2, v1, v0
.LBB4_7329:                             ;   in Loop: Header=BB4_7295 Depth=2
	s_or_b64 exec, exec, s[78:79]
.LBB4_7330:                             ;   in Loop: Header=BB4_7295 Depth=2
	s_or_b64 exec, exec, s[76:77]
.LBB4_7331:                             ;   in Loop: Header=BB4_7295 Depth=2
	s_or_b64 exec, exec, s[20:21]
	v_mul_f32_e32 v1, v61, v0
	v_and_b32_e32 v14, 0x7f800000, v1
	v_cmp_ne_u64_e32 vcc, s[46:47], v[14:15]
                                        ; implicit-def: $vgpr0
                                        ; kill: killed $vgpr0
	s_and_saveexec_b64 s[20:21], vcc
	s_xor_b64 s[76:77], exec, s[20:21]
	s_cbranch_execz .LBB4_7345
; %bb.7332:                             ;   in Loop: Header=BB4_7295 Depth=2
	v_and_b32_e32 v14, 0x7fffffff, v1
	v_cmp_gt_u64_e32 vcc, s[56:57], v[14:15]
	v_and_b32_sdwa v0, v1, s48 dst_sel:DWORD dst_unused:UNUSED_PAD src0_sel:BYTE_3 src1_sel:DWORD
                                        ; implicit-def: $vgpr2
                                        ; kill: killed $vgpr2
	s_and_saveexec_b64 s[20:21], vcc
	s_xor_b64 s[78:79], exec, s[20:21]
	s_cbranch_execz .LBB4_7342
; %bb.7333:                             ;   in Loop: Header=BB4_7295 Depth=2
	v_mov_b32_e32 v2, 0
	v_cmp_ne_u32_e32 vcc, 0, v1
	buffer_store_dword v2, off, s[0:3], s33 offset:128 ; 4-byte Folded Spill
	s_and_saveexec_b64 s[88:89], vcc
	s_cbranch_execz .LBB4_7341
; %bb.7334:                             ;   in Loop: Header=BB4_7295 Depth=2
	v_and_b32_e32 v3, 0x7fffff, v1
	v_bfe_u32 v1, v1, 23, 8
	v_cmp_gt_u32_e64 s[20:21], s49, v1
	v_sub_u32_e32 v2, 0x79, v1
	v_cmp_eq_u32_e32 vcc, 0, v1
	v_cndmask_b32_e64 v2, 0, v2, s[20:21]
	v_or_b32_e32 v4, 0x800000, v3
	v_cndmask_b32_e32 v2, v2, v47, vcc
	v_cndmask_b32_e32 v14, v4, v3, vcc
	v_add_u32_e32 v3, 20, v2
	v_lshlrev_b64 v[3:4], v3, -1
	v_add_u32_e32 v5, 19, v2
	v_lshlrev_b64 v[5:6], v5, 1
	v_lshrrev_b64 v[40:41], v2, v[14:15]
	v_bfi_b32 v4, v4, 0, 0
	v_bfi_b32 v3, v3, 0, v14
	v_cmp_eq_u64_e64 s[20:21], v[3:4], v[5:6]
	v_mov_b32_e32 v42, v41
	v_mov_b32_e32 v41, v40
	s_and_saveexec_b64 s[90:91], s[20:21]
; %bb.7335:                             ;   in Loop: Header=BB4_7295 Depth=2
	v_bfe_u32 v3, v40, 20, 1
	v_add_co_u32_e64 v3, s[20:21], v40, v3
	v_add_co_u32_e64 v41, s[20:21], -1, v3
; %bb.7336:                             ;   in Loop: Header=BB4_7295 Depth=2
	s_or_b64 exec, exec, s[90:91]
	v_add_u32_e32 v1, 0xffffff81, v1
	v_cndmask_b32_e32 v1, v1, v44, vcc
	v_lshrrev_b32_e32 v3, 23, v40
	v_add3_u32 v3, v2, v1, v3
	v_add_u32_e32 v2, 6, v3
	v_and_b32_e32 v1, 0xfffff, v41
	v_add_u32_e32 v14, v1, v40
	v_cmp_ne_u32_e32 vcc, 0, v2
                                        ; implicit-def: $vgpr40_vgpr41
                                        ; implicit-def: $vgpr1
	s_and_saveexec_b64 s[20:21], vcc
	s_xor_b64 s[20:21], exec, s[20:21]
; %bb.7337:                             ;   in Loop: Header=BB4_7295 Depth=2
	v_cmp_lt_u64_e32 vcc, s[58:59], v[14:15]
	v_add_u32_e32 v1, 7, v3
	v_cndmask_b32_e32 v1, v2, v1, vcc
	v_cndmask_b32_e64 v2, 0, 1, vcc
	v_lshrrev_b64 v[40:41], v2, v[14:15]
; %bb.7338:                             ;   in Loop: Header=BB4_7295 Depth=2
	s_andn2_saveexec_b64 s[20:21], s[20:21]
; %bb.7339:                             ;   in Loop: Header=BB4_7295 Depth=2
	v_mov_b32_e32 v41, v15
	v_bfe_u32 v1, v14, 23, 1
	v_mov_b32_e32 v40, v14
; %bb.7340:                             ;   in Loop: Header=BB4_7295 Depth=2
	s_or_b64 exec, exec, s[20:21]
	v_lshrrev_b64 v[2:3], 20, v[40:41]
	v_cmp_gt_i32_e32 vcc, 16, v1
	v_cndmask_b32_e32 v3, 0, v3, vcc
	v_cndmask_b32_e32 v2, 7, v2, vcc
	v_cmp_eq_u32_e32 vcc, 0, v1
	v_min_i32_e32 v1, 15, v1
	v_cmp_eq_u64_e64 s[20:21], 0, v[2:3]
	v_lshlrev_b32_e32 v1, 3, v1
	v_and_b32_e32 v1, 0xf8, v1
	v_and_or_b32 v1, v2, 7, v1
	s_and_b64 s[20:21], vcc, s[20:21]
	v_cndmask_b32_e64 v1, v1, 0, s[20:21]
	v_or_b32_e32 v0, v1, v0
	buffer_store_dword v0, off, s[0:3], s33 offset:128 ; 4-byte Folded Spill
.LBB4_7341:                             ;   in Loop: Header=BB4_7295 Depth=2
	s_or_b64 exec, exec, s[88:89]
                                        ; implicit-def: $vgpr0
.LBB4_7342:                             ;   in Loop: Header=BB4_7295 Depth=2
	s_andn2_saveexec_b64 s[20:21], s[78:79]
	s_cbranch_execz .LBB4_7344
; %bb.7343:                             ;   in Loop: Header=BB4_7295 Depth=2
	v_or_b32_e32 v0, 0x7e, v0
	buffer_store_dword v0, off, s[0:3], s33 offset:128 ; 4-byte Folded Spill
.LBB4_7344:                             ;   in Loop: Header=BB4_7295 Depth=2
	s_or_b64 exec, exec, s[20:21]
                                        ; implicit-def: $vgpr1
.LBB4_7345:                             ;   in Loop: Header=BB4_7295 Depth=2
	s_andn2_saveexec_b64 s[20:21], s[76:77]
	s_cbranch_execz .LBB4_7347
; %bb.7346:                             ;   in Loop: Header=BB4_7295 Depth=2
	v_or_b32_sdwa v0, v1, s39 dst_sel:DWORD dst_unused:UNUSED_PAD src0_sel:BYTE_3 src1_sel:DWORD
	buffer_store_dword v0, off, s[0:3], s33 offset:128 ; 4-byte Folded Spill
.LBB4_7347:                             ;   in Loop: Header=BB4_7295 Depth=2
	s_or_b64 exec, exec, s[20:21]
	v_lshrrev_b32_e32 v14, 16, v10
	v_cmp_ne_u16_sdwa s[76:77], v14, v15 src0_sel:BYTE_0 src1_sel:DWORD
	v_mov_b32_e32 v0, 0
	s_and_saveexec_b64 s[20:21], s[76:77]
	s_cbranch_execz .LBB4_7353
; %bb.7348:                             ;   in Loop: Header=BB4_7295 Depth=2
	v_cmp_ne_u16_sdwa s[78:79], v14, s48 src0_sel:BYTE_0 src1_sel:DWORD
	v_bfrev_b32_e32 v0, 1
	s_and_saveexec_b64 s[76:77], s[78:79]
	s_cbranch_execz .LBB4_7352
; %bb.7349:                             ;   in Loop: Header=BB4_7295 Depth=2
	v_bfe_u32 v1, v10, 16, 7
	v_cmp_ne_u32_e32 vcc, s39, v1
	v_mov_b32_e32 v0, 0x7f800001
	s_and_saveexec_b64 s[78:79], vcc
	s_cbranch_execz .LBB4_7351
; %bb.7350:                             ;   in Loop: Header=BB4_7295 Depth=2
	v_and_b32_e32 v2, 7, v14
	v_ffbh_u32_e32 v0, v2
	v_min_u32_e32 v4, 32, v0
	v_subrev_u32_e32 v0, 28, v4
	v_lshrrev_b32_e32 v3, 3, v1
	v_cmp_gt_u32_e32 vcc, 8, v1
	v_lshlrev_b64 v[0:1], v0, v[14:15]
	v_sub_u32_e32 v1, 29, v4
	v_and_b32_e32 v0, 7, v0
	v_cndmask_b32_e32 v1, v3, v1, vcc
	v_cndmask_b32_e32 v0, v2, v0, vcc
	v_lshlrev_b32_e32 v2, 24, v14
	v_bfrev_b32_e32 v3, 60
	v_lshlrev_b32_e32 v0, 20, v0
	v_and_b32_e32 v2, 0x80000000, v2
	v_lshl_add_u32 v1, v1, 23, v3
	v_or3_b32 v0, v2, v1, v0
.LBB4_7351:                             ;   in Loop: Header=BB4_7295 Depth=2
	s_or_b64 exec, exec, s[78:79]
.LBB4_7352:                             ;   in Loop: Header=BB4_7295 Depth=2
	s_or_b64 exec, exec, s[76:77]
.LBB4_7353:                             ;   in Loop: Header=BB4_7295 Depth=2
	s_or_b64 exec, exec, s[20:21]
	v_mul_f32_e32 v1, v61, v0
	v_and_b32_e32 v14, 0x7f800000, v1
	v_cmp_ne_u64_e32 vcc, s[46:47], v[14:15]
                                        ; implicit-def: $vgpr0
                                        ; kill: killed $vgpr0
	s_and_saveexec_b64 s[20:21], vcc
	s_xor_b64 s[76:77], exec, s[20:21]
	s_cbranch_execz .LBB4_7367
; %bb.7354:                             ;   in Loop: Header=BB4_7295 Depth=2
	v_and_b32_e32 v14, 0x7fffffff, v1
	v_cmp_gt_u64_e32 vcc, s[56:57], v[14:15]
	v_and_b32_sdwa v0, v1, s48 dst_sel:DWORD dst_unused:UNUSED_PAD src0_sel:BYTE_3 src1_sel:DWORD
                                        ; implicit-def: $vgpr2
                                        ; kill: killed $vgpr2
	s_and_saveexec_b64 s[20:21], vcc
	s_xor_b64 s[78:79], exec, s[20:21]
	s_cbranch_execz .LBB4_7364
; %bb.7355:                             ;   in Loop: Header=BB4_7295 Depth=2
	v_mov_b32_e32 v2, 0
	v_cmp_ne_u32_e32 vcc, 0, v1
	buffer_store_dword v2, off, s[0:3], s33 offset:136 ; 4-byte Folded Spill
	s_and_saveexec_b64 s[88:89], vcc
	s_cbranch_execz .LBB4_7363
; %bb.7356:                             ;   in Loop: Header=BB4_7295 Depth=2
	v_and_b32_e32 v3, 0x7fffff, v1
	v_bfe_u32 v1, v1, 23, 8
	v_cmp_gt_u32_e64 s[20:21], s49, v1
	v_sub_u32_e32 v2, 0x79, v1
	v_cmp_eq_u32_e32 vcc, 0, v1
	v_cndmask_b32_e64 v2, 0, v2, s[20:21]
	v_or_b32_e32 v4, 0x800000, v3
	v_cndmask_b32_e32 v2, v2, v47, vcc
	v_cndmask_b32_e32 v14, v4, v3, vcc
	v_add_u32_e32 v3, 20, v2
	v_lshlrev_b64 v[3:4], v3, -1
	v_add_u32_e32 v5, 19, v2
	v_lshlrev_b64 v[5:6], v5, 1
	v_lshrrev_b64 v[40:41], v2, v[14:15]
	v_bfi_b32 v4, v4, 0, 0
	v_bfi_b32 v3, v3, 0, v14
	v_cmp_eq_u64_e64 s[20:21], v[3:4], v[5:6]
	v_mov_b32_e32 v42, v41
	v_mov_b32_e32 v41, v40
	s_and_saveexec_b64 s[90:91], s[20:21]
; %bb.7357:                             ;   in Loop: Header=BB4_7295 Depth=2
	v_bfe_u32 v3, v40, 20, 1
	v_add_co_u32_e64 v3, s[20:21], v40, v3
	v_add_co_u32_e64 v41, s[20:21], -1, v3
; %bb.7358:                             ;   in Loop: Header=BB4_7295 Depth=2
	s_or_b64 exec, exec, s[90:91]
	v_add_u32_e32 v1, 0xffffff81, v1
	v_cndmask_b32_e32 v1, v1, v44, vcc
	v_lshrrev_b32_e32 v3, 23, v40
	v_add3_u32 v3, v2, v1, v3
	v_add_u32_e32 v2, 6, v3
	v_and_b32_e32 v1, 0xfffff, v41
	v_add_u32_e32 v14, v1, v40
	v_cmp_ne_u32_e32 vcc, 0, v2
                                        ; implicit-def: $vgpr40_vgpr41
                                        ; implicit-def: $vgpr1
	s_and_saveexec_b64 s[20:21], vcc
	s_xor_b64 s[20:21], exec, s[20:21]
; %bb.7359:                             ;   in Loop: Header=BB4_7295 Depth=2
	v_cmp_lt_u64_e32 vcc, s[58:59], v[14:15]
	v_add_u32_e32 v1, 7, v3
	v_cndmask_b32_e32 v1, v2, v1, vcc
	v_cndmask_b32_e64 v2, 0, 1, vcc
	v_lshrrev_b64 v[40:41], v2, v[14:15]
; %bb.7360:                             ;   in Loop: Header=BB4_7295 Depth=2
	s_andn2_saveexec_b64 s[20:21], s[20:21]
; %bb.7361:                             ;   in Loop: Header=BB4_7295 Depth=2
	v_mov_b32_e32 v41, v15
	v_bfe_u32 v1, v14, 23, 1
	v_mov_b32_e32 v40, v14
; %bb.7362:                             ;   in Loop: Header=BB4_7295 Depth=2
	s_or_b64 exec, exec, s[20:21]
	v_lshrrev_b64 v[2:3], 20, v[40:41]
	v_cmp_gt_i32_e32 vcc, 16, v1
	v_cndmask_b32_e32 v3, 0, v3, vcc
	v_cndmask_b32_e32 v2, 7, v2, vcc
	v_cmp_eq_u32_e32 vcc, 0, v1
	v_min_i32_e32 v1, 15, v1
	v_cmp_eq_u64_e64 s[20:21], 0, v[2:3]
	v_lshlrev_b32_e32 v1, 3, v1
	v_and_b32_e32 v1, 0xf8, v1
	v_and_or_b32 v1, v2, 7, v1
	s_and_b64 s[20:21], vcc, s[20:21]
	v_cndmask_b32_e64 v1, v1, 0, s[20:21]
	v_or_b32_e32 v0, v1, v0
	buffer_store_dword v0, off, s[0:3], s33 offset:136 ; 4-byte Folded Spill
.LBB4_7363:                             ;   in Loop: Header=BB4_7295 Depth=2
	s_or_b64 exec, exec, s[88:89]
                                        ; implicit-def: $vgpr0
.LBB4_7364:                             ;   in Loop: Header=BB4_7295 Depth=2
	s_andn2_saveexec_b64 s[20:21], s[78:79]
	s_cbranch_execz .LBB4_7366
; %bb.7365:                             ;   in Loop: Header=BB4_7295 Depth=2
	v_or_b32_e32 v0, 0x7e, v0
	buffer_store_dword v0, off, s[0:3], s33 offset:136 ; 4-byte Folded Spill
.LBB4_7366:                             ;   in Loop: Header=BB4_7295 Depth=2
	s_or_b64 exec, exec, s[20:21]
                                        ; implicit-def: $vgpr1
.LBB4_7367:                             ;   in Loop: Header=BB4_7295 Depth=2
	s_andn2_saveexec_b64 s[20:21], s[76:77]
	s_cbranch_execz .LBB4_7369
; %bb.7368:                             ;   in Loop: Header=BB4_7295 Depth=2
	v_or_b32_sdwa v0, v1, s39 dst_sel:DWORD dst_unused:UNUSED_PAD src0_sel:BYTE_3 src1_sel:DWORD
	buffer_store_dword v0, off, s[0:3], s33 offset:136 ; 4-byte Folded Spill
.LBB4_7369:                             ;   in Loop: Header=BB4_7295 Depth=2
	s_or_b64 exec, exec, s[20:21]
	v_cmp_lt_u32_e32 vcc, s61, v10
	v_mov_b32_e32 v0, 0
	s_and_saveexec_b64 s[20:21], vcc
	s_cbranch_execz .LBB4_7375
; %bb.7370:                             ;   in Loop: Header=BB4_7295 Depth=2
	v_lshrrev_b32_e32 v14, 24, v10
	v_cmp_ne_u32_e32 vcc, s48, v14
	v_bfrev_b32_e32 v0, 1
	s_and_saveexec_b64 s[76:77], vcc
	s_cbranch_execz .LBB4_7374
; %bb.7371:                             ;   in Loop: Header=BB4_7295 Depth=2
	v_bfe_u32 v1, v10, 24, 7
	v_cmp_ne_u32_e32 vcc, s39, v1
	v_mov_b32_e32 v0, 0x7f800001
	s_and_saveexec_b64 s[78:79], vcc
	s_cbranch_execz .LBB4_7373
; %bb.7372:                             ;   in Loop: Header=BB4_7295 Depth=2
	v_and_b32_e32 v2, 7, v14
	v_ffbh_u32_e32 v0, v2
	v_min_u32_e32 v4, 32, v0
	v_subrev_u32_e32 v0, 28, v4
	v_lshrrev_b32_e32 v3, 3, v1
	v_cmp_gt_u32_e32 vcc, 8, v1
	v_lshlrev_b64 v[0:1], v0, v[14:15]
	v_sub_u32_e32 v1, 29, v4
	v_and_b32_e32 v0, 7, v0
	v_cndmask_b32_e32 v1, v3, v1, vcc
	v_cndmask_b32_e32 v0, v2, v0, vcc
	v_lshlrev_b32_e32 v2, 24, v14
	v_bfrev_b32_e32 v3, 60
	v_lshlrev_b32_e32 v0, 20, v0
	v_and_b32_e32 v2, 0x80000000, v2
	v_lshl_add_u32 v1, v1, 23, v3
	v_or3_b32 v0, v2, v1, v0
.LBB4_7373:                             ;   in Loop: Header=BB4_7295 Depth=2
	s_or_b64 exec, exec, s[78:79]
.LBB4_7374:                             ;   in Loop: Header=BB4_7295 Depth=2
	s_or_b64 exec, exec, s[76:77]
.LBB4_7375:                             ;   in Loop: Header=BB4_7295 Depth=2
	s_or_b64 exec, exec, s[20:21]
	v_mul_f32_e32 v1, v61, v0
	v_and_b32_e32 v14, 0x7f800000, v1
	v_cmp_ne_u64_e32 vcc, s[46:47], v[14:15]
                                        ; implicit-def: $vgpr0
                                        ; kill: killed $vgpr0
	s_and_saveexec_b64 s[20:21], vcc
	s_xor_b64 s[76:77], exec, s[20:21]
	s_cbranch_execz .LBB4_7389
; %bb.7376:                             ;   in Loop: Header=BB4_7295 Depth=2
	v_and_b32_e32 v14, 0x7fffffff, v1
	v_cmp_gt_u64_e32 vcc, s[56:57], v[14:15]
	v_and_b32_sdwa v0, v1, s48 dst_sel:DWORD dst_unused:UNUSED_PAD src0_sel:BYTE_3 src1_sel:DWORD
                                        ; implicit-def: $vgpr2
                                        ; kill: killed $vgpr2
	s_and_saveexec_b64 s[20:21], vcc
	s_xor_b64 s[78:79], exec, s[20:21]
	s_cbranch_execz .LBB4_7386
; %bb.7377:                             ;   in Loop: Header=BB4_7295 Depth=2
	v_mov_b32_e32 v2, 0
	v_cmp_ne_u32_e32 vcc, 0, v1
	buffer_store_dword v2, off, s[0:3], s33 offset:140 ; 4-byte Folded Spill
	s_and_saveexec_b64 s[88:89], vcc
	s_cbranch_execz .LBB4_7385
; %bb.7378:                             ;   in Loop: Header=BB4_7295 Depth=2
	v_and_b32_e32 v3, 0x7fffff, v1
	v_bfe_u32 v1, v1, 23, 8
	v_cmp_gt_u32_e64 s[20:21], s49, v1
	v_sub_u32_e32 v2, 0x79, v1
	v_cmp_eq_u32_e32 vcc, 0, v1
	v_cndmask_b32_e64 v2, 0, v2, s[20:21]
	v_or_b32_e32 v4, 0x800000, v3
	v_cndmask_b32_e32 v2, v2, v47, vcc
	v_cndmask_b32_e32 v14, v4, v3, vcc
	v_add_u32_e32 v3, 20, v2
	v_lshlrev_b64 v[3:4], v3, -1
	v_add_u32_e32 v5, 19, v2
	v_lshlrev_b64 v[5:6], v5, 1
	v_lshrrev_b64 v[40:41], v2, v[14:15]
	v_bfi_b32 v4, v4, 0, 0
	v_bfi_b32 v3, v3, 0, v14
	v_cmp_eq_u64_e64 s[20:21], v[3:4], v[5:6]
	v_mov_b32_e32 v42, v41
	v_mov_b32_e32 v41, v40
	s_and_saveexec_b64 s[90:91], s[20:21]
; %bb.7379:                             ;   in Loop: Header=BB4_7295 Depth=2
	v_bfe_u32 v3, v40, 20, 1
	v_add_co_u32_e64 v3, s[20:21], v40, v3
	v_add_co_u32_e64 v41, s[20:21], -1, v3
; %bb.7380:                             ;   in Loop: Header=BB4_7295 Depth=2
	s_or_b64 exec, exec, s[90:91]
	v_add_u32_e32 v1, 0xffffff81, v1
	v_cndmask_b32_e32 v1, v1, v44, vcc
	v_lshrrev_b32_e32 v3, 23, v40
	v_add3_u32 v3, v2, v1, v3
	v_add_u32_e32 v2, 6, v3
	v_and_b32_e32 v1, 0xfffff, v41
	v_add_u32_e32 v14, v1, v40
	v_cmp_ne_u32_e32 vcc, 0, v2
                                        ; implicit-def: $vgpr40_vgpr41
                                        ; implicit-def: $vgpr1
	s_and_saveexec_b64 s[20:21], vcc
	s_xor_b64 s[20:21], exec, s[20:21]
; %bb.7381:                             ;   in Loop: Header=BB4_7295 Depth=2
	v_cmp_lt_u64_e32 vcc, s[58:59], v[14:15]
	v_add_u32_e32 v1, 7, v3
	v_cndmask_b32_e32 v1, v2, v1, vcc
	v_cndmask_b32_e64 v2, 0, 1, vcc
	v_lshrrev_b64 v[40:41], v2, v[14:15]
; %bb.7382:                             ;   in Loop: Header=BB4_7295 Depth=2
	s_andn2_saveexec_b64 s[20:21], s[20:21]
; %bb.7383:                             ;   in Loop: Header=BB4_7295 Depth=2
	v_mov_b32_e32 v41, v15
	v_bfe_u32 v1, v14, 23, 1
	v_mov_b32_e32 v40, v14
; %bb.7384:                             ;   in Loop: Header=BB4_7295 Depth=2
	s_or_b64 exec, exec, s[20:21]
	v_lshrrev_b64 v[2:3], 20, v[40:41]
	v_cmp_gt_i32_e32 vcc, 16, v1
	v_cndmask_b32_e32 v3, 0, v3, vcc
	v_cndmask_b32_e32 v2, 7, v2, vcc
	v_cmp_eq_u32_e32 vcc, 0, v1
	v_min_i32_e32 v1, 15, v1
	v_cmp_eq_u64_e64 s[20:21], 0, v[2:3]
	v_lshlrev_b32_e32 v1, 3, v1
	v_and_b32_e32 v1, 0xf8, v1
	v_and_or_b32 v1, v2, 7, v1
	s_and_b64 s[20:21], vcc, s[20:21]
	v_cndmask_b32_e64 v1, v1, 0, s[20:21]
	v_or_b32_e32 v0, v1, v0
	buffer_store_dword v0, off, s[0:3], s33 offset:140 ; 4-byte Folded Spill
.LBB4_7385:                             ;   in Loop: Header=BB4_7295 Depth=2
	s_or_b64 exec, exec, s[88:89]
                                        ; implicit-def: $vgpr0
.LBB4_7386:                             ;   in Loop: Header=BB4_7295 Depth=2
	s_andn2_saveexec_b64 s[20:21], s[78:79]
	s_cbranch_execz .LBB4_7388
; %bb.7387:                             ;   in Loop: Header=BB4_7295 Depth=2
	v_or_b32_e32 v0, 0x7e, v0
	buffer_store_dword v0, off, s[0:3], s33 offset:140 ; 4-byte Folded Spill
.LBB4_7388:                             ;   in Loop: Header=BB4_7295 Depth=2
	s_or_b64 exec, exec, s[20:21]
                                        ; implicit-def: $vgpr1
.LBB4_7389:                             ;   in Loop: Header=BB4_7295 Depth=2
	s_andn2_saveexec_b64 s[20:21], s[76:77]
	s_cbranch_execz .LBB4_7391
; %bb.7390:                             ;   in Loop: Header=BB4_7295 Depth=2
	v_or_b32_sdwa v0, v1, s39 dst_sel:DWORD dst_unused:UNUSED_PAD src0_sel:BYTE_3 src1_sel:DWORD
	buffer_store_dword v0, off, s[0:3], s33 offset:140 ; 4-byte Folded Spill
.LBB4_7391:                             ;   in Loop: Header=BB4_7295 Depth=2
	s_or_b64 exec, exec, s[20:21]
	v_mov_b32_e32 v14, v11
	v_cmp_ne_u16_sdwa s[76:77], v11, v15 src0_sel:BYTE_0 src1_sel:DWORD
	v_mov_b32_e32 v0, 0
	s_and_saveexec_b64 s[20:21], s[76:77]
	s_cbranch_execz .LBB4_7397
; %bb.7392:                             ;   in Loop: Header=BB4_7295 Depth=2
	v_cmp_ne_u16_sdwa s[78:79], v11, s48 src0_sel:BYTE_0 src1_sel:DWORD
	v_bfrev_b32_e32 v0, 1
	s_and_saveexec_b64 s[76:77], s[78:79]
	s_cbranch_execz .LBB4_7396
; %bb.7393:                             ;   in Loop: Header=BB4_7295 Depth=2
	v_and_b32_e32 v1, 0x7f, v11
	v_cmp_ne_u32_e32 vcc, s39, v1
	v_mov_b32_e32 v0, 0x7f800001
	s_and_saveexec_b64 s[78:79], vcc
	s_cbranch_execz .LBB4_7395
; %bb.7394:                             ;   in Loop: Header=BB4_7295 Depth=2
	v_and_b32_e32 v0, 7, v11
	v_ffbh_u32_e32 v0, v0
	v_min_u32_e32 v0, 32, v0
	v_lshrrev_b32_e32 v2, 3, v1
	v_cmp_gt_u32_e32 vcc, 8, v1
	v_subrev_u32_e32 v1, 28, v0
	v_sub_u32_e32 v0, 29, v0
	v_cndmask_b32_e32 v2, v2, v0, vcc
	v_cndmask_b32_e32 v0, 0, v1, vcc
	v_lshlrev_b64 v[0:1], v0, v[14:15]
	v_lshlrev_b32_e32 v1, 24, v14
	v_lshlrev_b32_e32 v0, 20, v0
	v_bfrev_b32_e32 v3, 60
	v_and_b32_e32 v0, 0x700000, v0
	v_and_b32_e32 v1, 0x80000000, v1
	v_lshl_add_u32 v2, v2, 23, v3
	v_or3_b32 v0, v1, v2, v0
.LBB4_7395:                             ;   in Loop: Header=BB4_7295 Depth=2
	s_or_b64 exec, exec, s[78:79]
.LBB4_7396:                             ;   in Loop: Header=BB4_7295 Depth=2
	s_or_b64 exec, exec, s[76:77]
.LBB4_7397:                             ;   in Loop: Header=BB4_7295 Depth=2
	s_or_b64 exec, exec, s[20:21]
	v_mul_f32_e32 v1, v61, v0
	v_and_b32_e32 v2, 0x7f800000, v1
	v_mov_b32_e32 v3, v15
	v_cmp_ne_u64_e32 vcc, s[46:47], v[2:3]
                                        ; implicit-def: $vgpr0
                                        ; kill: killed $vgpr0
	s_and_saveexec_b64 s[20:21], vcc
	s_xor_b64 s[76:77], exec, s[20:21]
	s_cbranch_execz .LBB4_7411
; %bb.7398:                             ;   in Loop: Header=BB4_7295 Depth=2
	v_and_b32_e32 v2, 0x7fffffff, v1
	v_mov_b32_e32 v3, v15
	v_cmp_gt_u64_e32 vcc, s[56:57], v[2:3]
	v_and_b32_sdwa v0, v1, s48 dst_sel:DWORD dst_unused:UNUSED_PAD src0_sel:BYTE_3 src1_sel:DWORD
                                        ; implicit-def: $vgpr2
                                        ; kill: killed $vgpr2
	s_and_saveexec_b64 s[20:21], vcc
	s_xor_b64 s[78:79], exec, s[20:21]
	s_cbranch_execz .LBB4_7408
; %bb.7399:                             ;   in Loop: Header=BB4_7295 Depth=2
	v_mov_b32_e32 v2, 0
	v_cmp_ne_u32_e32 vcc, 0, v1
	buffer_store_dword v2, off, s[0:3], s33 offset:144 ; 4-byte Folded Spill
	s_and_saveexec_b64 s[88:89], vcc
	s_cbranch_execz .LBB4_7407
; %bb.7400:                             ;   in Loop: Header=BB4_7295 Depth=2
	v_and_b32_e32 v3, 0x7fffff, v1
	v_bfe_u32 v1, v1, 23, 8
	v_cmp_gt_u32_e64 s[20:21], s49, v1
	v_sub_u32_e32 v2, 0x79, v1
	v_cmp_eq_u32_e32 vcc, 0, v1
	v_cndmask_b32_e64 v2, 0, v2, s[20:21]
	v_cndmask_b32_e32 v2, v2, v47, vcc
	v_or_b32_e32 v4, 0x800000, v3
	v_add_u32_e32 v5, 20, v2
	v_cndmask_b32_e32 v3, v4, v3, vcc
	v_mov_b32_e32 v4, v15
	v_lshlrev_b64 v[5:6], v5, -1
	v_add_u32_e32 v7, 19, v2
	v_lshlrev_b64 v[7:8], v7, 1
	v_lshrrev_b64 v[40:41], v2, v[3:4]
	v_bfi_b32 v6, v6, 0, 0
	v_bfi_b32 v5, v5, 0, v3
	v_cmp_eq_u64_e64 s[20:21], v[5:6], v[7:8]
	v_mov_b32_e32 v42, v41
	v_mov_b32_e32 v41, v40
	s_and_saveexec_b64 s[90:91], s[20:21]
; %bb.7401:                             ;   in Loop: Header=BB4_7295 Depth=2
	v_bfe_u32 v3, v40, 20, 1
	v_add_co_u32_e64 v3, s[20:21], v40, v3
	v_add_co_u32_e64 v41, s[20:21], -1, v3
; %bb.7402:                             ;   in Loop: Header=BB4_7295 Depth=2
	s_or_b64 exec, exec, s[90:91]
	v_add_u32_e32 v1, 0xffffff81, v1
	v_cndmask_b32_e32 v1, v1, v44, vcc
	v_lshrrev_b32_e32 v3, 23, v40
	v_add3_u32 v3, v2, v1, v3
	v_add_u32_e32 v2, 6, v3
	v_and_b32_e32 v1, 0xfffff, v41
	v_add_u32_e32 v40, v1, v40
	v_mov_b32_e32 v41, v15
	v_cmp_ne_u32_e32 vcc, 0, v2
                                        ; implicit-def: $vgpr1
	s_and_saveexec_b64 s[20:21], vcc
	s_xor_b64 s[20:21], exec, s[20:21]
; %bb.7403:                             ;   in Loop: Header=BB4_7295 Depth=2
	v_cmp_lt_u64_e32 vcc, s[58:59], v[40:41]
	v_add_u32_e32 v1, 7, v3
	v_cndmask_b32_e32 v1, v2, v1, vcc
	v_cndmask_b32_e64 v2, 0, 1, vcc
	v_lshrrev_b64 v[40:41], v2, v[40:41]
; %bb.7404:                             ;   in Loop: Header=BB4_7295 Depth=2
	s_andn2_saveexec_b64 s[20:21], s[20:21]
; %bb.7405:                             ;   in Loop: Header=BB4_7295 Depth=2
	v_bfe_u32 v1, v40, 23, 1
; %bb.7406:                             ;   in Loop: Header=BB4_7295 Depth=2
	s_or_b64 exec, exec, s[20:21]
	v_lshrrev_b64 v[2:3], 20, v[40:41]
	v_cmp_gt_i32_e32 vcc, 16, v1
	v_cndmask_b32_e32 v3, 0, v3, vcc
	v_cndmask_b32_e32 v2, 7, v2, vcc
	v_cmp_eq_u32_e32 vcc, 0, v1
	v_min_i32_e32 v1, 15, v1
	v_cmp_eq_u64_e64 s[20:21], 0, v[2:3]
	v_lshlrev_b32_e32 v1, 3, v1
	v_and_b32_e32 v1, 0xf8, v1
	v_and_or_b32 v1, v2, 7, v1
	s_and_b64 s[20:21], vcc, s[20:21]
	v_cndmask_b32_e64 v1, v1, 0, s[20:21]
	v_or_b32_e32 v0, v1, v0
	buffer_store_dword v0, off, s[0:3], s33 offset:144 ; 4-byte Folded Spill
.LBB4_7407:                             ;   in Loop: Header=BB4_7295 Depth=2
	s_or_b64 exec, exec, s[88:89]
                                        ; implicit-def: $vgpr0
.LBB4_7408:                             ;   in Loop: Header=BB4_7295 Depth=2
	s_andn2_saveexec_b64 s[20:21], s[78:79]
	s_cbranch_execz .LBB4_7410
; %bb.7409:                             ;   in Loop: Header=BB4_7295 Depth=2
	v_or_b32_e32 v0, 0x7e, v0
	buffer_store_dword v0, off, s[0:3], s33 offset:144 ; 4-byte Folded Spill
.LBB4_7410:                             ;   in Loop: Header=BB4_7295 Depth=2
	s_or_b64 exec, exec, s[20:21]
                                        ; implicit-def: $vgpr1
.LBB4_7411:                             ;   in Loop: Header=BB4_7295 Depth=2
	s_andn2_saveexec_b64 s[20:21], s[76:77]
	s_cbranch_execz .LBB4_7413
; %bb.7412:                             ;   in Loop: Header=BB4_7295 Depth=2
	v_or_b32_sdwa v0, v1, s39 dst_sel:DWORD dst_unused:UNUSED_PAD src0_sel:BYTE_3 src1_sel:DWORD
	buffer_store_dword v0, off, s[0:3], s33 offset:144 ; 4-byte Folded Spill
.LBB4_7413:                             ;   in Loop: Header=BB4_7295 Depth=2
	s_or_b64 exec, exec, s[20:21]
	v_lshrrev_b16_e32 v30, 8, v14
	v_cmp_ne_u16_e32 vcc, 0, v30
	v_mov_b32_e32 v0, 0
	s_and_saveexec_b64 s[20:21], vcc
	s_cbranch_execz .LBB4_7419
; %bb.7414:                             ;   in Loop: Header=BB4_7295 Depth=2
	v_cmp_ne_u16_e32 vcc, s48, v30
	v_bfrev_b32_e32 v0, 1
	s_and_saveexec_b64 s[76:77], vcc
	s_cbranch_execz .LBB4_7418
; %bb.7415:                             ;   in Loop: Header=BB4_7295 Depth=2
	v_and_b32_e32 v1, 0x7f, v30
	v_cmp_ne_u32_e32 vcc, s39, v1
	v_mov_b32_e32 v0, 0x7f800001
	s_and_saveexec_b64 s[78:79], vcc
	s_cbranch_execz .LBB4_7417
; %bb.7416:                             ;   in Loop: Header=BB4_7295 Depth=2
	v_and_b32_e32 v2, 7, v30
	v_ffbh_u32_e32 v0, v2
	v_min_u32_e32 v4, 32, v0
	v_subrev_u32_e32 v0, 28, v4
	v_lshrrev_b32_e32 v3, 3, v1
	v_cmp_gt_u32_e32 vcc, 8, v1
	v_lshlrev_b64 v[0:1], v0, v[30:31]
	v_sub_u32_e32 v1, 29, v4
	v_and_b32_e32 v0, 7, v0
	v_cndmask_b32_e32 v1, v3, v1, vcc
	v_cndmask_b32_e32 v0, v2, v0, vcc
	v_lshlrev_b32_e32 v2, 16, v14
	v_bfrev_b32_e32 v3, 60
	v_lshlrev_b32_e32 v0, 20, v0
	v_and_b32_e32 v2, 0x80000000, v2
	v_lshl_add_u32 v1, v1, 23, v3
	v_or3_b32 v0, v2, v1, v0
.LBB4_7417:                             ;   in Loop: Header=BB4_7295 Depth=2
	s_or_b64 exec, exec, s[78:79]
.LBB4_7418:                             ;   in Loop: Header=BB4_7295 Depth=2
	s_or_b64 exec, exec, s[76:77]
.LBB4_7419:                             ;   in Loop: Header=BB4_7295 Depth=2
	s_or_b64 exec, exec, s[20:21]
	v_mul_f32_e32 v1, v61, v0
	v_and_b32_e32 v14, 0x7f800000, v1
	v_cmp_ne_u64_e32 vcc, s[46:47], v[14:15]
                                        ; implicit-def: $vgpr0
                                        ; kill: killed $vgpr0
	s_and_saveexec_b64 s[20:21], vcc
	s_xor_b64 s[76:77], exec, s[20:21]
	s_cbranch_execz .LBB4_7433
; %bb.7420:                             ;   in Loop: Header=BB4_7295 Depth=2
	v_and_b32_e32 v14, 0x7fffffff, v1
	v_cmp_gt_u64_e32 vcc, s[56:57], v[14:15]
	v_and_b32_sdwa v0, v1, s48 dst_sel:DWORD dst_unused:UNUSED_PAD src0_sel:BYTE_3 src1_sel:DWORD
                                        ; implicit-def: $vgpr2
                                        ; kill: killed $vgpr2
	s_and_saveexec_b64 s[20:21], vcc
	s_xor_b64 s[78:79], exec, s[20:21]
	s_cbranch_execz .LBB4_7430
; %bb.7421:                             ;   in Loop: Header=BB4_7295 Depth=2
	v_mov_b32_e32 v2, 0
	v_cmp_ne_u32_e32 vcc, 0, v1
	buffer_store_dword v2, off, s[0:3], s33 offset:148 ; 4-byte Folded Spill
	s_and_saveexec_b64 s[88:89], vcc
	s_cbranch_execz .LBB4_7429
; %bb.7422:                             ;   in Loop: Header=BB4_7295 Depth=2
	v_and_b32_e32 v3, 0x7fffff, v1
	v_bfe_u32 v1, v1, 23, 8
	v_cmp_gt_u32_e64 s[20:21], s49, v1
	v_sub_u32_e32 v2, 0x79, v1
	v_cmp_eq_u32_e32 vcc, 0, v1
	v_cndmask_b32_e64 v2, 0, v2, s[20:21]
	v_or_b32_e32 v4, 0x800000, v3
	v_cndmask_b32_e32 v2, v2, v47, vcc
	v_cndmask_b32_e32 v14, v4, v3, vcc
	v_add_u32_e32 v3, 20, v2
	v_lshlrev_b64 v[3:4], v3, -1
	v_add_u32_e32 v5, 19, v2
	v_lshlrev_b64 v[5:6], v5, 1
	v_lshrrev_b64 v[40:41], v2, v[14:15]
	v_bfi_b32 v4, v4, 0, 0
	v_bfi_b32 v3, v3, 0, v14
	v_cmp_eq_u64_e64 s[20:21], v[3:4], v[5:6]
	v_mov_b32_e32 v42, v41
	v_mov_b32_e32 v41, v40
	s_and_saveexec_b64 s[90:91], s[20:21]
; %bb.7423:                             ;   in Loop: Header=BB4_7295 Depth=2
	v_bfe_u32 v3, v40, 20, 1
	v_add_co_u32_e64 v3, s[20:21], v40, v3
	v_add_co_u32_e64 v41, s[20:21], -1, v3
; %bb.7424:                             ;   in Loop: Header=BB4_7295 Depth=2
	s_or_b64 exec, exec, s[90:91]
	v_add_u32_e32 v1, 0xffffff81, v1
	v_cndmask_b32_e32 v1, v1, v44, vcc
	v_lshrrev_b32_e32 v3, 23, v40
	v_add3_u32 v3, v2, v1, v3
	v_add_u32_e32 v2, 6, v3
	v_and_b32_e32 v1, 0xfffff, v41
	v_add_u32_e32 v14, v1, v40
	v_cmp_ne_u32_e32 vcc, 0, v2
                                        ; implicit-def: $vgpr40_vgpr41
                                        ; implicit-def: $vgpr1
	s_and_saveexec_b64 s[20:21], vcc
	s_xor_b64 s[20:21], exec, s[20:21]
; %bb.7425:                             ;   in Loop: Header=BB4_7295 Depth=2
	v_cmp_lt_u64_e32 vcc, s[58:59], v[14:15]
	v_add_u32_e32 v1, 7, v3
	v_cndmask_b32_e32 v1, v2, v1, vcc
	v_cndmask_b32_e64 v2, 0, 1, vcc
	v_lshrrev_b64 v[40:41], v2, v[14:15]
; %bb.7426:                             ;   in Loop: Header=BB4_7295 Depth=2
	s_andn2_saveexec_b64 s[20:21], s[20:21]
; %bb.7427:                             ;   in Loop: Header=BB4_7295 Depth=2
	v_mov_b32_e32 v41, v15
	v_bfe_u32 v1, v14, 23, 1
	v_mov_b32_e32 v40, v14
; %bb.7428:                             ;   in Loop: Header=BB4_7295 Depth=2
	s_or_b64 exec, exec, s[20:21]
	v_lshrrev_b64 v[2:3], 20, v[40:41]
	v_cmp_gt_i32_e32 vcc, 16, v1
	v_cndmask_b32_e32 v3, 0, v3, vcc
	v_cndmask_b32_e32 v2, 7, v2, vcc
	v_cmp_eq_u32_e32 vcc, 0, v1
	v_min_i32_e32 v1, 15, v1
	v_cmp_eq_u64_e64 s[20:21], 0, v[2:3]
	v_lshlrev_b32_e32 v1, 3, v1
	v_and_b32_e32 v1, 0xf8, v1
	v_and_or_b32 v1, v2, 7, v1
	s_and_b64 s[20:21], vcc, s[20:21]
	v_cndmask_b32_e64 v1, v1, 0, s[20:21]
	v_or_b32_e32 v0, v1, v0
	buffer_store_dword v0, off, s[0:3], s33 offset:148 ; 4-byte Folded Spill
.LBB4_7429:                             ;   in Loop: Header=BB4_7295 Depth=2
	s_or_b64 exec, exec, s[88:89]
                                        ; implicit-def: $vgpr0
.LBB4_7430:                             ;   in Loop: Header=BB4_7295 Depth=2
	s_andn2_saveexec_b64 s[20:21], s[78:79]
	s_cbranch_execz .LBB4_7432
; %bb.7431:                             ;   in Loop: Header=BB4_7295 Depth=2
	v_or_b32_e32 v0, 0x7e, v0
	buffer_store_dword v0, off, s[0:3], s33 offset:148 ; 4-byte Folded Spill
.LBB4_7432:                             ;   in Loop: Header=BB4_7295 Depth=2
	s_or_b64 exec, exec, s[20:21]
                                        ; implicit-def: $vgpr1
.LBB4_7433:                             ;   in Loop: Header=BB4_7295 Depth=2
	s_andn2_saveexec_b64 s[20:21], s[76:77]
	s_cbranch_execz .LBB4_7435
; %bb.7434:                             ;   in Loop: Header=BB4_7295 Depth=2
	v_or_b32_sdwa v0, v1, s39 dst_sel:DWORD dst_unused:UNUSED_PAD src0_sel:BYTE_3 src1_sel:DWORD
	buffer_store_dword v0, off, s[0:3], s33 offset:148 ; 4-byte Folded Spill
.LBB4_7435:                             ;   in Loop: Header=BB4_7295 Depth=2
	s_or_b64 exec, exec, s[20:21]
	v_lshrrev_b32_e32 v14, 16, v11
	v_cmp_ne_u16_sdwa s[76:77], v14, v15 src0_sel:BYTE_0 src1_sel:DWORD
	v_mov_b32_e32 v0, 0
	s_and_saveexec_b64 s[20:21], s[76:77]
	s_cbranch_execz .LBB4_7441
; %bb.7436:                             ;   in Loop: Header=BB4_7295 Depth=2
	v_cmp_ne_u16_sdwa s[78:79], v14, s48 src0_sel:BYTE_0 src1_sel:DWORD
	v_bfrev_b32_e32 v0, 1
	s_and_saveexec_b64 s[76:77], s[78:79]
	s_cbranch_execz .LBB4_7440
; %bb.7437:                             ;   in Loop: Header=BB4_7295 Depth=2
	v_bfe_u32 v1, v11, 16, 7
	v_cmp_ne_u32_e32 vcc, s39, v1
	v_mov_b32_e32 v0, 0x7f800001
	s_and_saveexec_b64 s[78:79], vcc
	s_cbranch_execz .LBB4_7439
; %bb.7438:                             ;   in Loop: Header=BB4_7295 Depth=2
	v_and_b32_e32 v2, 7, v14
	v_ffbh_u32_e32 v0, v2
	v_min_u32_e32 v4, 32, v0
	v_subrev_u32_e32 v0, 28, v4
	v_lshrrev_b32_e32 v3, 3, v1
	v_cmp_gt_u32_e32 vcc, 8, v1
	v_lshlrev_b64 v[0:1], v0, v[14:15]
	v_sub_u32_e32 v1, 29, v4
	v_and_b32_e32 v0, 7, v0
	v_cndmask_b32_e32 v1, v3, v1, vcc
	v_cndmask_b32_e32 v0, v2, v0, vcc
	v_lshlrev_b32_e32 v2, 24, v14
	v_bfrev_b32_e32 v3, 60
	v_lshlrev_b32_e32 v0, 20, v0
	v_and_b32_e32 v2, 0x80000000, v2
	v_lshl_add_u32 v1, v1, 23, v3
	v_or3_b32 v0, v2, v1, v0
.LBB4_7439:                             ;   in Loop: Header=BB4_7295 Depth=2
	s_or_b64 exec, exec, s[78:79]
.LBB4_7440:                             ;   in Loop: Header=BB4_7295 Depth=2
	s_or_b64 exec, exec, s[76:77]
.LBB4_7441:                             ;   in Loop: Header=BB4_7295 Depth=2
	s_or_b64 exec, exec, s[20:21]
	v_mul_f32_e32 v1, v61, v0
	v_and_b32_e32 v14, 0x7f800000, v1
	v_cmp_ne_u64_e32 vcc, s[46:47], v[14:15]
                                        ; implicit-def: $vgpr0
                                        ; kill: killed $vgpr0
	s_and_saveexec_b64 s[20:21], vcc
	s_xor_b64 s[76:77], exec, s[20:21]
	s_cbranch_execz .LBB4_7455
; %bb.7442:                             ;   in Loop: Header=BB4_7295 Depth=2
	v_and_b32_e32 v14, 0x7fffffff, v1
	v_cmp_gt_u64_e32 vcc, s[56:57], v[14:15]
	v_and_b32_sdwa v0, v1, s48 dst_sel:DWORD dst_unused:UNUSED_PAD src0_sel:BYTE_3 src1_sel:DWORD
                                        ; implicit-def: $vgpr2
                                        ; kill: killed $vgpr2
	s_and_saveexec_b64 s[20:21], vcc
	s_xor_b64 s[78:79], exec, s[20:21]
	s_cbranch_execz .LBB4_7452
; %bb.7443:                             ;   in Loop: Header=BB4_7295 Depth=2
	v_mov_b32_e32 v2, 0
	v_cmp_ne_u32_e32 vcc, 0, v1
	buffer_store_dword v2, off, s[0:3], s33 offset:152 ; 4-byte Folded Spill
	s_and_saveexec_b64 s[88:89], vcc
	s_cbranch_execz .LBB4_7451
; %bb.7444:                             ;   in Loop: Header=BB4_7295 Depth=2
	v_and_b32_e32 v3, 0x7fffff, v1
	v_bfe_u32 v1, v1, 23, 8
	v_cmp_gt_u32_e64 s[20:21], s49, v1
	v_sub_u32_e32 v2, 0x79, v1
	v_cmp_eq_u32_e32 vcc, 0, v1
	v_cndmask_b32_e64 v2, 0, v2, s[20:21]
	v_or_b32_e32 v4, 0x800000, v3
	v_cndmask_b32_e32 v2, v2, v47, vcc
	v_cndmask_b32_e32 v14, v4, v3, vcc
	v_add_u32_e32 v3, 20, v2
	v_lshlrev_b64 v[3:4], v3, -1
	v_add_u32_e32 v5, 19, v2
	v_lshlrev_b64 v[5:6], v5, 1
	v_lshrrev_b64 v[40:41], v2, v[14:15]
	v_bfi_b32 v4, v4, 0, 0
	v_bfi_b32 v3, v3, 0, v14
	v_cmp_eq_u64_e64 s[20:21], v[3:4], v[5:6]
	v_mov_b32_e32 v42, v41
	v_mov_b32_e32 v41, v40
	s_and_saveexec_b64 s[90:91], s[20:21]
; %bb.7445:                             ;   in Loop: Header=BB4_7295 Depth=2
	v_bfe_u32 v3, v40, 20, 1
	v_add_co_u32_e64 v3, s[20:21], v40, v3
	v_add_co_u32_e64 v41, s[20:21], -1, v3
; %bb.7446:                             ;   in Loop: Header=BB4_7295 Depth=2
	s_or_b64 exec, exec, s[90:91]
	v_add_u32_e32 v1, 0xffffff81, v1
	v_cndmask_b32_e32 v1, v1, v44, vcc
	v_lshrrev_b32_e32 v3, 23, v40
	v_add3_u32 v3, v2, v1, v3
	v_add_u32_e32 v2, 6, v3
	v_and_b32_e32 v1, 0xfffff, v41
	v_add_u32_e32 v14, v1, v40
	v_cmp_ne_u32_e32 vcc, 0, v2
                                        ; implicit-def: $vgpr40_vgpr41
                                        ; implicit-def: $vgpr1
	s_and_saveexec_b64 s[20:21], vcc
	s_xor_b64 s[20:21], exec, s[20:21]
; %bb.7447:                             ;   in Loop: Header=BB4_7295 Depth=2
	v_cmp_lt_u64_e32 vcc, s[58:59], v[14:15]
	v_add_u32_e32 v1, 7, v3
	v_cndmask_b32_e32 v1, v2, v1, vcc
	v_cndmask_b32_e64 v2, 0, 1, vcc
	v_lshrrev_b64 v[40:41], v2, v[14:15]
; %bb.7448:                             ;   in Loop: Header=BB4_7295 Depth=2
	s_andn2_saveexec_b64 s[20:21], s[20:21]
; %bb.7449:                             ;   in Loop: Header=BB4_7295 Depth=2
	v_mov_b32_e32 v41, v15
	v_bfe_u32 v1, v14, 23, 1
	v_mov_b32_e32 v40, v14
; %bb.7450:                             ;   in Loop: Header=BB4_7295 Depth=2
	s_or_b64 exec, exec, s[20:21]
	v_lshrrev_b64 v[2:3], 20, v[40:41]
	v_cmp_gt_i32_e32 vcc, 16, v1
	v_cndmask_b32_e32 v3, 0, v3, vcc
	v_cndmask_b32_e32 v2, 7, v2, vcc
	v_cmp_eq_u32_e32 vcc, 0, v1
	v_min_i32_e32 v1, 15, v1
	v_cmp_eq_u64_e64 s[20:21], 0, v[2:3]
	v_lshlrev_b32_e32 v1, 3, v1
	v_and_b32_e32 v1, 0xf8, v1
	v_and_or_b32 v1, v2, 7, v1
	s_and_b64 s[20:21], vcc, s[20:21]
	v_cndmask_b32_e64 v1, v1, 0, s[20:21]
	v_or_b32_e32 v0, v1, v0
	buffer_store_dword v0, off, s[0:3], s33 offset:152 ; 4-byte Folded Spill
.LBB4_7451:                             ;   in Loop: Header=BB4_7295 Depth=2
	s_or_b64 exec, exec, s[88:89]
                                        ; implicit-def: $vgpr0
.LBB4_7452:                             ;   in Loop: Header=BB4_7295 Depth=2
	s_andn2_saveexec_b64 s[20:21], s[78:79]
	s_cbranch_execz .LBB4_7454
; %bb.7453:                             ;   in Loop: Header=BB4_7295 Depth=2
	v_or_b32_e32 v0, 0x7e, v0
	buffer_store_dword v0, off, s[0:3], s33 offset:152 ; 4-byte Folded Spill
.LBB4_7454:                             ;   in Loop: Header=BB4_7295 Depth=2
	s_or_b64 exec, exec, s[20:21]
                                        ; implicit-def: $vgpr1
.LBB4_7455:                             ;   in Loop: Header=BB4_7295 Depth=2
	s_andn2_saveexec_b64 s[20:21], s[76:77]
	s_cbranch_execz .LBB4_7457
; %bb.7456:                             ;   in Loop: Header=BB4_7295 Depth=2
	v_or_b32_sdwa v0, v1, s39 dst_sel:DWORD dst_unused:UNUSED_PAD src0_sel:BYTE_3 src1_sel:DWORD
	buffer_store_dword v0, off, s[0:3], s33 offset:152 ; 4-byte Folded Spill
.LBB4_7457:                             ;   in Loop: Header=BB4_7295 Depth=2
	s_or_b64 exec, exec, s[20:21]
	v_cmp_lt_u64_e32 vcc, s[60:61], v[10:11]
	v_mov_b32_e32 v0, 0
	s_and_saveexec_b64 s[20:21], vcc
	s_cbranch_execz .LBB4_7463
; %bb.7458:                             ;   in Loop: Header=BB4_7295 Depth=2
	v_lshrrev_b32_e32 v10, 24, v11
	v_cmp_ne_u32_e32 vcc, s48, v10
	v_bfrev_b32_e32 v0, 1
	s_and_saveexec_b64 s[76:77], vcc
	s_cbranch_execz .LBB4_7462
; %bb.7459:                             ;   in Loop: Header=BB4_7295 Depth=2
	v_bfe_u32 v1, v11, 24, 7
	v_cmp_ne_u32_e32 vcc, s39, v1
	v_mov_b32_e32 v0, 0x7f800001
	s_and_saveexec_b64 s[78:79], vcc
	s_cbranch_execz .LBB4_7461
; %bb.7460:                             ;   in Loop: Header=BB4_7295 Depth=2
	v_and_b32_e32 v2, 7, v10
	v_ffbh_u32_e32 v0, v2
	v_min_u32_e32 v4, 32, v0
	v_subrev_u32_e32 v0, 28, v4
	v_lshrrev_b32_e32 v3, 3, v1
	v_cmp_gt_u32_e32 vcc, 8, v1
	v_lshlrev_b64 v[0:1], v0, v[10:11]
	v_sub_u32_e32 v1, 29, v4
	v_and_b32_e32 v0, 7, v0
	v_cndmask_b32_e32 v1, v3, v1, vcc
	v_cndmask_b32_e32 v0, v2, v0, vcc
	v_lshlrev_b32_e32 v2, 24, v10
	v_bfrev_b32_e32 v3, 60
	v_lshlrev_b32_e32 v0, 20, v0
	v_and_b32_e32 v2, 0x80000000, v2
	v_lshl_add_u32 v1, v1, 23, v3
	v_or3_b32 v0, v2, v1, v0
.LBB4_7461:                             ;   in Loop: Header=BB4_7295 Depth=2
	s_or_b64 exec, exec, s[78:79]
.LBB4_7462:                             ;   in Loop: Header=BB4_7295 Depth=2
	s_or_b64 exec, exec, s[76:77]
.LBB4_7463:                             ;   in Loop: Header=BB4_7295 Depth=2
	s_or_b64 exec, exec, s[20:21]
	v_mul_f32_e32 v1, v61, v0
	v_and_b32_e32 v14, 0x7f800000, v1
	v_cmp_ne_u64_e32 vcc, s[46:47], v[14:15]
                                        ; implicit-def: $vgpr0
                                        ; kill: killed $vgpr0
	s_and_saveexec_b64 s[20:21], vcc
	s_xor_b64 s[76:77], exec, s[20:21]
	s_cbranch_execz .LBB4_7477
; %bb.7464:                             ;   in Loop: Header=BB4_7295 Depth=2
	v_and_b32_e32 v14, 0x7fffffff, v1
	v_cmp_gt_u64_e32 vcc, s[56:57], v[14:15]
	v_and_b32_sdwa v0, v1, s48 dst_sel:DWORD dst_unused:UNUSED_PAD src0_sel:BYTE_3 src1_sel:DWORD
                                        ; implicit-def: $vgpr2
                                        ; kill: killed $vgpr2
	s_and_saveexec_b64 s[20:21], vcc
	s_xor_b64 s[78:79], exec, s[20:21]
	s_cbranch_execz .LBB4_7474
; %bb.7465:                             ;   in Loop: Header=BB4_7295 Depth=2
	v_mov_b32_e32 v2, 0
	v_cmp_ne_u32_e32 vcc, 0, v1
	buffer_store_dword v2, off, s[0:3], s33 offset:156 ; 4-byte Folded Spill
	s_and_saveexec_b64 s[88:89], vcc
	s_cbranch_execz .LBB4_7473
; %bb.7466:                             ;   in Loop: Header=BB4_7295 Depth=2
	v_and_b32_e32 v3, 0x7fffff, v1
	v_bfe_u32 v1, v1, 23, 8
	v_cmp_gt_u32_e64 s[20:21], s49, v1
	v_sub_u32_e32 v2, 0x79, v1
	v_cmp_eq_u32_e32 vcc, 0, v1
	v_cndmask_b32_e64 v2, 0, v2, s[20:21]
	v_or_b32_e32 v4, 0x800000, v3
	v_cndmask_b32_e32 v2, v2, v47, vcc
	v_cndmask_b32_e32 v14, v4, v3, vcc
	v_add_u32_e32 v3, 20, v2
	v_lshlrev_b64 v[3:4], v3, -1
	v_add_u32_e32 v5, 19, v2
	v_lshlrev_b64 v[5:6], v5, 1
	v_lshrrev_b64 v[10:11], v2, v[14:15]
	v_bfi_b32 v4, v4, 0, 0
	v_bfi_b32 v3, v3, 0, v14
	v_cmp_eq_u64_e64 s[20:21], v[3:4], v[5:6]
	v_mov_b32_e32 v41, v11
	v_mov_b32_e32 v40, v10
	s_and_saveexec_b64 s[90:91], s[20:21]
; %bb.7467:                             ;   in Loop: Header=BB4_7295 Depth=2
	v_bfe_u32 v3, v10, 20, 1
	v_add_co_u32_e64 v3, s[20:21], v10, v3
	v_add_co_u32_e64 v40, s[20:21], -1, v3
; %bb.7468:                             ;   in Loop: Header=BB4_7295 Depth=2
	s_or_b64 exec, exec, s[90:91]
	v_add_u32_e32 v1, 0xffffff81, v1
	v_cndmask_b32_e32 v1, v1, v44, vcc
	v_lshrrev_b32_e32 v3, 23, v10
	v_add3_u32 v3, v2, v1, v3
	v_add_u32_e32 v2, 6, v3
	v_and_b32_e32 v1, 0xfffff, v40
	v_add_u32_e32 v14, v1, v10
	v_cmp_ne_u32_e32 vcc, 0, v2
                                        ; implicit-def: $vgpr10_vgpr11
                                        ; implicit-def: $vgpr1
	s_and_saveexec_b64 s[20:21], vcc
	s_xor_b64 s[20:21], exec, s[20:21]
; %bb.7469:                             ;   in Loop: Header=BB4_7295 Depth=2
	v_cmp_lt_u64_e32 vcc, s[58:59], v[14:15]
	v_add_u32_e32 v1, 7, v3
	v_cndmask_b32_e32 v1, v2, v1, vcc
	v_cndmask_b32_e64 v2, 0, 1, vcc
	v_lshrrev_b64 v[10:11], v2, v[14:15]
; %bb.7470:                             ;   in Loop: Header=BB4_7295 Depth=2
	s_andn2_saveexec_b64 s[20:21], s[20:21]
; %bb.7471:                             ;   in Loop: Header=BB4_7295 Depth=2
	v_mov_b32_e32 v10, v14
	v_bfe_u32 v1, v14, 23, 1
	v_mov_b32_e32 v11, v15
; %bb.7472:                             ;   in Loop: Header=BB4_7295 Depth=2
	s_or_b64 exec, exec, s[20:21]
	v_lshrrev_b64 v[2:3], 20, v[10:11]
	v_cmp_gt_i32_e32 vcc, 16, v1
	v_cndmask_b32_e32 v3, 0, v3, vcc
	v_cndmask_b32_e32 v2, 7, v2, vcc
	v_cmp_eq_u32_e32 vcc, 0, v1
	v_min_i32_e32 v1, 15, v1
	v_cmp_eq_u64_e64 s[20:21], 0, v[2:3]
	v_lshlrev_b32_e32 v1, 3, v1
	v_and_b32_e32 v1, 0xf8, v1
	v_and_or_b32 v1, v2, 7, v1
	s_and_b64 s[20:21], vcc, s[20:21]
	v_cndmask_b32_e64 v1, v1, 0, s[20:21]
	v_or_b32_e32 v0, v1, v0
	buffer_store_dword v0, off, s[0:3], s33 offset:156 ; 4-byte Folded Spill
.LBB4_7473:                             ;   in Loop: Header=BB4_7295 Depth=2
	s_or_b64 exec, exec, s[88:89]
                                        ; implicit-def: $vgpr0
.LBB4_7474:                             ;   in Loop: Header=BB4_7295 Depth=2
	s_andn2_saveexec_b64 s[20:21], s[78:79]
	s_cbranch_execz .LBB4_7476
; %bb.7475:                             ;   in Loop: Header=BB4_7295 Depth=2
	v_or_b32_e32 v0, 0x7e, v0
	buffer_store_dword v0, off, s[0:3], s33 offset:156 ; 4-byte Folded Spill
.LBB4_7476:                             ;   in Loop: Header=BB4_7295 Depth=2
	s_or_b64 exec, exec, s[20:21]
                                        ; implicit-def: $vgpr1
.LBB4_7477:                             ;   in Loop: Header=BB4_7295 Depth=2
	s_andn2_saveexec_b64 s[20:21], s[76:77]
	s_cbranch_execz .LBB4_7479
; %bb.7478:                             ;   in Loop: Header=BB4_7295 Depth=2
	v_or_b32_sdwa v0, v1, s39 dst_sel:DWORD dst_unused:UNUSED_PAD src0_sel:BYTE_3 src1_sel:DWORD
	buffer_store_dword v0, off, s[0:3], s33 offset:156 ; 4-byte Folded Spill
.LBB4_7479:                             ;   in Loop: Header=BB4_7295 Depth=2
	s_or_b64 exec, exec, s[20:21]
	v_cmp_ne_u16_sdwa s[76:77], v12, v15 src0_sel:BYTE_0 src1_sel:DWORD
	v_mov_b32_e32 v0, 0
	s_and_saveexec_b64 s[20:21], s[76:77]
	s_cbranch_execz .LBB4_7485
; %bb.7480:                             ;   in Loop: Header=BB4_7295 Depth=2
	v_cmp_ne_u16_sdwa s[78:79], v12, s48 src0_sel:BYTE_0 src1_sel:DWORD
	v_bfrev_b32_e32 v0, 1
	s_and_saveexec_b64 s[76:77], s[78:79]
	s_cbranch_execz .LBB4_7484
; %bb.7481:                             ;   in Loop: Header=BB4_7295 Depth=2
	v_and_b32_e32 v1, 0x7f, v12
	v_cmp_ne_u32_e32 vcc, s39, v1
	v_mov_b32_e32 v0, 0x7f800001
	s_and_saveexec_b64 s[78:79], vcc
	s_cbranch_execz .LBB4_7483
; %bb.7482:                             ;   in Loop: Header=BB4_7295 Depth=2
	v_and_b32_e32 v0, 7, v12
	v_ffbh_u32_e32 v0, v0
	v_min_u32_e32 v0, 32, v0
	v_lshrrev_b32_e32 v2, 3, v1
	v_cmp_gt_u32_e32 vcc, 8, v1
	v_subrev_u32_e32 v1, 28, v0
	v_sub_u32_e32 v0, 29, v0
	v_cndmask_b32_e32 v2, v2, v0, vcc
	v_cndmask_b32_e32 v0, 0, v1, vcc
	v_lshlrev_b64 v[0:1], v0, v[12:13]
	v_lshlrev_b32_e32 v1, 24, v12
	v_lshlrev_b32_e32 v0, 20, v0
	v_bfrev_b32_e32 v3, 60
	v_and_b32_e32 v0, 0x700000, v0
	v_and_b32_e32 v1, 0x80000000, v1
	v_lshl_add_u32 v2, v2, 23, v3
	v_or3_b32 v0, v1, v2, v0
.LBB4_7483:                             ;   in Loop: Header=BB4_7295 Depth=2
	s_or_b64 exec, exec, s[78:79]
.LBB4_7484:                             ;   in Loop: Header=BB4_7295 Depth=2
	s_or_b64 exec, exec, s[76:77]
.LBB4_7485:                             ;   in Loop: Header=BB4_7295 Depth=2
	s_or_b64 exec, exec, s[20:21]
	v_mul_f32_e32 v1, v61, v0
	v_and_b32_e32 v14, 0x7f800000, v1
	v_cmp_ne_u64_e32 vcc, s[46:47], v[14:15]
                                        ; implicit-def: $vgpr0
                                        ; kill: killed $vgpr0
	s_and_saveexec_b64 s[20:21], vcc
	s_xor_b64 s[76:77], exec, s[20:21]
	s_cbranch_execz .LBB4_7499
; %bb.7486:                             ;   in Loop: Header=BB4_7295 Depth=2
	v_and_b32_e32 v14, 0x7fffffff, v1
	v_cmp_gt_u64_e32 vcc, s[56:57], v[14:15]
	v_and_b32_sdwa v0, v1, s48 dst_sel:DWORD dst_unused:UNUSED_PAD src0_sel:BYTE_3 src1_sel:DWORD
                                        ; implicit-def: $vgpr2
                                        ; kill: killed $vgpr2
	s_and_saveexec_b64 s[20:21], vcc
	s_xor_b64 s[78:79], exec, s[20:21]
	s_cbranch_execz .LBB4_7496
; %bb.7487:                             ;   in Loop: Header=BB4_7295 Depth=2
	v_mov_b32_e32 v2, 0
	v_cmp_ne_u32_e32 vcc, 0, v1
	buffer_store_dword v2, off, s[0:3], s33 offset:160 ; 4-byte Folded Spill
	s_and_saveexec_b64 s[88:89], vcc
	s_cbranch_execz .LBB4_7495
; %bb.7488:                             ;   in Loop: Header=BB4_7295 Depth=2
	v_and_b32_e32 v3, 0x7fffff, v1
	v_bfe_u32 v1, v1, 23, 8
	v_cmp_gt_u32_e64 s[20:21], s49, v1
	v_sub_u32_e32 v2, 0x79, v1
	v_cmp_eq_u32_e32 vcc, 0, v1
	v_cndmask_b32_e64 v2, 0, v2, s[20:21]
	v_or_b32_e32 v4, 0x800000, v3
	v_cndmask_b32_e32 v2, v2, v47, vcc
	v_cndmask_b32_e32 v14, v4, v3, vcc
	v_add_u32_e32 v3, 20, v2
	v_lshlrev_b64 v[3:4], v3, -1
	v_add_u32_e32 v5, 19, v2
	v_lshlrev_b64 v[5:6], v5, 1
	v_lshrrev_b64 v[10:11], v2, v[14:15]
	v_bfi_b32 v4, v4, 0, 0
	v_bfi_b32 v3, v3, 0, v14
	v_cmp_eq_u64_e64 s[20:21], v[3:4], v[5:6]
	v_mov_b32_e32 v41, v11
	v_mov_b32_e32 v40, v10
	s_and_saveexec_b64 s[90:91], s[20:21]
; %bb.7489:                             ;   in Loop: Header=BB4_7295 Depth=2
	v_bfe_u32 v3, v10, 20, 1
	v_add_co_u32_e64 v3, s[20:21], v10, v3
	v_add_co_u32_e64 v40, s[20:21], -1, v3
; %bb.7490:                             ;   in Loop: Header=BB4_7295 Depth=2
	s_or_b64 exec, exec, s[90:91]
	v_add_u32_e32 v1, 0xffffff81, v1
	v_cndmask_b32_e32 v1, v1, v44, vcc
	v_lshrrev_b32_e32 v3, 23, v10
	v_add3_u32 v3, v2, v1, v3
	v_add_u32_e32 v2, 6, v3
	v_and_b32_e32 v1, 0xfffff, v40
	v_add_u32_e32 v14, v1, v10
	v_cmp_ne_u32_e32 vcc, 0, v2
                                        ; implicit-def: $vgpr10_vgpr11
                                        ; implicit-def: $vgpr1
	s_and_saveexec_b64 s[20:21], vcc
	s_xor_b64 s[20:21], exec, s[20:21]
; %bb.7491:                             ;   in Loop: Header=BB4_7295 Depth=2
	v_cmp_lt_u64_e32 vcc, s[58:59], v[14:15]
	v_add_u32_e32 v1, 7, v3
	v_cndmask_b32_e32 v1, v2, v1, vcc
	v_cndmask_b32_e64 v2, 0, 1, vcc
	v_lshrrev_b64 v[10:11], v2, v[14:15]
; %bb.7492:                             ;   in Loop: Header=BB4_7295 Depth=2
	s_andn2_saveexec_b64 s[20:21], s[20:21]
; %bb.7493:                             ;   in Loop: Header=BB4_7295 Depth=2
	v_mov_b32_e32 v10, v14
	v_bfe_u32 v1, v14, 23, 1
	v_mov_b32_e32 v11, v15
; %bb.7494:                             ;   in Loop: Header=BB4_7295 Depth=2
	s_or_b64 exec, exec, s[20:21]
	v_lshrrev_b64 v[2:3], 20, v[10:11]
	v_cmp_gt_i32_e32 vcc, 16, v1
	v_cndmask_b32_e32 v3, 0, v3, vcc
	v_cndmask_b32_e32 v2, 7, v2, vcc
	v_cmp_eq_u32_e32 vcc, 0, v1
	v_min_i32_e32 v1, 15, v1
	v_cmp_eq_u64_e64 s[20:21], 0, v[2:3]
	v_lshlrev_b32_e32 v1, 3, v1
	v_and_b32_e32 v1, 0xf8, v1
	v_and_or_b32 v1, v2, 7, v1
	s_and_b64 s[20:21], vcc, s[20:21]
	v_cndmask_b32_e64 v1, v1, 0, s[20:21]
	v_or_b32_e32 v0, v1, v0
	buffer_store_dword v0, off, s[0:3], s33 offset:160 ; 4-byte Folded Spill
.LBB4_7495:                             ;   in Loop: Header=BB4_7295 Depth=2
	s_or_b64 exec, exec, s[88:89]
                                        ; implicit-def: $vgpr0
.LBB4_7496:                             ;   in Loop: Header=BB4_7295 Depth=2
	s_andn2_saveexec_b64 s[20:21], s[78:79]
	s_cbranch_execz .LBB4_7498
; %bb.7497:                             ;   in Loop: Header=BB4_7295 Depth=2
	v_or_b32_e32 v0, 0x7e, v0
	buffer_store_dword v0, off, s[0:3], s33 offset:160 ; 4-byte Folded Spill
.LBB4_7498:                             ;   in Loop: Header=BB4_7295 Depth=2
	s_or_b64 exec, exec, s[20:21]
                                        ; implicit-def: $vgpr1
.LBB4_7499:                             ;   in Loop: Header=BB4_7295 Depth=2
	s_andn2_saveexec_b64 s[20:21], s[76:77]
	s_cbranch_execz .LBB4_7501
; %bb.7500:                             ;   in Loop: Header=BB4_7295 Depth=2
	v_or_b32_sdwa v0, v1, s39 dst_sel:DWORD dst_unused:UNUSED_PAD src0_sel:BYTE_3 src1_sel:DWORD
	buffer_store_dword v0, off, s[0:3], s33 offset:160 ; 4-byte Folded Spill
.LBB4_7501:                             ;   in Loop: Header=BB4_7295 Depth=2
	s_or_b64 exec, exec, s[20:21]
	v_lshrrev_b16_e32 v10, 8, v12
	v_cmp_ne_u16_e32 vcc, 0, v10
	v_mov_b32_e32 v0, 0
	s_and_saveexec_b64 s[20:21], vcc
	s_cbranch_execz .LBB4_7507
; %bb.7502:                             ;   in Loop: Header=BB4_7295 Depth=2
	v_cmp_ne_u16_e32 vcc, s48, v10
	v_bfrev_b32_e32 v0, 1
	s_and_saveexec_b64 s[76:77], vcc
	s_cbranch_execz .LBB4_7506
; %bb.7503:                             ;   in Loop: Header=BB4_7295 Depth=2
	v_and_b32_e32 v1, 0x7f, v10
	v_cmp_ne_u32_e32 vcc, s39, v1
	v_mov_b32_e32 v0, 0x7f800001
	s_and_saveexec_b64 s[78:79], vcc
	s_cbranch_execz .LBB4_7505
; %bb.7504:                             ;   in Loop: Header=BB4_7295 Depth=2
	v_and_b32_e32 v2, 7, v10
	v_ffbh_u32_e32 v0, v2
	v_min_u32_e32 v4, 32, v0
	v_subrev_u32_e32 v0, 28, v4
	v_lshrrev_b32_e32 v3, 3, v1
	v_cmp_gt_u32_e32 vcc, 8, v1
	v_lshlrev_b64 v[0:1], v0, v[10:11]
	v_sub_u32_e32 v1, 29, v4
	v_and_b32_e32 v0, 7, v0
	v_cndmask_b32_e32 v1, v3, v1, vcc
	v_cndmask_b32_e32 v0, v2, v0, vcc
	v_lshlrev_b32_e32 v2, 16, v12
	v_bfrev_b32_e32 v3, 60
	v_lshlrev_b32_e32 v0, 20, v0
	v_and_b32_e32 v2, 0x80000000, v2
	v_lshl_add_u32 v1, v1, 23, v3
	v_or3_b32 v0, v2, v1, v0
.LBB4_7505:                             ;   in Loop: Header=BB4_7295 Depth=2
	s_or_b64 exec, exec, s[78:79]
.LBB4_7506:                             ;   in Loop: Header=BB4_7295 Depth=2
	s_or_b64 exec, exec, s[76:77]
.LBB4_7507:                             ;   in Loop: Header=BB4_7295 Depth=2
	s_or_b64 exec, exec, s[20:21]
	v_mul_f32_e32 v1, v61, v0
	v_and_b32_e32 v14, 0x7f800000, v1
	v_cmp_ne_u64_e32 vcc, s[46:47], v[14:15]
                                        ; implicit-def: $vgpr0
                                        ; kill: killed $vgpr0
	s_and_saveexec_b64 s[20:21], vcc
	s_xor_b64 s[76:77], exec, s[20:21]
	s_cbranch_execz .LBB4_7521
; %bb.7508:                             ;   in Loop: Header=BB4_7295 Depth=2
	v_and_b32_e32 v14, 0x7fffffff, v1
	v_cmp_gt_u64_e32 vcc, s[56:57], v[14:15]
	v_and_b32_sdwa v0, v1, s48 dst_sel:DWORD dst_unused:UNUSED_PAD src0_sel:BYTE_3 src1_sel:DWORD
                                        ; implicit-def: $vgpr2
                                        ; kill: killed $vgpr2
	s_and_saveexec_b64 s[20:21], vcc
	s_xor_b64 s[78:79], exec, s[20:21]
	s_cbranch_execz .LBB4_7518
; %bb.7509:                             ;   in Loop: Header=BB4_7295 Depth=2
	v_mov_b32_e32 v2, 0
	v_cmp_ne_u32_e32 vcc, 0, v1
	buffer_store_dword v2, off, s[0:3], s33 offset:168 ; 4-byte Folded Spill
	s_and_saveexec_b64 s[88:89], vcc
	s_cbranch_execz .LBB4_7517
; %bb.7510:                             ;   in Loop: Header=BB4_7295 Depth=2
	v_and_b32_e32 v3, 0x7fffff, v1
	v_bfe_u32 v1, v1, 23, 8
	v_cmp_gt_u32_e64 s[20:21], s49, v1
	v_sub_u32_e32 v2, 0x79, v1
	v_cmp_eq_u32_e32 vcc, 0, v1
	v_cndmask_b32_e64 v2, 0, v2, s[20:21]
	v_or_b32_e32 v4, 0x800000, v3
	v_cndmask_b32_e32 v2, v2, v47, vcc
	v_cndmask_b32_e32 v14, v4, v3, vcc
	v_add_u32_e32 v3, 20, v2
	v_lshlrev_b64 v[3:4], v3, -1
	v_add_u32_e32 v5, 19, v2
	v_lshlrev_b64 v[5:6], v5, 1
	v_lshrrev_b64 v[10:11], v2, v[14:15]
	v_bfi_b32 v4, v4, 0, 0
	v_bfi_b32 v3, v3, 0, v14
	v_cmp_eq_u64_e64 s[20:21], v[3:4], v[5:6]
	v_mov_b32_e32 v41, v11
	v_mov_b32_e32 v40, v10
	s_and_saveexec_b64 s[90:91], s[20:21]
; %bb.7511:                             ;   in Loop: Header=BB4_7295 Depth=2
	v_bfe_u32 v3, v10, 20, 1
	v_add_co_u32_e64 v3, s[20:21], v10, v3
	v_add_co_u32_e64 v40, s[20:21], -1, v3
; %bb.7512:                             ;   in Loop: Header=BB4_7295 Depth=2
	s_or_b64 exec, exec, s[90:91]
	v_add_u32_e32 v1, 0xffffff81, v1
	v_cndmask_b32_e32 v1, v1, v44, vcc
	v_lshrrev_b32_e32 v3, 23, v10
	v_add3_u32 v3, v2, v1, v3
	v_add_u32_e32 v2, 6, v3
	v_and_b32_e32 v1, 0xfffff, v40
	v_add_u32_e32 v14, v1, v10
	v_cmp_ne_u32_e32 vcc, 0, v2
                                        ; implicit-def: $vgpr10_vgpr11
                                        ; implicit-def: $vgpr1
	s_and_saveexec_b64 s[20:21], vcc
	s_xor_b64 s[20:21], exec, s[20:21]
; %bb.7513:                             ;   in Loop: Header=BB4_7295 Depth=2
	v_cmp_lt_u64_e32 vcc, s[58:59], v[14:15]
	v_add_u32_e32 v1, 7, v3
	v_cndmask_b32_e32 v1, v2, v1, vcc
	v_cndmask_b32_e64 v2, 0, 1, vcc
	v_lshrrev_b64 v[10:11], v2, v[14:15]
; %bb.7514:                             ;   in Loop: Header=BB4_7295 Depth=2
	s_andn2_saveexec_b64 s[20:21], s[20:21]
; %bb.7515:                             ;   in Loop: Header=BB4_7295 Depth=2
	v_mov_b32_e32 v10, v14
	v_bfe_u32 v1, v14, 23, 1
	v_mov_b32_e32 v11, v15
; %bb.7516:                             ;   in Loop: Header=BB4_7295 Depth=2
	s_or_b64 exec, exec, s[20:21]
	v_lshrrev_b64 v[2:3], 20, v[10:11]
	v_cmp_gt_i32_e32 vcc, 16, v1
	v_cndmask_b32_e32 v3, 0, v3, vcc
	v_cndmask_b32_e32 v2, 7, v2, vcc
	v_cmp_eq_u32_e32 vcc, 0, v1
	v_min_i32_e32 v1, 15, v1
	v_cmp_eq_u64_e64 s[20:21], 0, v[2:3]
	v_lshlrev_b32_e32 v1, 3, v1
	v_and_b32_e32 v1, 0xf8, v1
	v_and_or_b32 v1, v2, 7, v1
	s_and_b64 s[20:21], vcc, s[20:21]
	v_cndmask_b32_e64 v1, v1, 0, s[20:21]
	v_or_b32_e32 v0, v1, v0
	buffer_store_dword v0, off, s[0:3], s33 offset:168 ; 4-byte Folded Spill
.LBB4_7517:                             ;   in Loop: Header=BB4_7295 Depth=2
	s_or_b64 exec, exec, s[88:89]
                                        ; implicit-def: $vgpr0
.LBB4_7518:                             ;   in Loop: Header=BB4_7295 Depth=2
	s_andn2_saveexec_b64 s[20:21], s[78:79]
	s_cbranch_execz .LBB4_7520
; %bb.7519:                             ;   in Loop: Header=BB4_7295 Depth=2
	v_or_b32_e32 v0, 0x7e, v0
	buffer_store_dword v0, off, s[0:3], s33 offset:168 ; 4-byte Folded Spill
.LBB4_7520:                             ;   in Loop: Header=BB4_7295 Depth=2
	s_or_b64 exec, exec, s[20:21]
                                        ; implicit-def: $vgpr1
.LBB4_7521:                             ;   in Loop: Header=BB4_7295 Depth=2
	s_andn2_saveexec_b64 s[20:21], s[76:77]
	s_cbranch_execz .LBB4_7523
; %bb.7522:                             ;   in Loop: Header=BB4_7295 Depth=2
	v_or_b32_sdwa v0, v1, s39 dst_sel:DWORD dst_unused:UNUSED_PAD src0_sel:BYTE_3 src1_sel:DWORD
	buffer_store_dword v0, off, s[0:3], s33 offset:168 ; 4-byte Folded Spill
.LBB4_7523:                             ;   in Loop: Header=BB4_7295 Depth=2
	s_or_b64 exec, exec, s[20:21]
	v_lshrrev_b32_e32 v10, 16, v12
	v_cmp_ne_u16_sdwa s[76:77], v10, v15 src0_sel:BYTE_0 src1_sel:DWORD
	v_mov_b32_e32 v0, 0
	s_and_saveexec_b64 s[20:21], s[76:77]
	s_cbranch_execz .LBB4_7529
; %bb.7524:                             ;   in Loop: Header=BB4_7295 Depth=2
	v_cmp_ne_u16_sdwa s[78:79], v10, s48 src0_sel:BYTE_0 src1_sel:DWORD
	v_bfrev_b32_e32 v0, 1
	s_and_saveexec_b64 s[76:77], s[78:79]
	s_cbranch_execz .LBB4_7528
; %bb.7525:                             ;   in Loop: Header=BB4_7295 Depth=2
	v_bfe_u32 v1, v12, 16, 7
	v_cmp_ne_u32_e32 vcc, s39, v1
	v_mov_b32_e32 v0, 0x7f800001
	s_and_saveexec_b64 s[78:79], vcc
	s_cbranch_execz .LBB4_7527
; %bb.7526:                             ;   in Loop: Header=BB4_7295 Depth=2
	v_and_b32_e32 v2, 7, v10
	v_ffbh_u32_e32 v0, v2
	v_min_u32_e32 v4, 32, v0
	v_subrev_u32_e32 v0, 28, v4
	v_lshrrev_b32_e32 v3, 3, v1
	v_cmp_gt_u32_e32 vcc, 8, v1
	v_lshlrev_b64 v[0:1], v0, v[10:11]
	v_sub_u32_e32 v1, 29, v4
	v_and_b32_e32 v0, 7, v0
	v_cndmask_b32_e32 v1, v3, v1, vcc
	v_cndmask_b32_e32 v0, v2, v0, vcc
	v_lshlrev_b32_e32 v2, 24, v10
	v_bfrev_b32_e32 v3, 60
	v_lshlrev_b32_e32 v0, 20, v0
	v_and_b32_e32 v2, 0x80000000, v2
	v_lshl_add_u32 v1, v1, 23, v3
	v_or3_b32 v0, v2, v1, v0
.LBB4_7527:                             ;   in Loop: Header=BB4_7295 Depth=2
	s_or_b64 exec, exec, s[78:79]
.LBB4_7528:                             ;   in Loop: Header=BB4_7295 Depth=2
	s_or_b64 exec, exec, s[76:77]
.LBB4_7529:                             ;   in Loop: Header=BB4_7295 Depth=2
	s_or_b64 exec, exec, s[20:21]
	v_mul_f32_e32 v1, v61, v0
	v_and_b32_e32 v14, 0x7f800000, v1
	v_cmp_ne_u64_e32 vcc, s[46:47], v[14:15]
                                        ; implicit-def: $vgpr0
                                        ; kill: killed $vgpr0
	s_and_saveexec_b64 s[20:21], vcc
	s_xor_b64 s[76:77], exec, s[20:21]
	s_cbranch_execz .LBB4_7543
; %bb.7530:                             ;   in Loop: Header=BB4_7295 Depth=2
	v_and_b32_e32 v14, 0x7fffffff, v1
	v_cmp_gt_u64_e32 vcc, s[56:57], v[14:15]
	v_and_b32_sdwa v0, v1, s48 dst_sel:DWORD dst_unused:UNUSED_PAD src0_sel:BYTE_3 src1_sel:DWORD
                                        ; implicit-def: $vgpr2
                                        ; kill: killed $vgpr2
	s_and_saveexec_b64 s[20:21], vcc
	s_xor_b64 s[78:79], exec, s[20:21]
	s_cbranch_execz .LBB4_7540
; %bb.7531:                             ;   in Loop: Header=BB4_7295 Depth=2
	v_mov_b32_e32 v2, 0
	v_cmp_ne_u32_e32 vcc, 0, v1
	buffer_store_dword v2, off, s[0:3], s33 offset:176 ; 4-byte Folded Spill
	s_and_saveexec_b64 s[88:89], vcc
	s_cbranch_execz .LBB4_7539
; %bb.7532:                             ;   in Loop: Header=BB4_7295 Depth=2
	v_and_b32_e32 v3, 0x7fffff, v1
	v_bfe_u32 v1, v1, 23, 8
	v_cmp_gt_u32_e64 s[20:21], s49, v1
	v_sub_u32_e32 v2, 0x79, v1
	v_cmp_eq_u32_e32 vcc, 0, v1
	v_cndmask_b32_e64 v2, 0, v2, s[20:21]
	v_or_b32_e32 v4, 0x800000, v3
	v_cndmask_b32_e32 v2, v2, v47, vcc
	v_cndmask_b32_e32 v14, v4, v3, vcc
	v_add_u32_e32 v3, 20, v2
	v_lshlrev_b64 v[3:4], v3, -1
	v_add_u32_e32 v5, 19, v2
	v_lshlrev_b64 v[5:6], v5, 1
	v_lshrrev_b64 v[10:11], v2, v[14:15]
	v_bfi_b32 v4, v4, 0, 0
	v_bfi_b32 v3, v3, 0, v14
	v_cmp_eq_u64_e64 s[20:21], v[3:4], v[5:6]
	v_mov_b32_e32 v41, v11
	v_mov_b32_e32 v40, v10
	s_and_saveexec_b64 s[90:91], s[20:21]
; %bb.7533:                             ;   in Loop: Header=BB4_7295 Depth=2
	v_bfe_u32 v3, v10, 20, 1
	v_add_co_u32_e64 v3, s[20:21], v10, v3
	v_add_co_u32_e64 v40, s[20:21], -1, v3
; %bb.7534:                             ;   in Loop: Header=BB4_7295 Depth=2
	s_or_b64 exec, exec, s[90:91]
	v_add_u32_e32 v1, 0xffffff81, v1
	v_cndmask_b32_e32 v1, v1, v44, vcc
	v_lshrrev_b32_e32 v3, 23, v10
	v_add3_u32 v3, v2, v1, v3
	v_add_u32_e32 v2, 6, v3
	v_and_b32_e32 v1, 0xfffff, v40
	v_add_u32_e32 v14, v1, v10
	v_cmp_ne_u32_e32 vcc, 0, v2
                                        ; implicit-def: $vgpr10_vgpr11
                                        ; implicit-def: $vgpr1
	s_and_saveexec_b64 s[20:21], vcc
	s_xor_b64 s[20:21], exec, s[20:21]
; %bb.7535:                             ;   in Loop: Header=BB4_7295 Depth=2
	v_cmp_lt_u64_e32 vcc, s[58:59], v[14:15]
	v_add_u32_e32 v1, 7, v3
	v_cndmask_b32_e32 v1, v2, v1, vcc
	v_cndmask_b32_e64 v2, 0, 1, vcc
	v_lshrrev_b64 v[10:11], v2, v[14:15]
; %bb.7536:                             ;   in Loop: Header=BB4_7295 Depth=2
	s_andn2_saveexec_b64 s[20:21], s[20:21]
; %bb.7537:                             ;   in Loop: Header=BB4_7295 Depth=2
	v_mov_b32_e32 v10, v14
	v_bfe_u32 v1, v14, 23, 1
	v_mov_b32_e32 v11, v15
; %bb.7538:                             ;   in Loop: Header=BB4_7295 Depth=2
	s_or_b64 exec, exec, s[20:21]
	v_lshrrev_b64 v[2:3], 20, v[10:11]
	v_cmp_gt_i32_e32 vcc, 16, v1
	v_cndmask_b32_e32 v3, 0, v3, vcc
	v_cndmask_b32_e32 v2, 7, v2, vcc
	v_cmp_eq_u32_e32 vcc, 0, v1
	v_min_i32_e32 v1, 15, v1
	v_cmp_eq_u64_e64 s[20:21], 0, v[2:3]
	v_lshlrev_b32_e32 v1, 3, v1
	v_and_b32_e32 v1, 0xf8, v1
	v_and_or_b32 v1, v2, 7, v1
	s_and_b64 s[20:21], vcc, s[20:21]
	v_cndmask_b32_e64 v1, v1, 0, s[20:21]
	v_or_b32_e32 v0, v1, v0
	buffer_store_dword v0, off, s[0:3], s33 offset:176 ; 4-byte Folded Spill
.LBB4_7539:                             ;   in Loop: Header=BB4_7295 Depth=2
	s_or_b64 exec, exec, s[88:89]
                                        ; implicit-def: $vgpr0
.LBB4_7540:                             ;   in Loop: Header=BB4_7295 Depth=2
	s_andn2_saveexec_b64 s[20:21], s[78:79]
	s_cbranch_execz .LBB4_7542
; %bb.7541:                             ;   in Loop: Header=BB4_7295 Depth=2
	v_or_b32_e32 v0, 0x7e, v0
	buffer_store_dword v0, off, s[0:3], s33 offset:176 ; 4-byte Folded Spill
.LBB4_7542:                             ;   in Loop: Header=BB4_7295 Depth=2
	s_or_b64 exec, exec, s[20:21]
                                        ; implicit-def: $vgpr1
.LBB4_7543:                             ;   in Loop: Header=BB4_7295 Depth=2
	s_andn2_saveexec_b64 s[20:21], s[76:77]
	s_cbranch_execz .LBB4_7545
; %bb.7544:                             ;   in Loop: Header=BB4_7295 Depth=2
	v_or_b32_sdwa v0, v1, s39 dst_sel:DWORD dst_unused:UNUSED_PAD src0_sel:BYTE_3 src1_sel:DWORD
	buffer_store_dword v0, off, s[0:3], s33 offset:176 ; 4-byte Folded Spill
.LBB4_7545:                             ;   in Loop: Header=BB4_7295 Depth=2
	s_or_b64 exec, exec, s[20:21]
	v_cmp_lt_u32_e32 vcc, s61, v12
	v_mov_b32_e32 v0, 0
	s_and_saveexec_b64 s[20:21], vcc
	s_cbranch_execz .LBB4_7551
; %bb.7546:                             ;   in Loop: Header=BB4_7295 Depth=2
	v_lshrrev_b32_e32 v10, 24, v12
	v_cmp_ne_u32_e32 vcc, s48, v10
	v_bfrev_b32_e32 v0, 1
	s_and_saveexec_b64 s[76:77], vcc
	s_cbranch_execz .LBB4_7550
; %bb.7547:                             ;   in Loop: Header=BB4_7295 Depth=2
	v_bfe_u32 v1, v12, 24, 7
	v_cmp_ne_u32_e32 vcc, s39, v1
	v_mov_b32_e32 v0, 0x7f800001
	s_and_saveexec_b64 s[78:79], vcc
	s_cbranch_execz .LBB4_7549
; %bb.7548:                             ;   in Loop: Header=BB4_7295 Depth=2
	v_and_b32_e32 v2, 7, v10
	v_ffbh_u32_e32 v0, v2
	v_min_u32_e32 v4, 32, v0
	v_subrev_u32_e32 v0, 28, v4
	v_lshrrev_b32_e32 v3, 3, v1
	v_cmp_gt_u32_e32 vcc, 8, v1
	v_lshlrev_b64 v[0:1], v0, v[10:11]
	v_sub_u32_e32 v1, 29, v4
	v_and_b32_e32 v0, 7, v0
	v_cndmask_b32_e32 v1, v3, v1, vcc
	v_cndmask_b32_e32 v0, v2, v0, vcc
	v_lshlrev_b32_e32 v2, 24, v10
	v_bfrev_b32_e32 v3, 60
	v_lshlrev_b32_e32 v0, 20, v0
	v_and_b32_e32 v2, 0x80000000, v2
	v_lshl_add_u32 v1, v1, 23, v3
	v_or3_b32 v0, v2, v1, v0
.LBB4_7549:                             ;   in Loop: Header=BB4_7295 Depth=2
	s_or_b64 exec, exec, s[78:79]
.LBB4_7550:                             ;   in Loop: Header=BB4_7295 Depth=2
	s_or_b64 exec, exec, s[76:77]
.LBB4_7551:                             ;   in Loop: Header=BB4_7295 Depth=2
	s_or_b64 exec, exec, s[20:21]
	v_mul_f32_e32 v1, v61, v0
	v_and_b32_e32 v14, 0x7f800000, v1
	v_cmp_ne_u64_e32 vcc, s[46:47], v[14:15]
                                        ; implicit-def: $vgpr0
                                        ; kill: killed $vgpr0
	s_and_saveexec_b64 s[20:21], vcc
	s_xor_b64 s[76:77], exec, s[20:21]
	s_cbranch_execz .LBB4_7565
; %bb.7552:                             ;   in Loop: Header=BB4_7295 Depth=2
	v_and_b32_e32 v14, 0x7fffffff, v1
	v_cmp_gt_u64_e32 vcc, s[56:57], v[14:15]
	v_and_b32_sdwa v0, v1, s48 dst_sel:DWORD dst_unused:UNUSED_PAD src0_sel:BYTE_3 src1_sel:DWORD
                                        ; implicit-def: $vgpr2
                                        ; kill: killed $vgpr2
	s_and_saveexec_b64 s[20:21], vcc
	s_xor_b64 s[78:79], exec, s[20:21]
	s_cbranch_execz .LBB4_7562
; %bb.7553:                             ;   in Loop: Header=BB4_7295 Depth=2
	v_mov_b32_e32 v2, 0
	v_cmp_ne_u32_e32 vcc, 0, v1
	buffer_store_dword v2, off, s[0:3], s33 offset:184 ; 4-byte Folded Spill
	s_and_saveexec_b64 s[88:89], vcc
	s_cbranch_execz .LBB4_7561
; %bb.7554:                             ;   in Loop: Header=BB4_7295 Depth=2
	v_and_b32_e32 v3, 0x7fffff, v1
	v_bfe_u32 v1, v1, 23, 8
	v_cmp_gt_u32_e64 s[20:21], s49, v1
	v_sub_u32_e32 v2, 0x79, v1
	v_cmp_eq_u32_e32 vcc, 0, v1
	v_cndmask_b32_e64 v2, 0, v2, s[20:21]
	v_or_b32_e32 v4, 0x800000, v3
	v_cndmask_b32_e32 v2, v2, v47, vcc
	v_cndmask_b32_e32 v14, v4, v3, vcc
	v_add_u32_e32 v3, 20, v2
	v_lshlrev_b64 v[3:4], v3, -1
	v_add_u32_e32 v5, 19, v2
	v_lshlrev_b64 v[5:6], v5, 1
	v_lshrrev_b64 v[10:11], v2, v[14:15]
	v_bfi_b32 v4, v4, 0, 0
	v_bfi_b32 v3, v3, 0, v14
	v_cmp_eq_u64_e64 s[20:21], v[3:4], v[5:6]
	v_mov_b32_e32 v41, v11
	v_mov_b32_e32 v40, v10
	s_and_saveexec_b64 s[90:91], s[20:21]
; %bb.7555:                             ;   in Loop: Header=BB4_7295 Depth=2
	v_bfe_u32 v3, v10, 20, 1
	v_add_co_u32_e64 v3, s[20:21], v10, v3
	v_add_co_u32_e64 v40, s[20:21], -1, v3
; %bb.7556:                             ;   in Loop: Header=BB4_7295 Depth=2
	s_or_b64 exec, exec, s[90:91]
	v_add_u32_e32 v1, 0xffffff81, v1
	v_cndmask_b32_e32 v1, v1, v44, vcc
	v_lshrrev_b32_e32 v3, 23, v10
	v_add3_u32 v3, v2, v1, v3
	v_add_u32_e32 v2, 6, v3
	v_and_b32_e32 v1, 0xfffff, v40
	v_add_u32_e32 v14, v1, v10
	v_cmp_ne_u32_e32 vcc, 0, v2
                                        ; implicit-def: $vgpr10_vgpr11
                                        ; implicit-def: $vgpr1
	s_and_saveexec_b64 s[20:21], vcc
	s_xor_b64 s[20:21], exec, s[20:21]
; %bb.7557:                             ;   in Loop: Header=BB4_7295 Depth=2
	v_cmp_lt_u64_e32 vcc, s[58:59], v[14:15]
	v_add_u32_e32 v1, 7, v3
	v_cndmask_b32_e32 v1, v2, v1, vcc
	v_cndmask_b32_e64 v2, 0, 1, vcc
	v_lshrrev_b64 v[10:11], v2, v[14:15]
; %bb.7558:                             ;   in Loop: Header=BB4_7295 Depth=2
	s_andn2_saveexec_b64 s[20:21], s[20:21]
; %bb.7559:                             ;   in Loop: Header=BB4_7295 Depth=2
	v_mov_b32_e32 v10, v14
	v_bfe_u32 v1, v14, 23, 1
	v_mov_b32_e32 v11, v15
; %bb.7560:                             ;   in Loop: Header=BB4_7295 Depth=2
	s_or_b64 exec, exec, s[20:21]
	v_lshrrev_b64 v[2:3], 20, v[10:11]
	v_cmp_gt_i32_e32 vcc, 16, v1
	v_cndmask_b32_e32 v3, 0, v3, vcc
	v_cndmask_b32_e32 v2, 7, v2, vcc
	v_cmp_eq_u32_e32 vcc, 0, v1
	v_min_i32_e32 v1, 15, v1
	v_cmp_eq_u64_e64 s[20:21], 0, v[2:3]
	v_lshlrev_b32_e32 v1, 3, v1
	v_and_b32_e32 v1, 0xf8, v1
	v_and_or_b32 v1, v2, 7, v1
	s_and_b64 s[20:21], vcc, s[20:21]
	v_cndmask_b32_e64 v1, v1, 0, s[20:21]
	v_or_b32_e32 v0, v1, v0
	buffer_store_dword v0, off, s[0:3], s33 offset:184 ; 4-byte Folded Spill
.LBB4_7561:                             ;   in Loop: Header=BB4_7295 Depth=2
	s_or_b64 exec, exec, s[88:89]
                                        ; implicit-def: $vgpr0
.LBB4_7562:                             ;   in Loop: Header=BB4_7295 Depth=2
	s_andn2_saveexec_b64 s[20:21], s[78:79]
	s_cbranch_execz .LBB4_7564
; %bb.7563:                             ;   in Loop: Header=BB4_7295 Depth=2
	v_or_b32_e32 v0, 0x7e, v0
	buffer_store_dword v0, off, s[0:3], s33 offset:184 ; 4-byte Folded Spill
.LBB4_7564:                             ;   in Loop: Header=BB4_7295 Depth=2
	s_or_b64 exec, exec, s[20:21]
                                        ; implicit-def: $vgpr1
.LBB4_7565:                             ;   in Loop: Header=BB4_7295 Depth=2
	s_andn2_saveexec_b64 s[20:21], s[76:77]
	s_cbranch_execz .LBB4_7567
; %bb.7566:                             ;   in Loop: Header=BB4_7295 Depth=2
	v_or_b32_sdwa v0, v1, s39 dst_sel:DWORD dst_unused:UNUSED_PAD src0_sel:BYTE_3 src1_sel:DWORD
	buffer_store_dword v0, off, s[0:3], s33 offset:184 ; 4-byte Folded Spill
.LBB4_7567:                             ;   in Loop: Header=BB4_7295 Depth=2
	s_or_b64 exec, exec, s[20:21]
	v_mov_b32_e32 v14, v13
	v_cmp_ne_u16_sdwa s[76:77], v13, v15 src0_sel:BYTE_0 src1_sel:DWORD
	v_mov_b32_e32 v0, 0
	s_and_saveexec_b64 s[20:21], s[76:77]
	s_cbranch_execz .LBB4_7573
; %bb.7568:                             ;   in Loop: Header=BB4_7295 Depth=2
	v_cmp_ne_u16_sdwa s[78:79], v13, s48 src0_sel:BYTE_0 src1_sel:DWORD
	v_bfrev_b32_e32 v0, 1
	s_and_saveexec_b64 s[76:77], s[78:79]
	s_cbranch_execz .LBB4_7572
; %bb.7569:                             ;   in Loop: Header=BB4_7295 Depth=2
	v_and_b32_e32 v1, 0x7f, v13
	v_cmp_ne_u32_e32 vcc, s39, v1
	v_mov_b32_e32 v0, 0x7f800001
	s_and_saveexec_b64 s[78:79], vcc
	s_cbranch_execz .LBB4_7571
; %bb.7570:                             ;   in Loop: Header=BB4_7295 Depth=2
	v_and_b32_e32 v0, 7, v13
	v_ffbh_u32_e32 v0, v0
	v_min_u32_e32 v0, 32, v0
	v_lshrrev_b32_e32 v2, 3, v1
	v_cmp_gt_u32_e32 vcc, 8, v1
	v_subrev_u32_e32 v1, 28, v0
	v_sub_u32_e32 v0, 29, v0
	v_cndmask_b32_e32 v2, v2, v0, vcc
	v_cndmask_b32_e32 v0, 0, v1, vcc
	v_lshlrev_b64 v[0:1], v0, v[14:15]
	v_lshlrev_b32_e32 v1, 24, v14
	v_lshlrev_b32_e32 v0, 20, v0
	v_bfrev_b32_e32 v3, 60
	v_and_b32_e32 v0, 0x700000, v0
	v_and_b32_e32 v1, 0x80000000, v1
	v_lshl_add_u32 v2, v2, 23, v3
	v_or3_b32 v0, v1, v2, v0
.LBB4_7571:                             ;   in Loop: Header=BB4_7295 Depth=2
	s_or_b64 exec, exec, s[78:79]
.LBB4_7572:                             ;   in Loop: Header=BB4_7295 Depth=2
	s_or_b64 exec, exec, s[76:77]
.LBB4_7573:                             ;   in Loop: Header=BB4_7295 Depth=2
	s_or_b64 exec, exec, s[20:21]
	v_mul_f32_e32 v1, v61, v0
	v_and_b32_e32 v2, 0x7f800000, v1
	v_mov_b32_e32 v3, v15
	v_cmp_ne_u64_e32 vcc, s[46:47], v[2:3]
                                        ; implicit-def: $vgpr0
                                        ; kill: killed $vgpr0
	s_and_saveexec_b64 s[20:21], vcc
	s_xor_b64 s[76:77], exec, s[20:21]
	s_cbranch_execz .LBB4_7587
; %bb.7574:                             ;   in Loop: Header=BB4_7295 Depth=2
	v_and_b32_e32 v2, 0x7fffffff, v1
	v_mov_b32_e32 v3, v15
	v_cmp_gt_u64_e32 vcc, s[56:57], v[2:3]
	v_and_b32_sdwa v0, v1, s48 dst_sel:DWORD dst_unused:UNUSED_PAD src0_sel:BYTE_3 src1_sel:DWORD
                                        ; implicit-def: $vgpr2
                                        ; kill: killed $vgpr2
	s_and_saveexec_b64 s[20:21], vcc
	s_xor_b64 s[78:79], exec, s[20:21]
	s_cbranch_execz .LBB4_7584
; %bb.7575:                             ;   in Loop: Header=BB4_7295 Depth=2
	v_mov_b32_e32 v2, 0
	v_cmp_ne_u32_e32 vcc, 0, v1
	buffer_store_dword v2, off, s[0:3], s33 offset:192 ; 4-byte Folded Spill
	s_and_saveexec_b64 s[88:89], vcc
	s_cbranch_execz .LBB4_7583
; %bb.7576:                             ;   in Loop: Header=BB4_7295 Depth=2
	v_and_b32_e32 v3, 0x7fffff, v1
	v_bfe_u32 v1, v1, 23, 8
	v_cmp_gt_u32_e64 s[20:21], s49, v1
	v_sub_u32_e32 v2, 0x79, v1
	v_cmp_eq_u32_e32 vcc, 0, v1
	v_cndmask_b32_e64 v2, 0, v2, s[20:21]
	v_cndmask_b32_e32 v2, v2, v47, vcc
	v_or_b32_e32 v4, 0x800000, v3
	v_add_u32_e32 v5, 20, v2
	v_cndmask_b32_e32 v3, v4, v3, vcc
	v_mov_b32_e32 v4, v15
	v_lshlrev_b64 v[5:6], v5, -1
	v_add_u32_e32 v7, 19, v2
	v_lshlrev_b64 v[7:8], v7, 1
	v_lshrrev_b64 v[10:11], v2, v[3:4]
	v_bfi_b32 v6, v6, 0, 0
	v_bfi_b32 v5, v5, 0, v3
	v_cmp_eq_u64_e64 s[20:21], v[5:6], v[7:8]
	v_mov_b32_e32 v41, v11
	v_mov_b32_e32 v40, v10
	s_and_saveexec_b64 s[90:91], s[20:21]
; %bb.7577:                             ;   in Loop: Header=BB4_7295 Depth=2
	v_bfe_u32 v3, v10, 20, 1
	v_add_co_u32_e64 v3, s[20:21], v10, v3
	v_add_co_u32_e64 v40, s[20:21], -1, v3
; %bb.7578:                             ;   in Loop: Header=BB4_7295 Depth=2
	s_or_b64 exec, exec, s[90:91]
	v_add_u32_e32 v1, 0xffffff81, v1
	v_cndmask_b32_e32 v1, v1, v44, vcc
	v_lshrrev_b32_e32 v3, 23, v10
	v_add3_u32 v3, v2, v1, v3
	v_add_u32_e32 v2, 6, v3
	v_and_b32_e32 v1, 0xfffff, v40
	v_add_u32_e32 v10, v1, v10
	v_mov_b32_e32 v11, v15
	v_cmp_ne_u32_e32 vcc, 0, v2
                                        ; implicit-def: $vgpr1
	s_and_saveexec_b64 s[20:21], vcc
	s_xor_b64 s[20:21], exec, s[20:21]
; %bb.7579:                             ;   in Loop: Header=BB4_7295 Depth=2
	v_cmp_lt_u64_e32 vcc, s[58:59], v[10:11]
	v_add_u32_e32 v1, 7, v3
	v_cndmask_b32_e32 v1, v2, v1, vcc
	v_cndmask_b32_e64 v2, 0, 1, vcc
	v_lshrrev_b64 v[10:11], v2, v[10:11]
; %bb.7580:                             ;   in Loop: Header=BB4_7295 Depth=2
	s_andn2_saveexec_b64 s[20:21], s[20:21]
; %bb.7581:                             ;   in Loop: Header=BB4_7295 Depth=2
	v_bfe_u32 v1, v10, 23, 1
; %bb.7582:                             ;   in Loop: Header=BB4_7295 Depth=2
	s_or_b64 exec, exec, s[20:21]
	v_lshrrev_b64 v[2:3], 20, v[10:11]
	v_cmp_gt_i32_e32 vcc, 16, v1
	v_cndmask_b32_e32 v3, 0, v3, vcc
	v_cndmask_b32_e32 v2, 7, v2, vcc
	v_cmp_eq_u32_e32 vcc, 0, v1
	v_min_i32_e32 v1, 15, v1
	v_cmp_eq_u64_e64 s[20:21], 0, v[2:3]
	v_lshlrev_b32_e32 v1, 3, v1
	v_and_b32_e32 v1, 0xf8, v1
	v_and_or_b32 v1, v2, 7, v1
	s_and_b64 s[20:21], vcc, s[20:21]
	v_cndmask_b32_e64 v1, v1, 0, s[20:21]
	v_or_b32_e32 v0, v1, v0
	buffer_store_dword v0, off, s[0:3], s33 offset:192 ; 4-byte Folded Spill
.LBB4_7583:                             ;   in Loop: Header=BB4_7295 Depth=2
	s_or_b64 exec, exec, s[88:89]
                                        ; implicit-def: $vgpr0
.LBB4_7584:                             ;   in Loop: Header=BB4_7295 Depth=2
	s_andn2_saveexec_b64 s[20:21], s[78:79]
	s_cbranch_execz .LBB4_7586
; %bb.7585:                             ;   in Loop: Header=BB4_7295 Depth=2
	v_or_b32_e32 v0, 0x7e, v0
	buffer_store_dword v0, off, s[0:3], s33 offset:192 ; 4-byte Folded Spill
.LBB4_7586:                             ;   in Loop: Header=BB4_7295 Depth=2
	s_or_b64 exec, exec, s[20:21]
                                        ; implicit-def: $vgpr1
.LBB4_7587:                             ;   in Loop: Header=BB4_7295 Depth=2
	s_andn2_saveexec_b64 s[20:21], s[76:77]
	s_cbranch_execz .LBB4_7589
; %bb.7588:                             ;   in Loop: Header=BB4_7295 Depth=2
	v_or_b32_sdwa v0, v1, s39 dst_sel:DWORD dst_unused:UNUSED_PAD src0_sel:BYTE_3 src1_sel:DWORD
	buffer_store_dword v0, off, s[0:3], s33 offset:192 ; 4-byte Folded Spill
.LBB4_7589:                             ;   in Loop: Header=BB4_7295 Depth=2
	s_or_b64 exec, exec, s[20:21]
	v_lshrrev_b16_e32 v10, 8, v14
	v_cmp_ne_u16_e32 vcc, 0, v10
	v_mov_b32_e32 v0, 0
	s_and_saveexec_b64 s[20:21], vcc
	s_cbranch_execz .LBB4_7595
; %bb.7590:                             ;   in Loop: Header=BB4_7295 Depth=2
	v_cmp_ne_u16_e32 vcc, s48, v10
	v_bfrev_b32_e32 v0, 1
	s_and_saveexec_b64 s[76:77], vcc
	s_cbranch_execz .LBB4_7594
; %bb.7591:                             ;   in Loop: Header=BB4_7295 Depth=2
	v_and_b32_e32 v1, 0x7f, v10
	v_cmp_ne_u32_e32 vcc, s39, v1
	v_mov_b32_e32 v0, 0x7f800001
	s_and_saveexec_b64 s[78:79], vcc
	s_cbranch_execz .LBB4_7593
; %bb.7592:                             ;   in Loop: Header=BB4_7295 Depth=2
	v_and_b32_e32 v2, 7, v10
	v_ffbh_u32_e32 v0, v2
	v_min_u32_e32 v4, 32, v0
	v_subrev_u32_e32 v0, 28, v4
	v_lshrrev_b32_e32 v3, 3, v1
	v_cmp_gt_u32_e32 vcc, 8, v1
	v_lshlrev_b64 v[0:1], v0, v[10:11]
	v_sub_u32_e32 v1, 29, v4
	v_and_b32_e32 v0, 7, v0
	v_cndmask_b32_e32 v1, v3, v1, vcc
	v_cndmask_b32_e32 v0, v2, v0, vcc
	v_lshlrev_b32_e32 v2, 16, v14
	v_bfrev_b32_e32 v3, 60
	v_lshlrev_b32_e32 v0, 20, v0
	v_and_b32_e32 v2, 0x80000000, v2
	v_lshl_add_u32 v1, v1, 23, v3
	v_or3_b32 v0, v2, v1, v0
.LBB4_7593:                             ;   in Loop: Header=BB4_7295 Depth=2
	s_or_b64 exec, exec, s[78:79]
.LBB4_7594:                             ;   in Loop: Header=BB4_7295 Depth=2
	s_or_b64 exec, exec, s[76:77]
.LBB4_7595:                             ;   in Loop: Header=BB4_7295 Depth=2
	s_or_b64 exec, exec, s[20:21]
	v_mul_f32_e32 v1, v61, v0
	v_and_b32_e32 v14, 0x7f800000, v1
	v_cmp_ne_u64_e32 vcc, s[46:47], v[14:15]
                                        ; implicit-def: $vgpr0
                                        ; kill: killed $vgpr0
	s_and_saveexec_b64 s[20:21], vcc
	s_xor_b64 s[76:77], exec, s[20:21]
	s_cbranch_execz .LBB4_7609
; %bb.7596:                             ;   in Loop: Header=BB4_7295 Depth=2
	v_and_b32_e32 v14, 0x7fffffff, v1
	v_cmp_gt_u64_e32 vcc, s[56:57], v[14:15]
	v_and_b32_sdwa v0, v1, s48 dst_sel:DWORD dst_unused:UNUSED_PAD src0_sel:BYTE_3 src1_sel:DWORD
                                        ; implicit-def: $vgpr2
                                        ; kill: killed $vgpr2
	s_and_saveexec_b64 s[20:21], vcc
	s_xor_b64 s[78:79], exec, s[20:21]
	s_cbranch_execz .LBB4_7606
; %bb.7597:                             ;   in Loop: Header=BB4_7295 Depth=2
	v_mov_b32_e32 v2, 0
	v_cmp_ne_u32_e32 vcc, 0, v1
	buffer_store_dword v2, off, s[0:3], s33 offset:196 ; 4-byte Folded Spill
	s_and_saveexec_b64 s[88:89], vcc
	s_cbranch_execz .LBB4_7605
; %bb.7598:                             ;   in Loop: Header=BB4_7295 Depth=2
	v_and_b32_e32 v3, 0x7fffff, v1
	v_bfe_u32 v1, v1, 23, 8
	v_cmp_gt_u32_e64 s[20:21], s49, v1
	v_sub_u32_e32 v2, 0x79, v1
	v_cmp_eq_u32_e32 vcc, 0, v1
	v_cndmask_b32_e64 v2, 0, v2, s[20:21]
	v_or_b32_e32 v4, 0x800000, v3
	v_cndmask_b32_e32 v2, v2, v47, vcc
	v_cndmask_b32_e32 v14, v4, v3, vcc
	v_add_u32_e32 v3, 20, v2
	v_lshlrev_b64 v[3:4], v3, -1
	v_add_u32_e32 v5, 19, v2
	v_lshlrev_b64 v[5:6], v5, 1
	v_lshrrev_b64 v[10:11], v2, v[14:15]
	v_bfi_b32 v4, v4, 0, 0
	v_bfi_b32 v3, v3, 0, v14
	v_cmp_eq_u64_e64 s[20:21], v[3:4], v[5:6]
	v_mov_b32_e32 v41, v11
	v_mov_b32_e32 v40, v10
	s_and_saveexec_b64 s[90:91], s[20:21]
; %bb.7599:                             ;   in Loop: Header=BB4_7295 Depth=2
	v_bfe_u32 v3, v10, 20, 1
	v_add_co_u32_e64 v3, s[20:21], v10, v3
	v_add_co_u32_e64 v40, s[20:21], -1, v3
; %bb.7600:                             ;   in Loop: Header=BB4_7295 Depth=2
	s_or_b64 exec, exec, s[90:91]
	v_add_u32_e32 v1, 0xffffff81, v1
	v_cndmask_b32_e32 v1, v1, v44, vcc
	v_lshrrev_b32_e32 v3, 23, v10
	v_add3_u32 v3, v2, v1, v3
	v_add_u32_e32 v2, 6, v3
	v_and_b32_e32 v1, 0xfffff, v40
	v_add_u32_e32 v14, v1, v10
	v_cmp_ne_u32_e32 vcc, 0, v2
                                        ; implicit-def: $vgpr10_vgpr11
                                        ; implicit-def: $vgpr1
	s_and_saveexec_b64 s[20:21], vcc
	s_xor_b64 s[20:21], exec, s[20:21]
; %bb.7601:                             ;   in Loop: Header=BB4_7295 Depth=2
	v_cmp_lt_u64_e32 vcc, s[58:59], v[14:15]
	v_add_u32_e32 v1, 7, v3
	v_cndmask_b32_e32 v1, v2, v1, vcc
	v_cndmask_b32_e64 v2, 0, 1, vcc
	v_lshrrev_b64 v[10:11], v2, v[14:15]
; %bb.7602:                             ;   in Loop: Header=BB4_7295 Depth=2
	s_andn2_saveexec_b64 s[20:21], s[20:21]
; %bb.7603:                             ;   in Loop: Header=BB4_7295 Depth=2
	v_mov_b32_e32 v10, v14
	v_bfe_u32 v1, v14, 23, 1
	v_mov_b32_e32 v11, v15
; %bb.7604:                             ;   in Loop: Header=BB4_7295 Depth=2
	s_or_b64 exec, exec, s[20:21]
	v_lshrrev_b64 v[2:3], 20, v[10:11]
	v_cmp_gt_i32_e32 vcc, 16, v1
	v_cndmask_b32_e32 v3, 0, v3, vcc
	v_cndmask_b32_e32 v2, 7, v2, vcc
	v_cmp_eq_u32_e32 vcc, 0, v1
	v_min_i32_e32 v1, 15, v1
	v_cmp_eq_u64_e64 s[20:21], 0, v[2:3]
	v_lshlrev_b32_e32 v1, 3, v1
	v_and_b32_e32 v1, 0xf8, v1
	v_and_or_b32 v1, v2, 7, v1
	s_and_b64 s[20:21], vcc, s[20:21]
	v_cndmask_b32_e64 v1, v1, 0, s[20:21]
	v_or_b32_e32 v0, v1, v0
	buffer_store_dword v0, off, s[0:3], s33 offset:196 ; 4-byte Folded Spill
.LBB4_7605:                             ;   in Loop: Header=BB4_7295 Depth=2
	s_or_b64 exec, exec, s[88:89]
                                        ; implicit-def: $vgpr0
.LBB4_7606:                             ;   in Loop: Header=BB4_7295 Depth=2
	s_andn2_saveexec_b64 s[20:21], s[78:79]
	s_cbranch_execz .LBB4_7608
; %bb.7607:                             ;   in Loop: Header=BB4_7295 Depth=2
	v_or_b32_e32 v0, 0x7e, v0
	buffer_store_dword v0, off, s[0:3], s33 offset:196 ; 4-byte Folded Spill
.LBB4_7608:                             ;   in Loop: Header=BB4_7295 Depth=2
	s_or_b64 exec, exec, s[20:21]
                                        ; implicit-def: $vgpr1
.LBB4_7609:                             ;   in Loop: Header=BB4_7295 Depth=2
	s_andn2_saveexec_b64 s[20:21], s[76:77]
	s_cbranch_execz .LBB4_7611
; %bb.7610:                             ;   in Loop: Header=BB4_7295 Depth=2
	v_or_b32_sdwa v0, v1, s39 dst_sel:DWORD dst_unused:UNUSED_PAD src0_sel:BYTE_3 src1_sel:DWORD
	buffer_store_dword v0, off, s[0:3], s33 offset:196 ; 4-byte Folded Spill
.LBB4_7611:                             ;   in Loop: Header=BB4_7295 Depth=2
	s_or_b64 exec, exec, s[20:21]
	v_lshrrev_b32_e32 v10, 16, v13
	v_cmp_ne_u16_sdwa s[76:77], v10, v15 src0_sel:BYTE_0 src1_sel:DWORD
	v_mov_b32_e32 v0, 0
	s_and_saveexec_b64 s[20:21], s[76:77]
	s_cbranch_execz .LBB4_7617
; %bb.7612:                             ;   in Loop: Header=BB4_7295 Depth=2
	v_cmp_ne_u16_sdwa s[78:79], v10, s48 src0_sel:BYTE_0 src1_sel:DWORD
	v_bfrev_b32_e32 v0, 1
	s_and_saveexec_b64 s[76:77], s[78:79]
	s_cbranch_execz .LBB4_7616
; %bb.7613:                             ;   in Loop: Header=BB4_7295 Depth=2
	v_bfe_u32 v1, v13, 16, 7
	v_cmp_ne_u32_e32 vcc, s39, v1
	v_mov_b32_e32 v0, 0x7f800001
	s_and_saveexec_b64 s[78:79], vcc
	s_cbranch_execz .LBB4_7615
; %bb.7614:                             ;   in Loop: Header=BB4_7295 Depth=2
	v_and_b32_e32 v2, 7, v10
	v_ffbh_u32_e32 v0, v2
	v_min_u32_e32 v4, 32, v0
	v_subrev_u32_e32 v0, 28, v4
	v_lshrrev_b32_e32 v3, 3, v1
	v_cmp_gt_u32_e32 vcc, 8, v1
	v_lshlrev_b64 v[0:1], v0, v[10:11]
	v_sub_u32_e32 v1, 29, v4
	v_and_b32_e32 v0, 7, v0
	v_cndmask_b32_e32 v1, v3, v1, vcc
	v_cndmask_b32_e32 v0, v2, v0, vcc
	v_lshlrev_b32_e32 v2, 24, v10
	v_bfrev_b32_e32 v3, 60
	v_lshlrev_b32_e32 v0, 20, v0
	v_and_b32_e32 v2, 0x80000000, v2
	v_lshl_add_u32 v1, v1, 23, v3
	v_or3_b32 v0, v2, v1, v0
.LBB4_7615:                             ;   in Loop: Header=BB4_7295 Depth=2
	s_or_b64 exec, exec, s[78:79]
.LBB4_7616:                             ;   in Loop: Header=BB4_7295 Depth=2
	s_or_b64 exec, exec, s[76:77]
.LBB4_7617:                             ;   in Loop: Header=BB4_7295 Depth=2
	s_or_b64 exec, exec, s[20:21]
	v_mul_f32_e32 v1, v61, v0
	v_and_b32_e32 v14, 0x7f800000, v1
	v_cmp_ne_u64_e32 vcc, s[46:47], v[14:15]
                                        ; implicit-def: $vgpr0
                                        ; kill: killed $vgpr0
	s_and_saveexec_b64 s[20:21], vcc
	s_xor_b64 s[76:77], exec, s[20:21]
	s_cbranch_execz .LBB4_7631
; %bb.7618:                             ;   in Loop: Header=BB4_7295 Depth=2
	v_and_b32_e32 v14, 0x7fffffff, v1
	v_cmp_gt_u64_e32 vcc, s[56:57], v[14:15]
	v_and_b32_sdwa v0, v1, s48 dst_sel:DWORD dst_unused:UNUSED_PAD src0_sel:BYTE_3 src1_sel:DWORD
                                        ; implicit-def: $vgpr2
                                        ; kill: killed $vgpr2
	s_and_saveexec_b64 s[20:21], vcc
	s_xor_b64 s[78:79], exec, s[20:21]
	s_cbranch_execz .LBB4_7628
; %bb.7619:                             ;   in Loop: Header=BB4_7295 Depth=2
	v_mov_b32_e32 v2, 0
	v_cmp_ne_u32_e32 vcc, 0, v1
	buffer_store_dword v2, off, s[0:3], s33 offset:200 ; 4-byte Folded Spill
	s_and_saveexec_b64 s[88:89], vcc
	s_cbranch_execz .LBB4_7627
; %bb.7620:                             ;   in Loop: Header=BB4_7295 Depth=2
	v_and_b32_e32 v3, 0x7fffff, v1
	v_bfe_u32 v1, v1, 23, 8
	v_cmp_gt_u32_e64 s[20:21], s49, v1
	v_sub_u32_e32 v2, 0x79, v1
	v_cmp_eq_u32_e32 vcc, 0, v1
	v_cndmask_b32_e64 v2, 0, v2, s[20:21]
	v_or_b32_e32 v4, 0x800000, v3
	v_cndmask_b32_e32 v2, v2, v47, vcc
	v_cndmask_b32_e32 v14, v4, v3, vcc
	v_add_u32_e32 v3, 20, v2
	v_lshlrev_b64 v[3:4], v3, -1
	v_add_u32_e32 v5, 19, v2
	v_lshlrev_b64 v[5:6], v5, 1
	v_lshrrev_b64 v[10:11], v2, v[14:15]
	v_bfi_b32 v4, v4, 0, 0
	v_bfi_b32 v3, v3, 0, v14
	v_cmp_eq_u64_e64 s[20:21], v[3:4], v[5:6]
	v_mov_b32_e32 v41, v11
	v_mov_b32_e32 v40, v10
	s_and_saveexec_b64 s[90:91], s[20:21]
; %bb.7621:                             ;   in Loop: Header=BB4_7295 Depth=2
	v_bfe_u32 v3, v10, 20, 1
	v_add_co_u32_e64 v3, s[20:21], v10, v3
	v_add_co_u32_e64 v40, s[20:21], -1, v3
; %bb.7622:                             ;   in Loop: Header=BB4_7295 Depth=2
	s_or_b64 exec, exec, s[90:91]
	v_add_u32_e32 v1, 0xffffff81, v1
	v_cndmask_b32_e32 v1, v1, v44, vcc
	v_lshrrev_b32_e32 v3, 23, v10
	v_add3_u32 v3, v2, v1, v3
	v_add_u32_e32 v2, 6, v3
	v_and_b32_e32 v1, 0xfffff, v40
	v_add_u32_e32 v14, v1, v10
	v_cmp_ne_u32_e32 vcc, 0, v2
                                        ; implicit-def: $vgpr10_vgpr11
                                        ; implicit-def: $vgpr1
	s_and_saveexec_b64 s[20:21], vcc
	s_xor_b64 s[20:21], exec, s[20:21]
; %bb.7623:                             ;   in Loop: Header=BB4_7295 Depth=2
	v_cmp_lt_u64_e32 vcc, s[58:59], v[14:15]
	v_add_u32_e32 v1, 7, v3
	v_cndmask_b32_e32 v1, v2, v1, vcc
	v_cndmask_b32_e64 v2, 0, 1, vcc
	v_lshrrev_b64 v[10:11], v2, v[14:15]
; %bb.7624:                             ;   in Loop: Header=BB4_7295 Depth=2
	s_andn2_saveexec_b64 s[20:21], s[20:21]
; %bb.7625:                             ;   in Loop: Header=BB4_7295 Depth=2
	v_mov_b32_e32 v10, v14
	v_bfe_u32 v1, v14, 23, 1
	v_mov_b32_e32 v11, v15
; %bb.7626:                             ;   in Loop: Header=BB4_7295 Depth=2
	s_or_b64 exec, exec, s[20:21]
	v_lshrrev_b64 v[2:3], 20, v[10:11]
	v_cmp_gt_i32_e32 vcc, 16, v1
	v_cndmask_b32_e32 v3, 0, v3, vcc
	v_cndmask_b32_e32 v2, 7, v2, vcc
	v_cmp_eq_u32_e32 vcc, 0, v1
	v_min_i32_e32 v1, 15, v1
	v_cmp_eq_u64_e64 s[20:21], 0, v[2:3]
	v_lshlrev_b32_e32 v1, 3, v1
	v_and_b32_e32 v1, 0xf8, v1
	v_and_or_b32 v1, v2, 7, v1
	s_and_b64 s[20:21], vcc, s[20:21]
	v_cndmask_b32_e64 v1, v1, 0, s[20:21]
	v_or_b32_e32 v0, v1, v0
	buffer_store_dword v0, off, s[0:3], s33 offset:200 ; 4-byte Folded Spill
.LBB4_7627:                             ;   in Loop: Header=BB4_7295 Depth=2
	s_or_b64 exec, exec, s[88:89]
                                        ; implicit-def: $vgpr0
.LBB4_7628:                             ;   in Loop: Header=BB4_7295 Depth=2
	s_andn2_saveexec_b64 s[20:21], s[78:79]
	s_cbranch_execz .LBB4_7630
; %bb.7629:                             ;   in Loop: Header=BB4_7295 Depth=2
	v_or_b32_e32 v0, 0x7e, v0
	buffer_store_dword v0, off, s[0:3], s33 offset:200 ; 4-byte Folded Spill
.LBB4_7630:                             ;   in Loop: Header=BB4_7295 Depth=2
	s_or_b64 exec, exec, s[20:21]
                                        ; implicit-def: $vgpr1
.LBB4_7631:                             ;   in Loop: Header=BB4_7295 Depth=2
	s_andn2_saveexec_b64 s[20:21], s[76:77]
	s_cbranch_execz .LBB4_7633
; %bb.7632:                             ;   in Loop: Header=BB4_7295 Depth=2
	v_or_b32_sdwa v0, v1, s39 dst_sel:DWORD dst_unused:UNUSED_PAD src0_sel:BYTE_3 src1_sel:DWORD
	buffer_store_dword v0, off, s[0:3], s33 offset:200 ; 4-byte Folded Spill
.LBB4_7633:                             ;   in Loop: Header=BB4_7295 Depth=2
	s_or_b64 exec, exec, s[20:21]
	v_cmp_lt_u64_e32 vcc, s[60:61], v[12:13]
	v_mov_b32_e32 v0, 0
	s_and_saveexec_b64 s[20:21], vcc
	s_cbranch_execz .LBB4_7639
; %bb.7634:                             ;   in Loop: Header=BB4_7295 Depth=2
	v_lshrrev_b32_e32 v10, 24, v13
	v_cmp_ne_u32_e32 vcc, s48, v10
	v_bfrev_b32_e32 v0, 1
	s_and_saveexec_b64 s[76:77], vcc
	s_cbranch_execz .LBB4_7638
; %bb.7635:                             ;   in Loop: Header=BB4_7295 Depth=2
	v_bfe_u32 v1, v13, 24, 7
	v_cmp_ne_u32_e32 vcc, s39, v1
	v_mov_b32_e32 v0, 0x7f800001
	s_and_saveexec_b64 s[78:79], vcc
	s_cbranch_execz .LBB4_7637
; %bb.7636:                             ;   in Loop: Header=BB4_7295 Depth=2
	v_and_b32_e32 v2, 7, v10
	v_ffbh_u32_e32 v0, v2
	v_min_u32_e32 v4, 32, v0
	v_subrev_u32_e32 v0, 28, v4
	v_lshrrev_b32_e32 v3, 3, v1
	v_cmp_gt_u32_e32 vcc, 8, v1
	v_lshlrev_b64 v[0:1], v0, v[10:11]
	v_sub_u32_e32 v1, 29, v4
	v_and_b32_e32 v0, 7, v0
	v_cndmask_b32_e32 v1, v3, v1, vcc
	v_cndmask_b32_e32 v0, v2, v0, vcc
	v_lshlrev_b32_e32 v2, 24, v10
	v_bfrev_b32_e32 v3, 60
	v_lshlrev_b32_e32 v0, 20, v0
	v_and_b32_e32 v2, 0x80000000, v2
	v_lshl_add_u32 v1, v1, 23, v3
	v_or3_b32 v0, v2, v1, v0
.LBB4_7637:                             ;   in Loop: Header=BB4_7295 Depth=2
	s_or_b64 exec, exec, s[78:79]
.LBB4_7638:                             ;   in Loop: Header=BB4_7295 Depth=2
	s_or_b64 exec, exec, s[76:77]
.LBB4_7639:                             ;   in Loop: Header=BB4_7295 Depth=2
	s_or_b64 exec, exec, s[20:21]
	v_mul_f32_e32 v1, v61, v0
	v_and_b32_e32 v14, 0x7f800000, v1
	v_cmp_ne_u64_e32 vcc, s[46:47], v[14:15]
                                        ; implicit-def: $vgpr0
                                        ; kill: killed $vgpr0
	s_and_saveexec_b64 s[20:21], vcc
	s_xor_b64 s[76:77], exec, s[20:21]
	s_cbranch_execz .LBB4_7653
; %bb.7640:                             ;   in Loop: Header=BB4_7295 Depth=2
	v_and_b32_e32 v14, 0x7fffffff, v1
	v_cmp_gt_u64_e32 vcc, s[56:57], v[14:15]
	v_and_b32_sdwa v0, v1, s48 dst_sel:DWORD dst_unused:UNUSED_PAD src0_sel:BYTE_3 src1_sel:DWORD
                                        ; implicit-def: $vgpr2
                                        ; kill: killed $vgpr2
	s_and_saveexec_b64 s[20:21], vcc
	s_xor_b64 s[78:79], exec, s[20:21]
	s_cbranch_execz .LBB4_7650
; %bb.7641:                             ;   in Loop: Header=BB4_7295 Depth=2
	v_mov_b32_e32 v2, 0
	v_cmp_ne_u32_e32 vcc, 0, v1
	buffer_store_dword v2, off, s[0:3], s33 offset:204 ; 4-byte Folded Spill
	s_and_saveexec_b64 s[88:89], vcc
	s_cbranch_execz .LBB4_7649
; %bb.7642:                             ;   in Loop: Header=BB4_7295 Depth=2
	v_and_b32_e32 v3, 0x7fffff, v1
	v_bfe_u32 v1, v1, 23, 8
	v_cmp_gt_u32_e64 s[20:21], s49, v1
	v_sub_u32_e32 v2, 0x79, v1
	v_cmp_eq_u32_e32 vcc, 0, v1
	v_cndmask_b32_e64 v2, 0, v2, s[20:21]
	v_or_b32_e32 v4, 0x800000, v3
	v_cndmask_b32_e32 v2, v2, v47, vcc
	v_cndmask_b32_e32 v14, v4, v3, vcc
	v_add_u32_e32 v3, 20, v2
	v_lshlrev_b64 v[3:4], v3, -1
	v_add_u32_e32 v5, 19, v2
	v_lshlrev_b64 v[5:6], v5, 1
	v_lshrrev_b64 v[10:11], v2, v[14:15]
	v_bfi_b32 v4, v4, 0, 0
	v_bfi_b32 v3, v3, 0, v14
	v_cmp_eq_u64_e64 s[20:21], v[3:4], v[5:6]
	v_mov_b32_e32 v12, v11
	v_mov_b32_e32 v11, v10
	s_and_saveexec_b64 s[90:91], s[20:21]
; %bb.7643:                             ;   in Loop: Header=BB4_7295 Depth=2
	v_bfe_u32 v3, v10, 20, 1
	v_add_co_u32_e64 v3, s[20:21], v10, v3
	v_add_co_u32_e64 v11, s[20:21], -1, v3
; %bb.7644:                             ;   in Loop: Header=BB4_7295 Depth=2
	s_or_b64 exec, exec, s[90:91]
	v_add_u32_e32 v1, 0xffffff81, v1
	v_cndmask_b32_e32 v1, v1, v44, vcc
	v_lshrrev_b32_e32 v3, 23, v10
	v_add3_u32 v3, v2, v1, v3
	v_add_u32_e32 v2, 6, v3
	v_and_b32_e32 v1, 0xfffff, v11
	v_add_u32_e32 v14, v1, v10
	v_cmp_ne_u32_e32 vcc, 0, v2
                                        ; implicit-def: $vgpr10_vgpr11
                                        ; implicit-def: $vgpr1
	s_and_saveexec_b64 s[20:21], vcc
	s_xor_b64 s[20:21], exec, s[20:21]
; %bb.7645:                             ;   in Loop: Header=BB4_7295 Depth=2
	v_cmp_lt_u64_e32 vcc, s[58:59], v[14:15]
	v_add_u32_e32 v1, 7, v3
	v_cndmask_b32_e32 v1, v2, v1, vcc
	v_cndmask_b32_e64 v2, 0, 1, vcc
	v_lshrrev_b64 v[10:11], v2, v[14:15]
; %bb.7646:                             ;   in Loop: Header=BB4_7295 Depth=2
	s_andn2_saveexec_b64 s[20:21], s[20:21]
; %bb.7647:                             ;   in Loop: Header=BB4_7295 Depth=2
	v_mov_b32_e32 v10, v14
	v_bfe_u32 v1, v14, 23, 1
	v_mov_b32_e32 v11, v15
; %bb.7648:                             ;   in Loop: Header=BB4_7295 Depth=2
	s_or_b64 exec, exec, s[20:21]
	v_lshrrev_b64 v[2:3], 20, v[10:11]
	v_cmp_gt_i32_e32 vcc, 16, v1
	v_cndmask_b32_e32 v3, 0, v3, vcc
	v_cndmask_b32_e32 v2, 7, v2, vcc
	v_cmp_eq_u32_e32 vcc, 0, v1
	v_min_i32_e32 v1, 15, v1
	v_cmp_eq_u64_e64 s[20:21], 0, v[2:3]
	v_lshlrev_b32_e32 v1, 3, v1
	v_and_b32_e32 v1, 0xf8, v1
	v_and_or_b32 v1, v2, 7, v1
	s_and_b64 s[20:21], vcc, s[20:21]
	v_cndmask_b32_e64 v1, v1, 0, s[20:21]
	v_or_b32_e32 v0, v1, v0
	buffer_store_dword v0, off, s[0:3], s33 offset:204 ; 4-byte Folded Spill
.LBB4_7649:                             ;   in Loop: Header=BB4_7295 Depth=2
	s_or_b64 exec, exec, s[88:89]
                                        ; implicit-def: $vgpr0
.LBB4_7650:                             ;   in Loop: Header=BB4_7295 Depth=2
	s_andn2_saveexec_b64 s[20:21], s[78:79]
	s_cbranch_execz .LBB4_7652
; %bb.7651:                             ;   in Loop: Header=BB4_7295 Depth=2
	v_or_b32_e32 v0, 0x7e, v0
	buffer_store_dword v0, off, s[0:3], s33 offset:204 ; 4-byte Folded Spill
.LBB4_7652:                             ;   in Loop: Header=BB4_7295 Depth=2
	s_or_b64 exec, exec, s[20:21]
                                        ; implicit-def: $vgpr1
.LBB4_7653:                             ;   in Loop: Header=BB4_7295 Depth=2
	s_andn2_saveexec_b64 s[20:21], s[76:77]
	s_cbranch_execz .LBB4_7655
; %bb.7654:                             ;   in Loop: Header=BB4_7295 Depth=2
	v_or_b32_sdwa v0, v1, s39 dst_sel:DWORD dst_unused:UNUSED_PAD src0_sel:BYTE_3 src1_sel:DWORD
	buffer_store_dword v0, off, s[0:3], s33 offset:204 ; 4-byte Folded Spill
.LBB4_7655:                             ;   in Loop: Header=BB4_7295 Depth=2
	s_or_b64 exec, exec, s[20:21]
	global_load_dwordx4 v[10:13], v[54:55], off offset:1024 glc slc
	v_mov_b32_e32 v0, 0
	s_waitcnt vmcnt(0)
	v_cmp_ne_u16_sdwa s[76:77], v10, v15 src0_sel:BYTE_0 src1_sel:DWORD
	s_and_saveexec_b64 s[20:21], s[76:77]
	s_cbranch_execz .LBB4_7661
; %bb.7656:                             ;   in Loop: Header=BB4_7295 Depth=2
	v_cmp_ne_u16_sdwa s[78:79], v10, s48 src0_sel:BYTE_0 src1_sel:DWORD
	v_bfrev_b32_e32 v0, 1
	s_and_saveexec_b64 s[76:77], s[78:79]
	s_cbranch_execz .LBB4_7660
; %bb.7657:                             ;   in Loop: Header=BB4_7295 Depth=2
	v_and_b32_e32 v1, 0x7f, v10
	v_cmp_ne_u32_e32 vcc, s39, v1
	v_mov_b32_e32 v0, 0x7f800001
	s_and_saveexec_b64 s[78:79], vcc
	s_cbranch_execz .LBB4_7659
; %bb.7658:                             ;   in Loop: Header=BB4_7295 Depth=2
	v_and_b32_e32 v0, 7, v10
	v_ffbh_u32_e32 v0, v0
	v_min_u32_e32 v0, 32, v0
	v_lshrrev_b32_e32 v2, 3, v1
	v_cmp_gt_u32_e32 vcc, 8, v1
	v_subrev_u32_e32 v1, 28, v0
	v_sub_u32_e32 v0, 29, v0
	v_cndmask_b32_e32 v2, v2, v0, vcc
	v_cndmask_b32_e32 v0, 0, v1, vcc
	v_lshlrev_b64 v[0:1], v0, v[10:11]
	v_lshlrev_b32_e32 v1, 24, v10
	v_lshlrev_b32_e32 v0, 20, v0
	v_bfrev_b32_e32 v3, 60
	v_and_b32_e32 v0, 0x700000, v0
	v_and_b32_e32 v1, 0x80000000, v1
	v_lshl_add_u32 v2, v2, 23, v3
	v_or3_b32 v0, v1, v2, v0
.LBB4_7659:                             ;   in Loop: Header=BB4_7295 Depth=2
	s_or_b64 exec, exec, s[78:79]
.LBB4_7660:                             ;   in Loop: Header=BB4_7295 Depth=2
	s_or_b64 exec, exec, s[76:77]
.LBB4_7661:                             ;   in Loop: Header=BB4_7295 Depth=2
	s_or_b64 exec, exec, s[20:21]
	v_mul_f32_e32 v1, v61, v0
	v_and_b32_e32 v14, 0x7f800000, v1
	v_cmp_ne_u64_e32 vcc, s[46:47], v[14:15]
                                        ; implicit-def: $vgpr0
                                        ; kill: killed $vgpr0
	s_and_saveexec_b64 s[20:21], vcc
	s_xor_b64 s[76:77], exec, s[20:21]
	s_cbranch_execz .LBB4_7675
; %bb.7662:                             ;   in Loop: Header=BB4_7295 Depth=2
	v_and_b32_e32 v14, 0x7fffffff, v1
	v_cmp_gt_u64_e32 vcc, s[56:57], v[14:15]
	v_and_b32_sdwa v0, v1, s48 dst_sel:DWORD dst_unused:UNUSED_PAD src0_sel:BYTE_3 src1_sel:DWORD
                                        ; implicit-def: $vgpr2
                                        ; kill: killed $vgpr2
	s_and_saveexec_b64 s[20:21], vcc
	s_xor_b64 s[78:79], exec, s[20:21]
	s_cbranch_execz .LBB4_7672
; %bb.7663:                             ;   in Loop: Header=BB4_7295 Depth=2
	v_mov_b32_e32 v2, 0
	v_cmp_ne_u32_e32 vcc, 0, v1
	buffer_store_dword v2, off, s[0:3], s33 offset:208 ; 4-byte Folded Spill
	s_and_saveexec_b64 s[88:89], vcc
	s_cbranch_execz .LBB4_7671
; %bb.7664:                             ;   in Loop: Header=BB4_7295 Depth=2
	v_and_b32_e32 v3, 0x7fffff, v1
	v_bfe_u32 v1, v1, 23, 8
	v_cmp_gt_u32_e64 s[20:21], s49, v1
	v_sub_u32_e32 v2, 0x79, v1
	v_cmp_eq_u32_e32 vcc, 0, v1
	v_cndmask_b32_e64 v2, 0, v2, s[20:21]
	v_or_b32_e32 v4, 0x800000, v3
	v_cndmask_b32_e32 v2, v2, v47, vcc
	v_cndmask_b32_e32 v14, v4, v3, vcc
	v_add_u32_e32 v3, 20, v2
	v_lshlrev_b64 v[3:4], v3, -1
	v_add_u32_e32 v5, 19, v2
	v_lshlrev_b64 v[5:6], v5, 1
	v_lshrrev_b64 v[40:41], v2, v[14:15]
	v_bfi_b32 v4, v4, 0, 0
	v_bfi_b32 v3, v3, 0, v14
	v_cmp_eq_u64_e64 s[20:21], v[3:4], v[5:6]
	v_mov_b32_e32 v42, v41
	v_mov_b32_e32 v41, v40
	s_and_saveexec_b64 s[90:91], s[20:21]
; %bb.7665:                             ;   in Loop: Header=BB4_7295 Depth=2
	v_bfe_u32 v3, v40, 20, 1
	v_add_co_u32_e64 v3, s[20:21], v40, v3
	v_add_co_u32_e64 v41, s[20:21], -1, v3
; %bb.7666:                             ;   in Loop: Header=BB4_7295 Depth=2
	s_or_b64 exec, exec, s[90:91]
	v_add_u32_e32 v1, 0xffffff81, v1
	v_cndmask_b32_e32 v1, v1, v44, vcc
	v_lshrrev_b32_e32 v3, 23, v40
	v_add3_u32 v3, v2, v1, v3
	v_add_u32_e32 v2, 6, v3
	v_and_b32_e32 v1, 0xfffff, v41
	v_add_u32_e32 v14, v1, v40
	v_cmp_ne_u32_e32 vcc, 0, v2
                                        ; implicit-def: $vgpr40_vgpr41
                                        ; implicit-def: $vgpr1
	s_and_saveexec_b64 s[20:21], vcc
	s_xor_b64 s[20:21], exec, s[20:21]
; %bb.7667:                             ;   in Loop: Header=BB4_7295 Depth=2
	v_cmp_lt_u64_e32 vcc, s[58:59], v[14:15]
	v_add_u32_e32 v1, 7, v3
	v_cndmask_b32_e32 v1, v2, v1, vcc
	v_cndmask_b32_e64 v2, 0, 1, vcc
	v_lshrrev_b64 v[40:41], v2, v[14:15]
; %bb.7668:                             ;   in Loop: Header=BB4_7295 Depth=2
	s_andn2_saveexec_b64 s[20:21], s[20:21]
; %bb.7669:                             ;   in Loop: Header=BB4_7295 Depth=2
	v_mov_b32_e32 v41, v15
	v_bfe_u32 v1, v14, 23, 1
	v_mov_b32_e32 v40, v14
; %bb.7670:                             ;   in Loop: Header=BB4_7295 Depth=2
	s_or_b64 exec, exec, s[20:21]
	v_lshrrev_b64 v[2:3], 20, v[40:41]
	v_cmp_gt_i32_e32 vcc, 16, v1
	v_cndmask_b32_e32 v3, 0, v3, vcc
	v_cndmask_b32_e32 v2, 7, v2, vcc
	v_cmp_eq_u32_e32 vcc, 0, v1
	v_min_i32_e32 v1, 15, v1
	v_cmp_eq_u64_e64 s[20:21], 0, v[2:3]
	v_lshlrev_b32_e32 v1, 3, v1
	v_and_b32_e32 v1, 0xf8, v1
	v_and_or_b32 v1, v2, 7, v1
	s_and_b64 s[20:21], vcc, s[20:21]
	v_cndmask_b32_e64 v1, v1, 0, s[20:21]
	v_or_b32_e32 v0, v1, v0
	buffer_store_dword v0, off, s[0:3], s33 offset:208 ; 4-byte Folded Spill
.LBB4_7671:                             ;   in Loop: Header=BB4_7295 Depth=2
	s_or_b64 exec, exec, s[88:89]
                                        ; implicit-def: $vgpr0
.LBB4_7672:                             ;   in Loop: Header=BB4_7295 Depth=2
	s_andn2_saveexec_b64 s[20:21], s[78:79]
	s_cbranch_execz .LBB4_7674
; %bb.7673:                             ;   in Loop: Header=BB4_7295 Depth=2
	v_or_b32_e32 v0, 0x7e, v0
	buffer_store_dword v0, off, s[0:3], s33 offset:208 ; 4-byte Folded Spill
.LBB4_7674:                             ;   in Loop: Header=BB4_7295 Depth=2
	s_or_b64 exec, exec, s[20:21]
                                        ; implicit-def: $vgpr1
.LBB4_7675:                             ;   in Loop: Header=BB4_7295 Depth=2
	s_andn2_saveexec_b64 s[20:21], s[76:77]
	s_cbranch_execz .LBB4_7677
; %bb.7676:                             ;   in Loop: Header=BB4_7295 Depth=2
	v_or_b32_sdwa v0, v1, s39 dst_sel:DWORD dst_unused:UNUSED_PAD src0_sel:BYTE_3 src1_sel:DWORD
	buffer_store_dword v0, off, s[0:3], s33 offset:208 ; 4-byte Folded Spill
.LBB4_7677:                             ;   in Loop: Header=BB4_7295 Depth=2
	s_or_b64 exec, exec, s[20:21]
	v_lshrrev_b16_e32 v14, 8, v10
	v_cmp_ne_u16_e32 vcc, 0, v14
	v_mov_b32_e32 v0, 0
	s_and_saveexec_b64 s[20:21], vcc
	s_cbranch_execz .LBB4_7683
; %bb.7678:                             ;   in Loop: Header=BB4_7295 Depth=2
	v_cmp_ne_u16_e32 vcc, s48, v14
	v_bfrev_b32_e32 v0, 1
	s_and_saveexec_b64 s[76:77], vcc
	s_cbranch_execz .LBB4_7682
; %bb.7679:                             ;   in Loop: Header=BB4_7295 Depth=2
	v_and_b32_e32 v1, 0x7f, v14
	v_cmp_ne_u32_e32 vcc, s39, v1
	v_mov_b32_e32 v0, 0x7f800001
	s_and_saveexec_b64 s[78:79], vcc
	s_cbranch_execz .LBB4_7681
; %bb.7680:                             ;   in Loop: Header=BB4_7295 Depth=2
	v_and_b32_e32 v2, 7, v14
	v_ffbh_u32_e32 v0, v2
	v_min_u32_e32 v4, 32, v0
	v_subrev_u32_e32 v0, 28, v4
	v_lshrrev_b32_e32 v3, 3, v1
	v_cmp_gt_u32_e32 vcc, 8, v1
	v_lshlrev_b64 v[0:1], v0, v[14:15]
	v_sub_u32_e32 v1, 29, v4
	v_and_b32_e32 v0, 7, v0
	v_cndmask_b32_e32 v1, v3, v1, vcc
	v_cndmask_b32_e32 v0, v2, v0, vcc
	v_lshlrev_b32_e32 v2, 16, v10
	v_bfrev_b32_e32 v3, 60
	v_lshlrev_b32_e32 v0, 20, v0
	v_and_b32_e32 v2, 0x80000000, v2
	v_lshl_add_u32 v1, v1, 23, v3
	v_or3_b32 v0, v2, v1, v0
.LBB4_7681:                             ;   in Loop: Header=BB4_7295 Depth=2
	s_or_b64 exec, exec, s[78:79]
.LBB4_7682:                             ;   in Loop: Header=BB4_7295 Depth=2
	s_or_b64 exec, exec, s[76:77]
.LBB4_7683:                             ;   in Loop: Header=BB4_7295 Depth=2
	s_or_b64 exec, exec, s[20:21]
	v_mul_f32_e32 v1, v61, v0
	v_and_b32_e32 v14, 0x7f800000, v1
	v_cmp_ne_u64_e32 vcc, s[46:47], v[14:15]
                                        ; implicit-def: $vgpr0
                                        ; kill: killed $vgpr0
	s_and_saveexec_b64 s[20:21], vcc
	s_xor_b64 s[76:77], exec, s[20:21]
	s_cbranch_execz .LBB4_7697
; %bb.7684:                             ;   in Loop: Header=BB4_7295 Depth=2
	v_and_b32_e32 v14, 0x7fffffff, v1
	v_cmp_gt_u64_e32 vcc, s[56:57], v[14:15]
	v_and_b32_sdwa v0, v1, s48 dst_sel:DWORD dst_unused:UNUSED_PAD src0_sel:BYTE_3 src1_sel:DWORD
                                        ; implicit-def: $vgpr2
                                        ; kill: killed $vgpr2
	s_and_saveexec_b64 s[20:21], vcc
	s_xor_b64 s[78:79], exec, s[20:21]
	s_cbranch_execz .LBB4_7694
; %bb.7685:                             ;   in Loop: Header=BB4_7295 Depth=2
	v_mov_b32_e32 v2, 0
	v_cmp_ne_u32_e32 vcc, 0, v1
	buffer_store_dword v2, off, s[0:3], s33 offset:212 ; 4-byte Folded Spill
	s_and_saveexec_b64 s[88:89], vcc
	s_cbranch_execz .LBB4_7693
; %bb.7686:                             ;   in Loop: Header=BB4_7295 Depth=2
	v_and_b32_e32 v3, 0x7fffff, v1
	v_bfe_u32 v1, v1, 23, 8
	v_cmp_gt_u32_e64 s[20:21], s49, v1
	v_sub_u32_e32 v2, 0x79, v1
	v_cmp_eq_u32_e32 vcc, 0, v1
	v_cndmask_b32_e64 v2, 0, v2, s[20:21]
	v_or_b32_e32 v4, 0x800000, v3
	v_cndmask_b32_e32 v2, v2, v47, vcc
	v_cndmask_b32_e32 v14, v4, v3, vcc
	v_add_u32_e32 v3, 20, v2
	v_lshlrev_b64 v[3:4], v3, -1
	v_add_u32_e32 v5, 19, v2
	v_lshlrev_b64 v[5:6], v5, 1
	v_lshrrev_b64 v[40:41], v2, v[14:15]
	v_bfi_b32 v4, v4, 0, 0
	v_bfi_b32 v3, v3, 0, v14
	v_cmp_eq_u64_e64 s[20:21], v[3:4], v[5:6]
	v_mov_b32_e32 v42, v41
	v_mov_b32_e32 v41, v40
	s_and_saveexec_b64 s[90:91], s[20:21]
; %bb.7687:                             ;   in Loop: Header=BB4_7295 Depth=2
	v_bfe_u32 v3, v40, 20, 1
	v_add_co_u32_e64 v3, s[20:21], v40, v3
	v_add_co_u32_e64 v41, s[20:21], -1, v3
; %bb.7688:                             ;   in Loop: Header=BB4_7295 Depth=2
	s_or_b64 exec, exec, s[90:91]
	v_add_u32_e32 v1, 0xffffff81, v1
	v_cndmask_b32_e32 v1, v1, v44, vcc
	v_lshrrev_b32_e32 v3, 23, v40
	v_add3_u32 v3, v2, v1, v3
	v_add_u32_e32 v2, 6, v3
	v_and_b32_e32 v1, 0xfffff, v41
	v_add_u32_e32 v14, v1, v40
	v_cmp_ne_u32_e32 vcc, 0, v2
                                        ; implicit-def: $vgpr40_vgpr41
                                        ; implicit-def: $vgpr1
	s_and_saveexec_b64 s[20:21], vcc
	s_xor_b64 s[20:21], exec, s[20:21]
; %bb.7689:                             ;   in Loop: Header=BB4_7295 Depth=2
	v_cmp_lt_u64_e32 vcc, s[58:59], v[14:15]
	v_add_u32_e32 v1, 7, v3
	v_cndmask_b32_e32 v1, v2, v1, vcc
	v_cndmask_b32_e64 v2, 0, 1, vcc
	v_lshrrev_b64 v[40:41], v2, v[14:15]
; %bb.7690:                             ;   in Loop: Header=BB4_7295 Depth=2
	s_andn2_saveexec_b64 s[20:21], s[20:21]
; %bb.7691:                             ;   in Loop: Header=BB4_7295 Depth=2
	v_mov_b32_e32 v41, v15
	v_bfe_u32 v1, v14, 23, 1
	v_mov_b32_e32 v40, v14
; %bb.7692:                             ;   in Loop: Header=BB4_7295 Depth=2
	s_or_b64 exec, exec, s[20:21]
	v_lshrrev_b64 v[2:3], 20, v[40:41]
	v_cmp_gt_i32_e32 vcc, 16, v1
	v_cndmask_b32_e32 v3, 0, v3, vcc
	v_cndmask_b32_e32 v2, 7, v2, vcc
	v_cmp_eq_u32_e32 vcc, 0, v1
	v_min_i32_e32 v1, 15, v1
	v_cmp_eq_u64_e64 s[20:21], 0, v[2:3]
	v_lshlrev_b32_e32 v1, 3, v1
	v_and_b32_e32 v1, 0xf8, v1
	v_and_or_b32 v1, v2, 7, v1
	s_and_b64 s[20:21], vcc, s[20:21]
	v_cndmask_b32_e64 v1, v1, 0, s[20:21]
	v_or_b32_e32 v0, v1, v0
	buffer_store_dword v0, off, s[0:3], s33 offset:212 ; 4-byte Folded Spill
.LBB4_7693:                             ;   in Loop: Header=BB4_7295 Depth=2
	s_or_b64 exec, exec, s[88:89]
                                        ; implicit-def: $vgpr0
.LBB4_7694:                             ;   in Loop: Header=BB4_7295 Depth=2
	s_andn2_saveexec_b64 s[20:21], s[78:79]
	s_cbranch_execz .LBB4_7696
; %bb.7695:                             ;   in Loop: Header=BB4_7295 Depth=2
	v_or_b32_e32 v0, 0x7e, v0
	buffer_store_dword v0, off, s[0:3], s33 offset:212 ; 4-byte Folded Spill
.LBB4_7696:                             ;   in Loop: Header=BB4_7295 Depth=2
	s_or_b64 exec, exec, s[20:21]
                                        ; implicit-def: $vgpr1
.LBB4_7697:                             ;   in Loop: Header=BB4_7295 Depth=2
	s_andn2_saveexec_b64 s[20:21], s[76:77]
	s_cbranch_execz .LBB4_7699
; %bb.7698:                             ;   in Loop: Header=BB4_7295 Depth=2
	v_or_b32_sdwa v0, v1, s39 dst_sel:DWORD dst_unused:UNUSED_PAD src0_sel:BYTE_3 src1_sel:DWORD
	buffer_store_dword v0, off, s[0:3], s33 offset:212 ; 4-byte Folded Spill
.LBB4_7699:                             ;   in Loop: Header=BB4_7295 Depth=2
	s_or_b64 exec, exec, s[20:21]
	v_lshrrev_b32_e32 v14, 16, v10
	v_cmp_ne_u16_sdwa s[76:77], v14, v15 src0_sel:BYTE_0 src1_sel:DWORD
	v_mov_b32_e32 v0, 0
	s_and_saveexec_b64 s[20:21], s[76:77]
	s_cbranch_execz .LBB4_7705
; %bb.7700:                             ;   in Loop: Header=BB4_7295 Depth=2
	v_cmp_ne_u16_sdwa s[78:79], v14, s48 src0_sel:BYTE_0 src1_sel:DWORD
	v_bfrev_b32_e32 v0, 1
	s_and_saveexec_b64 s[76:77], s[78:79]
	s_cbranch_execz .LBB4_7704
; %bb.7701:                             ;   in Loop: Header=BB4_7295 Depth=2
	v_bfe_u32 v1, v10, 16, 7
	v_cmp_ne_u32_e32 vcc, s39, v1
	v_mov_b32_e32 v0, 0x7f800001
	s_and_saveexec_b64 s[78:79], vcc
	s_cbranch_execz .LBB4_7703
; %bb.7702:                             ;   in Loop: Header=BB4_7295 Depth=2
	v_and_b32_e32 v2, 7, v14
	v_ffbh_u32_e32 v0, v2
	v_min_u32_e32 v4, 32, v0
	v_subrev_u32_e32 v0, 28, v4
	v_lshrrev_b32_e32 v3, 3, v1
	v_cmp_gt_u32_e32 vcc, 8, v1
	v_lshlrev_b64 v[0:1], v0, v[14:15]
	v_sub_u32_e32 v1, 29, v4
	v_and_b32_e32 v0, 7, v0
	v_cndmask_b32_e32 v1, v3, v1, vcc
	v_cndmask_b32_e32 v0, v2, v0, vcc
	v_lshlrev_b32_e32 v2, 24, v14
	v_bfrev_b32_e32 v3, 60
	v_lshlrev_b32_e32 v0, 20, v0
	v_and_b32_e32 v2, 0x80000000, v2
	v_lshl_add_u32 v1, v1, 23, v3
	v_or3_b32 v0, v2, v1, v0
.LBB4_7703:                             ;   in Loop: Header=BB4_7295 Depth=2
	s_or_b64 exec, exec, s[78:79]
.LBB4_7704:                             ;   in Loop: Header=BB4_7295 Depth=2
	s_or_b64 exec, exec, s[76:77]
.LBB4_7705:                             ;   in Loop: Header=BB4_7295 Depth=2
	s_or_b64 exec, exec, s[20:21]
	v_mul_f32_e32 v1, v61, v0
	v_and_b32_e32 v14, 0x7f800000, v1
	v_cmp_ne_u64_e32 vcc, s[46:47], v[14:15]
                                        ; implicit-def: $vgpr0
                                        ; kill: killed $vgpr0
	s_and_saveexec_b64 s[20:21], vcc
	s_xor_b64 s[76:77], exec, s[20:21]
	s_cbranch_execz .LBB4_7719
; %bb.7706:                             ;   in Loop: Header=BB4_7295 Depth=2
	v_and_b32_e32 v14, 0x7fffffff, v1
	v_cmp_gt_u64_e32 vcc, s[56:57], v[14:15]
	v_and_b32_sdwa v0, v1, s48 dst_sel:DWORD dst_unused:UNUSED_PAD src0_sel:BYTE_3 src1_sel:DWORD
                                        ; implicit-def: $vgpr2
                                        ; kill: killed $vgpr2
	s_and_saveexec_b64 s[20:21], vcc
	s_xor_b64 s[78:79], exec, s[20:21]
	s_cbranch_execz .LBB4_7716
; %bb.7707:                             ;   in Loop: Header=BB4_7295 Depth=2
	v_mov_b32_e32 v2, 0
	v_cmp_ne_u32_e32 vcc, 0, v1
	buffer_store_dword v2, off, s[0:3], s33 offset:216 ; 4-byte Folded Spill
	s_and_saveexec_b64 s[88:89], vcc
	s_cbranch_execz .LBB4_7715
; %bb.7708:                             ;   in Loop: Header=BB4_7295 Depth=2
	v_and_b32_e32 v3, 0x7fffff, v1
	v_bfe_u32 v1, v1, 23, 8
	v_cmp_gt_u32_e64 s[20:21], s49, v1
	v_sub_u32_e32 v2, 0x79, v1
	v_cmp_eq_u32_e32 vcc, 0, v1
	v_cndmask_b32_e64 v2, 0, v2, s[20:21]
	v_or_b32_e32 v4, 0x800000, v3
	v_cndmask_b32_e32 v2, v2, v47, vcc
	v_cndmask_b32_e32 v14, v4, v3, vcc
	v_add_u32_e32 v3, 20, v2
	v_lshlrev_b64 v[3:4], v3, -1
	v_add_u32_e32 v5, 19, v2
	v_lshlrev_b64 v[5:6], v5, 1
	v_lshrrev_b64 v[40:41], v2, v[14:15]
	v_bfi_b32 v4, v4, 0, 0
	v_bfi_b32 v3, v3, 0, v14
	v_cmp_eq_u64_e64 s[20:21], v[3:4], v[5:6]
	v_mov_b32_e32 v42, v41
	v_mov_b32_e32 v41, v40
	s_and_saveexec_b64 s[90:91], s[20:21]
; %bb.7709:                             ;   in Loop: Header=BB4_7295 Depth=2
	v_bfe_u32 v3, v40, 20, 1
	v_add_co_u32_e64 v3, s[20:21], v40, v3
	v_add_co_u32_e64 v41, s[20:21], -1, v3
; %bb.7710:                             ;   in Loop: Header=BB4_7295 Depth=2
	s_or_b64 exec, exec, s[90:91]
	v_add_u32_e32 v1, 0xffffff81, v1
	v_cndmask_b32_e32 v1, v1, v44, vcc
	v_lshrrev_b32_e32 v3, 23, v40
	v_add3_u32 v3, v2, v1, v3
	v_add_u32_e32 v2, 6, v3
	v_and_b32_e32 v1, 0xfffff, v41
	v_add_u32_e32 v14, v1, v40
	v_cmp_ne_u32_e32 vcc, 0, v2
                                        ; implicit-def: $vgpr40_vgpr41
                                        ; implicit-def: $vgpr1
	s_and_saveexec_b64 s[20:21], vcc
	s_xor_b64 s[20:21], exec, s[20:21]
; %bb.7711:                             ;   in Loop: Header=BB4_7295 Depth=2
	v_cmp_lt_u64_e32 vcc, s[58:59], v[14:15]
	v_add_u32_e32 v1, 7, v3
	v_cndmask_b32_e32 v1, v2, v1, vcc
	v_cndmask_b32_e64 v2, 0, 1, vcc
	v_lshrrev_b64 v[40:41], v2, v[14:15]
; %bb.7712:                             ;   in Loop: Header=BB4_7295 Depth=2
	s_andn2_saveexec_b64 s[20:21], s[20:21]
; %bb.7713:                             ;   in Loop: Header=BB4_7295 Depth=2
	v_mov_b32_e32 v41, v15
	v_bfe_u32 v1, v14, 23, 1
	v_mov_b32_e32 v40, v14
; %bb.7714:                             ;   in Loop: Header=BB4_7295 Depth=2
	s_or_b64 exec, exec, s[20:21]
	v_lshrrev_b64 v[2:3], 20, v[40:41]
	v_cmp_gt_i32_e32 vcc, 16, v1
	v_cndmask_b32_e32 v3, 0, v3, vcc
	v_cndmask_b32_e32 v2, 7, v2, vcc
	v_cmp_eq_u32_e32 vcc, 0, v1
	v_min_i32_e32 v1, 15, v1
	v_cmp_eq_u64_e64 s[20:21], 0, v[2:3]
	v_lshlrev_b32_e32 v1, 3, v1
	v_and_b32_e32 v1, 0xf8, v1
	v_and_or_b32 v1, v2, 7, v1
	s_and_b64 s[20:21], vcc, s[20:21]
	v_cndmask_b32_e64 v1, v1, 0, s[20:21]
	v_or_b32_e32 v0, v1, v0
	buffer_store_dword v0, off, s[0:3], s33 offset:216 ; 4-byte Folded Spill
.LBB4_7715:                             ;   in Loop: Header=BB4_7295 Depth=2
	s_or_b64 exec, exec, s[88:89]
                                        ; implicit-def: $vgpr0
.LBB4_7716:                             ;   in Loop: Header=BB4_7295 Depth=2
	s_andn2_saveexec_b64 s[20:21], s[78:79]
	s_cbranch_execz .LBB4_7718
; %bb.7717:                             ;   in Loop: Header=BB4_7295 Depth=2
	v_or_b32_e32 v0, 0x7e, v0
	buffer_store_dword v0, off, s[0:3], s33 offset:216 ; 4-byte Folded Spill
.LBB4_7718:                             ;   in Loop: Header=BB4_7295 Depth=2
	s_or_b64 exec, exec, s[20:21]
                                        ; implicit-def: $vgpr1
.LBB4_7719:                             ;   in Loop: Header=BB4_7295 Depth=2
	s_andn2_saveexec_b64 s[20:21], s[76:77]
	s_cbranch_execz .LBB4_7721
; %bb.7720:                             ;   in Loop: Header=BB4_7295 Depth=2
	v_or_b32_sdwa v0, v1, s39 dst_sel:DWORD dst_unused:UNUSED_PAD src0_sel:BYTE_3 src1_sel:DWORD
	buffer_store_dword v0, off, s[0:3], s33 offset:216 ; 4-byte Folded Spill
.LBB4_7721:                             ;   in Loop: Header=BB4_7295 Depth=2
	s_or_b64 exec, exec, s[20:21]
	v_cmp_lt_u32_e32 vcc, s61, v10
	v_mov_b32_e32 v0, 0
	s_and_saveexec_b64 s[20:21], vcc
	s_cbranch_execz .LBB4_7727
; %bb.7722:                             ;   in Loop: Header=BB4_7295 Depth=2
	v_lshrrev_b32_e32 v14, 24, v10
	v_cmp_ne_u32_e32 vcc, s48, v14
	v_bfrev_b32_e32 v0, 1
	s_and_saveexec_b64 s[76:77], vcc
	s_cbranch_execz .LBB4_7726
; %bb.7723:                             ;   in Loop: Header=BB4_7295 Depth=2
	v_bfe_u32 v1, v10, 24, 7
	v_cmp_ne_u32_e32 vcc, s39, v1
	v_mov_b32_e32 v0, 0x7f800001
	s_and_saveexec_b64 s[78:79], vcc
	s_cbranch_execz .LBB4_7725
; %bb.7724:                             ;   in Loop: Header=BB4_7295 Depth=2
	v_and_b32_e32 v2, 7, v14
	v_ffbh_u32_e32 v0, v2
	v_min_u32_e32 v4, 32, v0
	v_subrev_u32_e32 v0, 28, v4
	v_lshrrev_b32_e32 v3, 3, v1
	v_cmp_gt_u32_e32 vcc, 8, v1
	v_lshlrev_b64 v[0:1], v0, v[14:15]
	v_sub_u32_e32 v1, 29, v4
	v_and_b32_e32 v0, 7, v0
	v_cndmask_b32_e32 v1, v3, v1, vcc
	v_cndmask_b32_e32 v0, v2, v0, vcc
	v_lshlrev_b32_e32 v2, 24, v14
	v_bfrev_b32_e32 v3, 60
	v_lshlrev_b32_e32 v0, 20, v0
	v_and_b32_e32 v2, 0x80000000, v2
	v_lshl_add_u32 v1, v1, 23, v3
	v_or3_b32 v0, v2, v1, v0
.LBB4_7725:                             ;   in Loop: Header=BB4_7295 Depth=2
	s_or_b64 exec, exec, s[78:79]
.LBB4_7726:                             ;   in Loop: Header=BB4_7295 Depth=2
	s_or_b64 exec, exec, s[76:77]
.LBB4_7727:                             ;   in Loop: Header=BB4_7295 Depth=2
	s_or_b64 exec, exec, s[20:21]
	v_mul_f32_e32 v1, v61, v0
	v_and_b32_e32 v14, 0x7f800000, v1
	v_cmp_ne_u64_e32 vcc, s[46:47], v[14:15]
                                        ; implicit-def: $vgpr0
                                        ; kill: killed $vgpr0
	s_and_saveexec_b64 s[20:21], vcc
	s_xor_b64 s[76:77], exec, s[20:21]
	s_cbranch_execz .LBB4_7741
; %bb.7728:                             ;   in Loop: Header=BB4_7295 Depth=2
	v_and_b32_e32 v14, 0x7fffffff, v1
	v_cmp_gt_u64_e32 vcc, s[56:57], v[14:15]
	v_and_b32_sdwa v0, v1, s48 dst_sel:DWORD dst_unused:UNUSED_PAD src0_sel:BYTE_3 src1_sel:DWORD
                                        ; implicit-def: $vgpr2
                                        ; kill: killed $vgpr2
	s_and_saveexec_b64 s[20:21], vcc
	s_xor_b64 s[78:79], exec, s[20:21]
	s_cbranch_execz .LBB4_7738
; %bb.7729:                             ;   in Loop: Header=BB4_7295 Depth=2
	v_mov_b32_e32 v2, 0
	v_cmp_ne_u32_e32 vcc, 0, v1
	buffer_store_dword v2, off, s[0:3], s33 offset:220 ; 4-byte Folded Spill
	s_and_saveexec_b64 s[88:89], vcc
	s_cbranch_execz .LBB4_7737
; %bb.7730:                             ;   in Loop: Header=BB4_7295 Depth=2
	v_and_b32_e32 v3, 0x7fffff, v1
	v_bfe_u32 v1, v1, 23, 8
	v_cmp_gt_u32_e64 s[20:21], s49, v1
	v_sub_u32_e32 v2, 0x79, v1
	v_cmp_eq_u32_e32 vcc, 0, v1
	v_cndmask_b32_e64 v2, 0, v2, s[20:21]
	v_or_b32_e32 v4, 0x800000, v3
	v_cndmask_b32_e32 v2, v2, v47, vcc
	v_cndmask_b32_e32 v14, v4, v3, vcc
	v_add_u32_e32 v3, 20, v2
	v_lshlrev_b64 v[3:4], v3, -1
	v_add_u32_e32 v5, 19, v2
	v_lshlrev_b64 v[5:6], v5, 1
	v_lshrrev_b64 v[40:41], v2, v[14:15]
	v_bfi_b32 v4, v4, 0, 0
	v_bfi_b32 v3, v3, 0, v14
	v_cmp_eq_u64_e64 s[20:21], v[3:4], v[5:6]
	v_mov_b32_e32 v42, v41
	v_mov_b32_e32 v41, v40
	s_and_saveexec_b64 s[90:91], s[20:21]
; %bb.7731:                             ;   in Loop: Header=BB4_7295 Depth=2
	v_bfe_u32 v3, v40, 20, 1
	v_add_co_u32_e64 v3, s[20:21], v40, v3
	v_add_co_u32_e64 v41, s[20:21], -1, v3
; %bb.7732:                             ;   in Loop: Header=BB4_7295 Depth=2
	s_or_b64 exec, exec, s[90:91]
	v_add_u32_e32 v1, 0xffffff81, v1
	v_cndmask_b32_e32 v1, v1, v44, vcc
	v_lshrrev_b32_e32 v3, 23, v40
	v_add3_u32 v3, v2, v1, v3
	v_add_u32_e32 v2, 6, v3
	v_and_b32_e32 v1, 0xfffff, v41
	v_add_u32_e32 v14, v1, v40
	v_cmp_ne_u32_e32 vcc, 0, v2
                                        ; implicit-def: $vgpr40_vgpr41
                                        ; implicit-def: $vgpr1
	s_and_saveexec_b64 s[20:21], vcc
	s_xor_b64 s[20:21], exec, s[20:21]
; %bb.7733:                             ;   in Loop: Header=BB4_7295 Depth=2
	v_cmp_lt_u64_e32 vcc, s[58:59], v[14:15]
	v_add_u32_e32 v1, 7, v3
	v_cndmask_b32_e32 v1, v2, v1, vcc
	v_cndmask_b32_e64 v2, 0, 1, vcc
	v_lshrrev_b64 v[40:41], v2, v[14:15]
; %bb.7734:                             ;   in Loop: Header=BB4_7295 Depth=2
	s_andn2_saveexec_b64 s[20:21], s[20:21]
; %bb.7735:                             ;   in Loop: Header=BB4_7295 Depth=2
	v_mov_b32_e32 v41, v15
	v_bfe_u32 v1, v14, 23, 1
	v_mov_b32_e32 v40, v14
; %bb.7736:                             ;   in Loop: Header=BB4_7295 Depth=2
	s_or_b64 exec, exec, s[20:21]
	v_lshrrev_b64 v[2:3], 20, v[40:41]
	v_cmp_gt_i32_e32 vcc, 16, v1
	v_cndmask_b32_e32 v3, 0, v3, vcc
	v_cndmask_b32_e32 v2, 7, v2, vcc
	v_cmp_eq_u32_e32 vcc, 0, v1
	v_min_i32_e32 v1, 15, v1
	v_cmp_eq_u64_e64 s[20:21], 0, v[2:3]
	v_lshlrev_b32_e32 v1, 3, v1
	v_and_b32_e32 v1, 0xf8, v1
	v_and_or_b32 v1, v2, 7, v1
	s_and_b64 s[20:21], vcc, s[20:21]
	v_cndmask_b32_e64 v1, v1, 0, s[20:21]
	v_or_b32_e32 v0, v1, v0
	buffer_store_dword v0, off, s[0:3], s33 offset:220 ; 4-byte Folded Spill
.LBB4_7737:                             ;   in Loop: Header=BB4_7295 Depth=2
	s_or_b64 exec, exec, s[88:89]
                                        ; implicit-def: $vgpr0
.LBB4_7738:                             ;   in Loop: Header=BB4_7295 Depth=2
	s_andn2_saveexec_b64 s[20:21], s[78:79]
	s_cbranch_execz .LBB4_7740
; %bb.7739:                             ;   in Loop: Header=BB4_7295 Depth=2
	v_or_b32_e32 v0, 0x7e, v0
	buffer_store_dword v0, off, s[0:3], s33 offset:220 ; 4-byte Folded Spill
.LBB4_7740:                             ;   in Loop: Header=BB4_7295 Depth=2
	s_or_b64 exec, exec, s[20:21]
                                        ; implicit-def: $vgpr1
.LBB4_7741:                             ;   in Loop: Header=BB4_7295 Depth=2
	s_andn2_saveexec_b64 s[20:21], s[76:77]
	s_cbranch_execz .LBB4_7743
; %bb.7742:                             ;   in Loop: Header=BB4_7295 Depth=2
	v_or_b32_sdwa v0, v1, s39 dst_sel:DWORD dst_unused:UNUSED_PAD src0_sel:BYTE_3 src1_sel:DWORD
	buffer_store_dword v0, off, s[0:3], s33 offset:220 ; 4-byte Folded Spill
.LBB4_7743:                             ;   in Loop: Header=BB4_7295 Depth=2
	s_or_b64 exec, exec, s[20:21]
	v_mov_b32_e32 v14, v11
	v_cmp_ne_u16_sdwa s[76:77], v11, v15 src0_sel:BYTE_0 src1_sel:DWORD
	v_mov_b32_e32 v0, 0
	s_and_saveexec_b64 s[20:21], s[76:77]
	s_cbranch_execz .LBB4_7749
; %bb.7744:                             ;   in Loop: Header=BB4_7295 Depth=2
	v_cmp_ne_u16_sdwa s[78:79], v11, s48 src0_sel:BYTE_0 src1_sel:DWORD
	v_bfrev_b32_e32 v0, 1
	s_and_saveexec_b64 s[76:77], s[78:79]
	s_cbranch_execz .LBB4_7748
; %bb.7745:                             ;   in Loop: Header=BB4_7295 Depth=2
	v_and_b32_e32 v1, 0x7f, v11
	v_cmp_ne_u32_e32 vcc, s39, v1
	v_mov_b32_e32 v0, 0x7f800001
	s_and_saveexec_b64 s[78:79], vcc
	s_cbranch_execz .LBB4_7747
; %bb.7746:                             ;   in Loop: Header=BB4_7295 Depth=2
	v_and_b32_e32 v0, 7, v11
	v_ffbh_u32_e32 v0, v0
	v_min_u32_e32 v0, 32, v0
	v_lshrrev_b32_e32 v2, 3, v1
	v_cmp_gt_u32_e32 vcc, 8, v1
	v_subrev_u32_e32 v1, 28, v0
	v_sub_u32_e32 v0, 29, v0
	v_cndmask_b32_e32 v2, v2, v0, vcc
	v_cndmask_b32_e32 v0, 0, v1, vcc
	v_lshlrev_b64 v[0:1], v0, v[14:15]
	v_lshlrev_b32_e32 v1, 24, v14
	v_lshlrev_b32_e32 v0, 20, v0
	v_bfrev_b32_e32 v3, 60
	v_and_b32_e32 v0, 0x700000, v0
	v_and_b32_e32 v1, 0x80000000, v1
	v_lshl_add_u32 v2, v2, 23, v3
	v_or3_b32 v0, v1, v2, v0
.LBB4_7747:                             ;   in Loop: Header=BB4_7295 Depth=2
	s_or_b64 exec, exec, s[78:79]
.LBB4_7748:                             ;   in Loop: Header=BB4_7295 Depth=2
	s_or_b64 exec, exec, s[76:77]
.LBB4_7749:                             ;   in Loop: Header=BB4_7295 Depth=2
	s_or_b64 exec, exec, s[20:21]
	v_mul_f32_e32 v1, v61, v0
	v_and_b32_e32 v2, 0x7f800000, v1
	v_mov_b32_e32 v3, v15
	v_cmp_ne_u64_e32 vcc, s[46:47], v[2:3]
                                        ; implicit-def: $vgpr0
                                        ; kill: killed $vgpr0
	s_and_saveexec_b64 s[20:21], vcc
	s_xor_b64 s[76:77], exec, s[20:21]
	s_cbranch_execz .LBB4_7763
; %bb.7750:                             ;   in Loop: Header=BB4_7295 Depth=2
	v_and_b32_e32 v2, 0x7fffffff, v1
	v_mov_b32_e32 v3, v15
	v_cmp_gt_u64_e32 vcc, s[56:57], v[2:3]
	v_and_b32_sdwa v0, v1, s48 dst_sel:DWORD dst_unused:UNUSED_PAD src0_sel:BYTE_3 src1_sel:DWORD
                                        ; implicit-def: $vgpr2
                                        ; kill: killed $vgpr2
	s_and_saveexec_b64 s[20:21], vcc
	s_xor_b64 s[78:79], exec, s[20:21]
	s_cbranch_execz .LBB4_7760
; %bb.7751:                             ;   in Loop: Header=BB4_7295 Depth=2
	v_mov_b32_e32 v2, 0
	v_cmp_ne_u32_e32 vcc, 0, v1
	buffer_store_dword v2, off, s[0:3], s33 offset:224 ; 4-byte Folded Spill
	s_and_saveexec_b64 s[88:89], vcc
	s_cbranch_execz .LBB4_7759
; %bb.7752:                             ;   in Loop: Header=BB4_7295 Depth=2
	v_and_b32_e32 v3, 0x7fffff, v1
	v_bfe_u32 v1, v1, 23, 8
	v_cmp_gt_u32_e64 s[20:21], s49, v1
	v_sub_u32_e32 v2, 0x79, v1
	v_cmp_eq_u32_e32 vcc, 0, v1
	v_cndmask_b32_e64 v2, 0, v2, s[20:21]
	v_cndmask_b32_e32 v2, v2, v47, vcc
	v_or_b32_e32 v4, 0x800000, v3
	v_add_u32_e32 v5, 20, v2
	v_cndmask_b32_e32 v3, v4, v3, vcc
	v_mov_b32_e32 v4, v15
	v_lshlrev_b64 v[5:6], v5, -1
	v_add_u32_e32 v7, 19, v2
	v_lshlrev_b64 v[7:8], v7, 1
	v_lshrrev_b64 v[40:41], v2, v[3:4]
	v_bfi_b32 v6, v6, 0, 0
	v_bfi_b32 v5, v5, 0, v3
	v_cmp_eq_u64_e64 s[20:21], v[5:6], v[7:8]
	v_mov_b32_e32 v42, v41
	v_mov_b32_e32 v41, v40
	s_and_saveexec_b64 s[90:91], s[20:21]
; %bb.7753:                             ;   in Loop: Header=BB4_7295 Depth=2
	v_bfe_u32 v3, v40, 20, 1
	v_add_co_u32_e64 v3, s[20:21], v40, v3
	v_add_co_u32_e64 v41, s[20:21], -1, v3
; %bb.7754:                             ;   in Loop: Header=BB4_7295 Depth=2
	s_or_b64 exec, exec, s[90:91]
	v_add_u32_e32 v1, 0xffffff81, v1
	v_cndmask_b32_e32 v1, v1, v44, vcc
	v_lshrrev_b32_e32 v3, 23, v40
	v_add3_u32 v3, v2, v1, v3
	v_add_u32_e32 v2, 6, v3
	v_and_b32_e32 v1, 0xfffff, v41
	v_add_u32_e32 v40, v1, v40
	v_mov_b32_e32 v41, v15
	v_cmp_ne_u32_e32 vcc, 0, v2
                                        ; implicit-def: $vgpr1
	s_and_saveexec_b64 s[20:21], vcc
	s_xor_b64 s[20:21], exec, s[20:21]
; %bb.7755:                             ;   in Loop: Header=BB4_7295 Depth=2
	v_cmp_lt_u64_e32 vcc, s[58:59], v[40:41]
	v_add_u32_e32 v1, 7, v3
	v_cndmask_b32_e32 v1, v2, v1, vcc
	v_cndmask_b32_e64 v2, 0, 1, vcc
	v_lshrrev_b64 v[40:41], v2, v[40:41]
; %bb.7756:                             ;   in Loop: Header=BB4_7295 Depth=2
	s_andn2_saveexec_b64 s[20:21], s[20:21]
; %bb.7757:                             ;   in Loop: Header=BB4_7295 Depth=2
	v_bfe_u32 v1, v40, 23, 1
; %bb.7758:                             ;   in Loop: Header=BB4_7295 Depth=2
	s_or_b64 exec, exec, s[20:21]
	v_lshrrev_b64 v[2:3], 20, v[40:41]
	v_cmp_gt_i32_e32 vcc, 16, v1
	v_cndmask_b32_e32 v3, 0, v3, vcc
	v_cndmask_b32_e32 v2, 7, v2, vcc
	v_cmp_eq_u32_e32 vcc, 0, v1
	v_min_i32_e32 v1, 15, v1
	v_cmp_eq_u64_e64 s[20:21], 0, v[2:3]
	v_lshlrev_b32_e32 v1, 3, v1
	v_and_b32_e32 v1, 0xf8, v1
	v_and_or_b32 v1, v2, 7, v1
	s_and_b64 s[20:21], vcc, s[20:21]
	v_cndmask_b32_e64 v1, v1, 0, s[20:21]
	v_or_b32_e32 v0, v1, v0
	buffer_store_dword v0, off, s[0:3], s33 offset:224 ; 4-byte Folded Spill
.LBB4_7759:                             ;   in Loop: Header=BB4_7295 Depth=2
	s_or_b64 exec, exec, s[88:89]
                                        ; implicit-def: $vgpr0
.LBB4_7760:                             ;   in Loop: Header=BB4_7295 Depth=2
	s_andn2_saveexec_b64 s[20:21], s[78:79]
	s_cbranch_execz .LBB4_7762
; %bb.7761:                             ;   in Loop: Header=BB4_7295 Depth=2
	v_or_b32_e32 v0, 0x7e, v0
	buffer_store_dword v0, off, s[0:3], s33 offset:224 ; 4-byte Folded Spill
.LBB4_7762:                             ;   in Loop: Header=BB4_7295 Depth=2
	s_or_b64 exec, exec, s[20:21]
                                        ; implicit-def: $vgpr1
.LBB4_7763:                             ;   in Loop: Header=BB4_7295 Depth=2
	s_andn2_saveexec_b64 s[20:21], s[76:77]
	s_cbranch_execz .LBB4_7765
; %bb.7764:                             ;   in Loop: Header=BB4_7295 Depth=2
	v_or_b32_sdwa v0, v1, s39 dst_sel:DWORD dst_unused:UNUSED_PAD src0_sel:BYTE_3 src1_sel:DWORD
	buffer_store_dword v0, off, s[0:3], s33 offset:224 ; 4-byte Folded Spill
.LBB4_7765:                             ;   in Loop: Header=BB4_7295 Depth=2
	s_or_b64 exec, exec, s[20:21]
	v_lshrrev_b16_e32 v30, 8, v14
	v_cmp_ne_u16_e32 vcc, 0, v30
	v_mov_b32_e32 v0, 0
	s_and_saveexec_b64 s[20:21], vcc
	s_cbranch_execz .LBB4_7771
; %bb.7766:                             ;   in Loop: Header=BB4_7295 Depth=2
	v_cmp_ne_u16_e32 vcc, s48, v30
	v_bfrev_b32_e32 v0, 1
	s_and_saveexec_b64 s[76:77], vcc
	s_cbranch_execz .LBB4_7770
; %bb.7767:                             ;   in Loop: Header=BB4_7295 Depth=2
	v_and_b32_e32 v1, 0x7f, v30
	v_cmp_ne_u32_e32 vcc, s39, v1
	v_mov_b32_e32 v0, 0x7f800001
	s_and_saveexec_b64 s[78:79], vcc
	s_cbranch_execz .LBB4_7769
; %bb.7768:                             ;   in Loop: Header=BB4_7295 Depth=2
	v_and_b32_e32 v2, 7, v30
	v_ffbh_u32_e32 v0, v2
	v_min_u32_e32 v4, 32, v0
	v_subrev_u32_e32 v0, 28, v4
	v_lshrrev_b32_e32 v3, 3, v1
	v_cmp_gt_u32_e32 vcc, 8, v1
	v_lshlrev_b64 v[0:1], v0, v[30:31]
	v_sub_u32_e32 v1, 29, v4
	v_and_b32_e32 v0, 7, v0
	v_cndmask_b32_e32 v1, v3, v1, vcc
	v_cndmask_b32_e32 v0, v2, v0, vcc
	v_lshlrev_b32_e32 v2, 16, v14
	v_bfrev_b32_e32 v3, 60
	v_lshlrev_b32_e32 v0, 20, v0
	v_and_b32_e32 v2, 0x80000000, v2
	v_lshl_add_u32 v1, v1, 23, v3
	v_or3_b32 v0, v2, v1, v0
.LBB4_7769:                             ;   in Loop: Header=BB4_7295 Depth=2
	s_or_b64 exec, exec, s[78:79]
.LBB4_7770:                             ;   in Loop: Header=BB4_7295 Depth=2
	s_or_b64 exec, exec, s[76:77]
.LBB4_7771:                             ;   in Loop: Header=BB4_7295 Depth=2
	s_or_b64 exec, exec, s[20:21]
	v_mul_f32_e32 v1, v61, v0
	v_and_b32_e32 v14, 0x7f800000, v1
	v_cmp_ne_u64_e32 vcc, s[46:47], v[14:15]
                                        ; implicit-def: $vgpr0
                                        ; kill: killed $vgpr0
	s_and_saveexec_b64 s[20:21], vcc
	s_xor_b64 s[76:77], exec, s[20:21]
	s_cbranch_execz .LBB4_7785
; %bb.7772:                             ;   in Loop: Header=BB4_7295 Depth=2
	v_and_b32_e32 v14, 0x7fffffff, v1
	v_cmp_gt_u64_e32 vcc, s[56:57], v[14:15]
	v_and_b32_sdwa v0, v1, s48 dst_sel:DWORD dst_unused:UNUSED_PAD src0_sel:BYTE_3 src1_sel:DWORD
                                        ; implicit-def: $vgpr2
                                        ; kill: killed $vgpr2
	s_and_saveexec_b64 s[20:21], vcc
	s_xor_b64 s[78:79], exec, s[20:21]
	s_cbranch_execz .LBB4_7782
; %bb.7773:                             ;   in Loop: Header=BB4_7295 Depth=2
	v_mov_b32_e32 v2, 0
	v_cmp_ne_u32_e32 vcc, 0, v1
	buffer_store_dword v2, off, s[0:3], s33 offset:228 ; 4-byte Folded Spill
	s_and_saveexec_b64 s[88:89], vcc
	s_cbranch_execz .LBB4_7781
; %bb.7774:                             ;   in Loop: Header=BB4_7295 Depth=2
	v_and_b32_e32 v3, 0x7fffff, v1
	v_bfe_u32 v1, v1, 23, 8
	v_cmp_gt_u32_e64 s[20:21], s49, v1
	v_sub_u32_e32 v2, 0x79, v1
	v_cmp_eq_u32_e32 vcc, 0, v1
	v_cndmask_b32_e64 v2, 0, v2, s[20:21]
	v_or_b32_e32 v4, 0x800000, v3
	v_cndmask_b32_e32 v2, v2, v47, vcc
	v_cndmask_b32_e32 v14, v4, v3, vcc
	v_add_u32_e32 v3, 20, v2
	v_lshlrev_b64 v[3:4], v3, -1
	v_add_u32_e32 v5, 19, v2
	v_lshlrev_b64 v[5:6], v5, 1
	v_lshrrev_b64 v[40:41], v2, v[14:15]
	v_bfi_b32 v4, v4, 0, 0
	v_bfi_b32 v3, v3, 0, v14
	v_cmp_eq_u64_e64 s[20:21], v[3:4], v[5:6]
	v_mov_b32_e32 v42, v41
	v_mov_b32_e32 v41, v40
	s_and_saveexec_b64 s[90:91], s[20:21]
; %bb.7775:                             ;   in Loop: Header=BB4_7295 Depth=2
	v_bfe_u32 v3, v40, 20, 1
	v_add_co_u32_e64 v3, s[20:21], v40, v3
	v_add_co_u32_e64 v41, s[20:21], -1, v3
; %bb.7776:                             ;   in Loop: Header=BB4_7295 Depth=2
	s_or_b64 exec, exec, s[90:91]
	v_add_u32_e32 v1, 0xffffff81, v1
	v_cndmask_b32_e32 v1, v1, v44, vcc
	v_lshrrev_b32_e32 v3, 23, v40
	v_add3_u32 v3, v2, v1, v3
	v_add_u32_e32 v2, 6, v3
	v_and_b32_e32 v1, 0xfffff, v41
	v_add_u32_e32 v14, v1, v40
	v_cmp_ne_u32_e32 vcc, 0, v2
                                        ; implicit-def: $vgpr40_vgpr41
                                        ; implicit-def: $vgpr1
	s_and_saveexec_b64 s[20:21], vcc
	s_xor_b64 s[20:21], exec, s[20:21]
; %bb.7777:                             ;   in Loop: Header=BB4_7295 Depth=2
	v_cmp_lt_u64_e32 vcc, s[58:59], v[14:15]
	v_add_u32_e32 v1, 7, v3
	v_cndmask_b32_e32 v1, v2, v1, vcc
	v_cndmask_b32_e64 v2, 0, 1, vcc
	v_lshrrev_b64 v[40:41], v2, v[14:15]
; %bb.7778:                             ;   in Loop: Header=BB4_7295 Depth=2
	s_andn2_saveexec_b64 s[20:21], s[20:21]
; %bb.7779:                             ;   in Loop: Header=BB4_7295 Depth=2
	v_mov_b32_e32 v41, v15
	v_bfe_u32 v1, v14, 23, 1
	v_mov_b32_e32 v40, v14
; %bb.7780:                             ;   in Loop: Header=BB4_7295 Depth=2
	s_or_b64 exec, exec, s[20:21]
	v_lshrrev_b64 v[2:3], 20, v[40:41]
	v_cmp_gt_i32_e32 vcc, 16, v1
	v_cndmask_b32_e32 v3, 0, v3, vcc
	v_cndmask_b32_e32 v2, 7, v2, vcc
	v_cmp_eq_u32_e32 vcc, 0, v1
	v_min_i32_e32 v1, 15, v1
	v_cmp_eq_u64_e64 s[20:21], 0, v[2:3]
	v_lshlrev_b32_e32 v1, 3, v1
	v_and_b32_e32 v1, 0xf8, v1
	v_and_or_b32 v1, v2, 7, v1
	s_and_b64 s[20:21], vcc, s[20:21]
	v_cndmask_b32_e64 v1, v1, 0, s[20:21]
	v_or_b32_e32 v0, v1, v0
	buffer_store_dword v0, off, s[0:3], s33 offset:228 ; 4-byte Folded Spill
.LBB4_7781:                             ;   in Loop: Header=BB4_7295 Depth=2
	s_or_b64 exec, exec, s[88:89]
                                        ; implicit-def: $vgpr0
.LBB4_7782:                             ;   in Loop: Header=BB4_7295 Depth=2
	s_andn2_saveexec_b64 s[20:21], s[78:79]
	s_cbranch_execz .LBB4_7784
; %bb.7783:                             ;   in Loop: Header=BB4_7295 Depth=2
	v_or_b32_e32 v0, 0x7e, v0
	buffer_store_dword v0, off, s[0:3], s33 offset:228 ; 4-byte Folded Spill
.LBB4_7784:                             ;   in Loop: Header=BB4_7295 Depth=2
	s_or_b64 exec, exec, s[20:21]
                                        ; implicit-def: $vgpr1
.LBB4_7785:                             ;   in Loop: Header=BB4_7295 Depth=2
	s_andn2_saveexec_b64 s[20:21], s[76:77]
	s_cbranch_execz .LBB4_7787
; %bb.7786:                             ;   in Loop: Header=BB4_7295 Depth=2
	v_or_b32_sdwa v0, v1, s39 dst_sel:DWORD dst_unused:UNUSED_PAD src0_sel:BYTE_3 src1_sel:DWORD
	buffer_store_dword v0, off, s[0:3], s33 offset:228 ; 4-byte Folded Spill
.LBB4_7787:                             ;   in Loop: Header=BB4_7295 Depth=2
	s_or_b64 exec, exec, s[20:21]
	v_lshrrev_b32_e32 v14, 16, v11
	v_cmp_ne_u16_sdwa s[76:77], v14, v15 src0_sel:BYTE_0 src1_sel:DWORD
	v_mov_b32_e32 v0, 0
	s_and_saveexec_b64 s[20:21], s[76:77]
	s_cbranch_execz .LBB4_7793
; %bb.7788:                             ;   in Loop: Header=BB4_7295 Depth=2
	v_cmp_ne_u16_sdwa s[78:79], v14, s48 src0_sel:BYTE_0 src1_sel:DWORD
	v_bfrev_b32_e32 v0, 1
	s_and_saveexec_b64 s[76:77], s[78:79]
	s_cbranch_execz .LBB4_7792
; %bb.7789:                             ;   in Loop: Header=BB4_7295 Depth=2
	v_bfe_u32 v1, v11, 16, 7
	v_cmp_ne_u32_e32 vcc, s39, v1
	v_mov_b32_e32 v0, 0x7f800001
	s_and_saveexec_b64 s[78:79], vcc
	s_cbranch_execz .LBB4_7791
; %bb.7790:                             ;   in Loop: Header=BB4_7295 Depth=2
	v_and_b32_e32 v2, 7, v14
	v_ffbh_u32_e32 v0, v2
	v_min_u32_e32 v4, 32, v0
	v_subrev_u32_e32 v0, 28, v4
	v_lshrrev_b32_e32 v3, 3, v1
	v_cmp_gt_u32_e32 vcc, 8, v1
	v_lshlrev_b64 v[0:1], v0, v[14:15]
	v_sub_u32_e32 v1, 29, v4
	v_and_b32_e32 v0, 7, v0
	v_cndmask_b32_e32 v1, v3, v1, vcc
	v_cndmask_b32_e32 v0, v2, v0, vcc
	v_lshlrev_b32_e32 v2, 24, v14
	v_bfrev_b32_e32 v3, 60
	v_lshlrev_b32_e32 v0, 20, v0
	v_and_b32_e32 v2, 0x80000000, v2
	v_lshl_add_u32 v1, v1, 23, v3
	v_or3_b32 v0, v2, v1, v0
.LBB4_7791:                             ;   in Loop: Header=BB4_7295 Depth=2
	s_or_b64 exec, exec, s[78:79]
.LBB4_7792:                             ;   in Loop: Header=BB4_7295 Depth=2
	s_or_b64 exec, exec, s[76:77]
.LBB4_7793:                             ;   in Loop: Header=BB4_7295 Depth=2
	s_or_b64 exec, exec, s[20:21]
	v_mul_f32_e32 v1, v61, v0
	v_and_b32_e32 v14, 0x7f800000, v1
	v_cmp_ne_u64_e32 vcc, s[46:47], v[14:15]
                                        ; implicit-def: $vgpr0
                                        ; kill: killed $vgpr0
	s_and_saveexec_b64 s[20:21], vcc
	s_xor_b64 s[76:77], exec, s[20:21]
	s_cbranch_execz .LBB4_7807
; %bb.7794:                             ;   in Loop: Header=BB4_7295 Depth=2
	v_and_b32_e32 v14, 0x7fffffff, v1
	v_cmp_gt_u64_e32 vcc, s[56:57], v[14:15]
	v_and_b32_sdwa v0, v1, s48 dst_sel:DWORD dst_unused:UNUSED_PAD src0_sel:BYTE_3 src1_sel:DWORD
                                        ; implicit-def: $vgpr2
                                        ; kill: killed $vgpr2
	s_and_saveexec_b64 s[20:21], vcc
	s_xor_b64 s[78:79], exec, s[20:21]
	s_cbranch_execz .LBB4_7804
; %bb.7795:                             ;   in Loop: Header=BB4_7295 Depth=2
	v_mov_b32_e32 v2, 0
	v_cmp_ne_u32_e32 vcc, 0, v1
	buffer_store_dword v2, off, s[0:3], s33 offset:232 ; 4-byte Folded Spill
	s_and_saveexec_b64 s[88:89], vcc
	s_cbranch_execz .LBB4_7803
; %bb.7796:                             ;   in Loop: Header=BB4_7295 Depth=2
	v_and_b32_e32 v3, 0x7fffff, v1
	v_bfe_u32 v1, v1, 23, 8
	v_cmp_gt_u32_e64 s[20:21], s49, v1
	v_sub_u32_e32 v2, 0x79, v1
	v_cmp_eq_u32_e32 vcc, 0, v1
	v_cndmask_b32_e64 v2, 0, v2, s[20:21]
	v_or_b32_e32 v4, 0x800000, v3
	v_cndmask_b32_e32 v2, v2, v47, vcc
	v_cndmask_b32_e32 v14, v4, v3, vcc
	v_add_u32_e32 v3, 20, v2
	v_lshlrev_b64 v[3:4], v3, -1
	v_add_u32_e32 v5, 19, v2
	v_lshlrev_b64 v[5:6], v5, 1
	v_lshrrev_b64 v[40:41], v2, v[14:15]
	v_bfi_b32 v4, v4, 0, 0
	v_bfi_b32 v3, v3, 0, v14
	v_cmp_eq_u64_e64 s[20:21], v[3:4], v[5:6]
	v_mov_b32_e32 v42, v41
	v_mov_b32_e32 v41, v40
	s_and_saveexec_b64 s[90:91], s[20:21]
; %bb.7797:                             ;   in Loop: Header=BB4_7295 Depth=2
	v_bfe_u32 v3, v40, 20, 1
	v_add_co_u32_e64 v3, s[20:21], v40, v3
	v_add_co_u32_e64 v41, s[20:21], -1, v3
; %bb.7798:                             ;   in Loop: Header=BB4_7295 Depth=2
	s_or_b64 exec, exec, s[90:91]
	v_add_u32_e32 v1, 0xffffff81, v1
	v_cndmask_b32_e32 v1, v1, v44, vcc
	v_lshrrev_b32_e32 v3, 23, v40
	v_add3_u32 v3, v2, v1, v3
	v_add_u32_e32 v2, 6, v3
	v_and_b32_e32 v1, 0xfffff, v41
	v_add_u32_e32 v14, v1, v40
	v_cmp_ne_u32_e32 vcc, 0, v2
                                        ; implicit-def: $vgpr40_vgpr41
                                        ; implicit-def: $vgpr1
	s_and_saveexec_b64 s[20:21], vcc
	s_xor_b64 s[20:21], exec, s[20:21]
; %bb.7799:                             ;   in Loop: Header=BB4_7295 Depth=2
	v_cmp_lt_u64_e32 vcc, s[58:59], v[14:15]
	v_add_u32_e32 v1, 7, v3
	v_cndmask_b32_e32 v1, v2, v1, vcc
	v_cndmask_b32_e64 v2, 0, 1, vcc
	v_lshrrev_b64 v[40:41], v2, v[14:15]
; %bb.7800:                             ;   in Loop: Header=BB4_7295 Depth=2
	s_andn2_saveexec_b64 s[20:21], s[20:21]
; %bb.7801:                             ;   in Loop: Header=BB4_7295 Depth=2
	v_mov_b32_e32 v41, v15
	v_bfe_u32 v1, v14, 23, 1
	v_mov_b32_e32 v40, v14
; %bb.7802:                             ;   in Loop: Header=BB4_7295 Depth=2
	s_or_b64 exec, exec, s[20:21]
	v_lshrrev_b64 v[2:3], 20, v[40:41]
	v_cmp_gt_i32_e32 vcc, 16, v1
	v_cndmask_b32_e32 v3, 0, v3, vcc
	v_cndmask_b32_e32 v2, 7, v2, vcc
	v_cmp_eq_u32_e32 vcc, 0, v1
	v_min_i32_e32 v1, 15, v1
	v_cmp_eq_u64_e64 s[20:21], 0, v[2:3]
	v_lshlrev_b32_e32 v1, 3, v1
	v_and_b32_e32 v1, 0xf8, v1
	v_and_or_b32 v1, v2, 7, v1
	s_and_b64 s[20:21], vcc, s[20:21]
	v_cndmask_b32_e64 v1, v1, 0, s[20:21]
	v_or_b32_e32 v0, v1, v0
	buffer_store_dword v0, off, s[0:3], s33 offset:232 ; 4-byte Folded Spill
.LBB4_7803:                             ;   in Loop: Header=BB4_7295 Depth=2
	s_or_b64 exec, exec, s[88:89]
                                        ; implicit-def: $vgpr0
.LBB4_7804:                             ;   in Loop: Header=BB4_7295 Depth=2
	s_andn2_saveexec_b64 s[20:21], s[78:79]
	s_cbranch_execz .LBB4_7806
; %bb.7805:                             ;   in Loop: Header=BB4_7295 Depth=2
	v_or_b32_e32 v0, 0x7e, v0
	buffer_store_dword v0, off, s[0:3], s33 offset:232 ; 4-byte Folded Spill
.LBB4_7806:                             ;   in Loop: Header=BB4_7295 Depth=2
	s_or_b64 exec, exec, s[20:21]
                                        ; implicit-def: $vgpr1
.LBB4_7807:                             ;   in Loop: Header=BB4_7295 Depth=2
	s_andn2_saveexec_b64 s[20:21], s[76:77]
	s_cbranch_execz .LBB4_7809
; %bb.7808:                             ;   in Loop: Header=BB4_7295 Depth=2
	v_or_b32_sdwa v0, v1, s39 dst_sel:DWORD dst_unused:UNUSED_PAD src0_sel:BYTE_3 src1_sel:DWORD
	buffer_store_dword v0, off, s[0:3], s33 offset:232 ; 4-byte Folded Spill
.LBB4_7809:                             ;   in Loop: Header=BB4_7295 Depth=2
	s_or_b64 exec, exec, s[20:21]
	v_cmp_lt_u64_e32 vcc, s[60:61], v[10:11]
	v_mov_b32_e32 v0, 0
	s_and_saveexec_b64 s[20:21], vcc
	s_cbranch_execz .LBB4_7815
; %bb.7810:                             ;   in Loop: Header=BB4_7295 Depth=2
	v_lshrrev_b32_e32 v10, 24, v11
	v_cmp_ne_u32_e32 vcc, s48, v10
	v_bfrev_b32_e32 v0, 1
	s_and_saveexec_b64 s[76:77], vcc
	s_cbranch_execz .LBB4_7814
; %bb.7811:                             ;   in Loop: Header=BB4_7295 Depth=2
	v_bfe_u32 v1, v11, 24, 7
	v_cmp_ne_u32_e32 vcc, s39, v1
	v_mov_b32_e32 v0, 0x7f800001
	s_and_saveexec_b64 s[78:79], vcc
	s_cbranch_execz .LBB4_7813
; %bb.7812:                             ;   in Loop: Header=BB4_7295 Depth=2
	v_and_b32_e32 v2, 7, v10
	v_ffbh_u32_e32 v0, v2
	v_min_u32_e32 v4, 32, v0
	v_subrev_u32_e32 v0, 28, v4
	v_lshrrev_b32_e32 v3, 3, v1
	v_cmp_gt_u32_e32 vcc, 8, v1
	v_lshlrev_b64 v[0:1], v0, v[10:11]
	v_sub_u32_e32 v1, 29, v4
	v_and_b32_e32 v0, 7, v0
	v_cndmask_b32_e32 v1, v3, v1, vcc
	v_cndmask_b32_e32 v0, v2, v0, vcc
	v_lshlrev_b32_e32 v2, 24, v10
	v_bfrev_b32_e32 v3, 60
	v_lshlrev_b32_e32 v0, 20, v0
	v_and_b32_e32 v2, 0x80000000, v2
	v_lshl_add_u32 v1, v1, 23, v3
	v_or3_b32 v0, v2, v1, v0
.LBB4_7813:                             ;   in Loop: Header=BB4_7295 Depth=2
	s_or_b64 exec, exec, s[78:79]
.LBB4_7814:                             ;   in Loop: Header=BB4_7295 Depth=2
	s_or_b64 exec, exec, s[76:77]
.LBB4_7815:                             ;   in Loop: Header=BB4_7295 Depth=2
	s_or_b64 exec, exec, s[20:21]
	v_mul_f32_e32 v1, v61, v0
	v_and_b32_e32 v14, 0x7f800000, v1
	v_cmp_ne_u64_e32 vcc, s[46:47], v[14:15]
                                        ; implicit-def: $vgpr0
                                        ; kill: killed $vgpr0
	s_and_saveexec_b64 s[20:21], vcc
	s_xor_b64 s[76:77], exec, s[20:21]
	s_cbranch_execz .LBB4_7829
; %bb.7816:                             ;   in Loop: Header=BB4_7295 Depth=2
	v_and_b32_e32 v14, 0x7fffffff, v1
	v_cmp_gt_u64_e32 vcc, s[56:57], v[14:15]
	v_and_b32_sdwa v0, v1, s48 dst_sel:DWORD dst_unused:UNUSED_PAD src0_sel:BYTE_3 src1_sel:DWORD
                                        ; implicit-def: $vgpr2
                                        ; kill: killed $vgpr2
	s_and_saveexec_b64 s[20:21], vcc
	s_xor_b64 s[78:79], exec, s[20:21]
	s_cbranch_execz .LBB4_7826
; %bb.7817:                             ;   in Loop: Header=BB4_7295 Depth=2
	v_mov_b32_e32 v2, 0
	v_cmp_ne_u32_e32 vcc, 0, v1
	buffer_store_dword v2, off, s[0:3], s33 offset:236 ; 4-byte Folded Spill
	s_and_saveexec_b64 s[88:89], vcc
	s_cbranch_execz .LBB4_7825
; %bb.7818:                             ;   in Loop: Header=BB4_7295 Depth=2
	v_and_b32_e32 v3, 0x7fffff, v1
	v_bfe_u32 v1, v1, 23, 8
	v_cmp_gt_u32_e64 s[20:21], s49, v1
	v_sub_u32_e32 v2, 0x79, v1
	v_cmp_eq_u32_e32 vcc, 0, v1
	v_cndmask_b32_e64 v2, 0, v2, s[20:21]
	v_or_b32_e32 v4, 0x800000, v3
	v_cndmask_b32_e32 v2, v2, v47, vcc
	v_cndmask_b32_e32 v14, v4, v3, vcc
	v_add_u32_e32 v3, 20, v2
	v_lshlrev_b64 v[3:4], v3, -1
	v_add_u32_e32 v5, 19, v2
	v_lshlrev_b64 v[5:6], v5, 1
	v_lshrrev_b64 v[10:11], v2, v[14:15]
	v_bfi_b32 v4, v4, 0, 0
	v_bfi_b32 v3, v3, 0, v14
	v_cmp_eq_u64_e64 s[20:21], v[3:4], v[5:6]
	v_mov_b32_e32 v41, v11
	v_mov_b32_e32 v40, v10
	s_and_saveexec_b64 s[90:91], s[20:21]
; %bb.7819:                             ;   in Loop: Header=BB4_7295 Depth=2
	v_bfe_u32 v3, v10, 20, 1
	v_add_co_u32_e64 v3, s[20:21], v10, v3
	v_add_co_u32_e64 v40, s[20:21], -1, v3
; %bb.7820:                             ;   in Loop: Header=BB4_7295 Depth=2
	s_or_b64 exec, exec, s[90:91]
	v_add_u32_e32 v1, 0xffffff81, v1
	v_cndmask_b32_e32 v1, v1, v44, vcc
	v_lshrrev_b32_e32 v3, 23, v10
	v_add3_u32 v3, v2, v1, v3
	v_add_u32_e32 v2, 6, v3
	v_and_b32_e32 v1, 0xfffff, v40
	v_add_u32_e32 v14, v1, v10
	v_cmp_ne_u32_e32 vcc, 0, v2
                                        ; implicit-def: $vgpr10_vgpr11
                                        ; implicit-def: $vgpr1
	s_and_saveexec_b64 s[20:21], vcc
	s_xor_b64 s[20:21], exec, s[20:21]
; %bb.7821:                             ;   in Loop: Header=BB4_7295 Depth=2
	v_cmp_lt_u64_e32 vcc, s[58:59], v[14:15]
	v_add_u32_e32 v1, 7, v3
	v_cndmask_b32_e32 v1, v2, v1, vcc
	v_cndmask_b32_e64 v2, 0, 1, vcc
	v_lshrrev_b64 v[10:11], v2, v[14:15]
; %bb.7822:                             ;   in Loop: Header=BB4_7295 Depth=2
	s_andn2_saveexec_b64 s[20:21], s[20:21]
; %bb.7823:                             ;   in Loop: Header=BB4_7295 Depth=2
	v_mov_b32_e32 v10, v14
	v_bfe_u32 v1, v14, 23, 1
	v_mov_b32_e32 v11, v15
; %bb.7824:                             ;   in Loop: Header=BB4_7295 Depth=2
	s_or_b64 exec, exec, s[20:21]
	v_lshrrev_b64 v[2:3], 20, v[10:11]
	v_cmp_gt_i32_e32 vcc, 16, v1
	v_cndmask_b32_e32 v3, 0, v3, vcc
	v_cndmask_b32_e32 v2, 7, v2, vcc
	v_cmp_eq_u32_e32 vcc, 0, v1
	v_min_i32_e32 v1, 15, v1
	v_cmp_eq_u64_e64 s[20:21], 0, v[2:3]
	v_lshlrev_b32_e32 v1, 3, v1
	v_and_b32_e32 v1, 0xf8, v1
	v_and_or_b32 v1, v2, 7, v1
	s_and_b64 s[20:21], vcc, s[20:21]
	v_cndmask_b32_e64 v1, v1, 0, s[20:21]
	v_or_b32_e32 v0, v1, v0
	buffer_store_dword v0, off, s[0:3], s33 offset:236 ; 4-byte Folded Spill
.LBB4_7825:                             ;   in Loop: Header=BB4_7295 Depth=2
	s_or_b64 exec, exec, s[88:89]
                                        ; implicit-def: $vgpr0
.LBB4_7826:                             ;   in Loop: Header=BB4_7295 Depth=2
	s_andn2_saveexec_b64 s[20:21], s[78:79]
	s_cbranch_execz .LBB4_7828
; %bb.7827:                             ;   in Loop: Header=BB4_7295 Depth=2
	v_or_b32_e32 v0, 0x7e, v0
	buffer_store_dword v0, off, s[0:3], s33 offset:236 ; 4-byte Folded Spill
.LBB4_7828:                             ;   in Loop: Header=BB4_7295 Depth=2
	s_or_b64 exec, exec, s[20:21]
                                        ; implicit-def: $vgpr1
.LBB4_7829:                             ;   in Loop: Header=BB4_7295 Depth=2
	s_andn2_saveexec_b64 s[20:21], s[76:77]
	s_cbranch_execz .LBB4_7831
; %bb.7830:                             ;   in Loop: Header=BB4_7295 Depth=2
	v_or_b32_sdwa v0, v1, s39 dst_sel:DWORD dst_unused:UNUSED_PAD src0_sel:BYTE_3 src1_sel:DWORD
	buffer_store_dword v0, off, s[0:3], s33 offset:236 ; 4-byte Folded Spill
.LBB4_7831:                             ;   in Loop: Header=BB4_7295 Depth=2
	s_or_b64 exec, exec, s[20:21]
	v_cmp_ne_u16_sdwa s[76:77], v12, v15 src0_sel:BYTE_0 src1_sel:DWORD
	v_mov_b32_e32 v0, 0
	s_and_saveexec_b64 s[20:21], s[76:77]
	s_cbranch_execz .LBB4_7837
; %bb.7832:                             ;   in Loop: Header=BB4_7295 Depth=2
	v_cmp_ne_u16_sdwa s[78:79], v12, s48 src0_sel:BYTE_0 src1_sel:DWORD
	v_bfrev_b32_e32 v0, 1
	s_and_saveexec_b64 s[76:77], s[78:79]
	s_cbranch_execz .LBB4_7836
; %bb.7833:                             ;   in Loop: Header=BB4_7295 Depth=2
	v_and_b32_e32 v1, 0x7f, v12
	v_cmp_ne_u32_e32 vcc, s39, v1
	v_mov_b32_e32 v0, 0x7f800001
	s_and_saveexec_b64 s[78:79], vcc
	s_cbranch_execz .LBB4_7835
; %bb.7834:                             ;   in Loop: Header=BB4_7295 Depth=2
	v_and_b32_e32 v0, 7, v12
	v_ffbh_u32_e32 v0, v0
	v_min_u32_e32 v0, 32, v0
	v_lshrrev_b32_e32 v2, 3, v1
	v_cmp_gt_u32_e32 vcc, 8, v1
	v_subrev_u32_e32 v1, 28, v0
	v_sub_u32_e32 v0, 29, v0
	v_cndmask_b32_e32 v2, v2, v0, vcc
	v_cndmask_b32_e32 v0, 0, v1, vcc
	v_lshlrev_b64 v[0:1], v0, v[12:13]
	v_lshlrev_b32_e32 v1, 24, v12
	v_lshlrev_b32_e32 v0, 20, v0
	v_bfrev_b32_e32 v3, 60
	v_and_b32_e32 v0, 0x700000, v0
	v_and_b32_e32 v1, 0x80000000, v1
	v_lshl_add_u32 v2, v2, 23, v3
	v_or3_b32 v0, v1, v2, v0
.LBB4_7835:                             ;   in Loop: Header=BB4_7295 Depth=2
	s_or_b64 exec, exec, s[78:79]
.LBB4_7836:                             ;   in Loop: Header=BB4_7295 Depth=2
	s_or_b64 exec, exec, s[76:77]
.LBB4_7837:                             ;   in Loop: Header=BB4_7295 Depth=2
	s_or_b64 exec, exec, s[20:21]
	v_mul_f32_e32 v1, v61, v0
	v_and_b32_e32 v14, 0x7f800000, v1
	v_cmp_ne_u64_e32 vcc, s[46:47], v[14:15]
                                        ; implicit-def: $vgpr0
                                        ; kill: killed $vgpr0
	s_and_saveexec_b64 s[20:21], vcc
	s_xor_b64 s[76:77], exec, s[20:21]
	s_cbranch_execz .LBB4_7851
; %bb.7838:                             ;   in Loop: Header=BB4_7295 Depth=2
	v_and_b32_e32 v14, 0x7fffffff, v1
	v_cmp_gt_u64_e32 vcc, s[56:57], v[14:15]
	v_and_b32_sdwa v0, v1, s48 dst_sel:DWORD dst_unused:UNUSED_PAD src0_sel:BYTE_3 src1_sel:DWORD
                                        ; implicit-def: $vgpr2
                                        ; kill: killed $vgpr2
	s_and_saveexec_b64 s[20:21], vcc
	s_xor_b64 s[78:79], exec, s[20:21]
	s_cbranch_execz .LBB4_7848
; %bb.7839:                             ;   in Loop: Header=BB4_7295 Depth=2
	v_mov_b32_e32 v2, 0
	v_cmp_ne_u32_e32 vcc, 0, v1
	buffer_store_dword v2, off, s[0:3], s33 offset:240 ; 4-byte Folded Spill
	s_and_saveexec_b64 s[88:89], vcc
	s_cbranch_execz .LBB4_7847
; %bb.7840:                             ;   in Loop: Header=BB4_7295 Depth=2
	v_and_b32_e32 v3, 0x7fffff, v1
	v_bfe_u32 v1, v1, 23, 8
	v_cmp_gt_u32_e64 s[20:21], s49, v1
	v_sub_u32_e32 v2, 0x79, v1
	v_cmp_eq_u32_e32 vcc, 0, v1
	v_cndmask_b32_e64 v2, 0, v2, s[20:21]
	v_or_b32_e32 v4, 0x800000, v3
	v_cndmask_b32_e32 v2, v2, v47, vcc
	v_cndmask_b32_e32 v14, v4, v3, vcc
	v_add_u32_e32 v3, 20, v2
	v_lshlrev_b64 v[3:4], v3, -1
	v_add_u32_e32 v5, 19, v2
	v_lshlrev_b64 v[5:6], v5, 1
	v_lshrrev_b64 v[10:11], v2, v[14:15]
	v_bfi_b32 v4, v4, 0, 0
	v_bfi_b32 v3, v3, 0, v14
	v_cmp_eq_u64_e64 s[20:21], v[3:4], v[5:6]
	v_mov_b32_e32 v41, v11
	v_mov_b32_e32 v40, v10
	s_and_saveexec_b64 s[90:91], s[20:21]
; %bb.7841:                             ;   in Loop: Header=BB4_7295 Depth=2
	v_bfe_u32 v3, v10, 20, 1
	v_add_co_u32_e64 v3, s[20:21], v10, v3
	v_add_co_u32_e64 v40, s[20:21], -1, v3
; %bb.7842:                             ;   in Loop: Header=BB4_7295 Depth=2
	s_or_b64 exec, exec, s[90:91]
	v_add_u32_e32 v1, 0xffffff81, v1
	v_cndmask_b32_e32 v1, v1, v44, vcc
	v_lshrrev_b32_e32 v3, 23, v10
	v_add3_u32 v3, v2, v1, v3
	v_add_u32_e32 v2, 6, v3
	v_and_b32_e32 v1, 0xfffff, v40
	v_add_u32_e32 v14, v1, v10
	v_cmp_ne_u32_e32 vcc, 0, v2
                                        ; implicit-def: $vgpr10_vgpr11
                                        ; implicit-def: $vgpr1
	s_and_saveexec_b64 s[20:21], vcc
	s_xor_b64 s[20:21], exec, s[20:21]
; %bb.7843:                             ;   in Loop: Header=BB4_7295 Depth=2
	v_cmp_lt_u64_e32 vcc, s[58:59], v[14:15]
	v_add_u32_e32 v1, 7, v3
	v_cndmask_b32_e32 v1, v2, v1, vcc
	v_cndmask_b32_e64 v2, 0, 1, vcc
	v_lshrrev_b64 v[10:11], v2, v[14:15]
; %bb.7844:                             ;   in Loop: Header=BB4_7295 Depth=2
	s_andn2_saveexec_b64 s[20:21], s[20:21]
; %bb.7845:                             ;   in Loop: Header=BB4_7295 Depth=2
	v_mov_b32_e32 v10, v14
	v_bfe_u32 v1, v14, 23, 1
	v_mov_b32_e32 v11, v15
; %bb.7846:                             ;   in Loop: Header=BB4_7295 Depth=2
	s_or_b64 exec, exec, s[20:21]
	v_lshrrev_b64 v[2:3], 20, v[10:11]
	v_cmp_gt_i32_e32 vcc, 16, v1
	v_cndmask_b32_e32 v3, 0, v3, vcc
	v_cndmask_b32_e32 v2, 7, v2, vcc
	v_cmp_eq_u32_e32 vcc, 0, v1
	v_min_i32_e32 v1, 15, v1
	v_cmp_eq_u64_e64 s[20:21], 0, v[2:3]
	v_lshlrev_b32_e32 v1, 3, v1
	v_and_b32_e32 v1, 0xf8, v1
	v_and_or_b32 v1, v2, 7, v1
	s_and_b64 s[20:21], vcc, s[20:21]
	v_cndmask_b32_e64 v1, v1, 0, s[20:21]
	v_or_b32_e32 v0, v1, v0
	buffer_store_dword v0, off, s[0:3], s33 offset:240 ; 4-byte Folded Spill
.LBB4_7847:                             ;   in Loop: Header=BB4_7295 Depth=2
	s_or_b64 exec, exec, s[88:89]
                                        ; implicit-def: $vgpr0
.LBB4_7848:                             ;   in Loop: Header=BB4_7295 Depth=2
	s_andn2_saveexec_b64 s[20:21], s[78:79]
	s_cbranch_execz .LBB4_7850
; %bb.7849:                             ;   in Loop: Header=BB4_7295 Depth=2
	v_or_b32_e32 v0, 0x7e, v0
	buffer_store_dword v0, off, s[0:3], s33 offset:240 ; 4-byte Folded Spill
.LBB4_7850:                             ;   in Loop: Header=BB4_7295 Depth=2
	s_or_b64 exec, exec, s[20:21]
                                        ; implicit-def: $vgpr1
.LBB4_7851:                             ;   in Loop: Header=BB4_7295 Depth=2
	s_andn2_saveexec_b64 s[20:21], s[76:77]
	s_cbranch_execz .LBB4_7853
; %bb.7852:                             ;   in Loop: Header=BB4_7295 Depth=2
	v_or_b32_sdwa v0, v1, s39 dst_sel:DWORD dst_unused:UNUSED_PAD src0_sel:BYTE_3 src1_sel:DWORD
	buffer_store_dword v0, off, s[0:3], s33 offset:240 ; 4-byte Folded Spill
.LBB4_7853:                             ;   in Loop: Header=BB4_7295 Depth=2
	s_or_b64 exec, exec, s[20:21]
	v_lshrrev_b16_e32 v10, 8, v12
	v_cmp_ne_u16_e32 vcc, 0, v10
	v_mov_b32_e32 v0, 0
	s_and_saveexec_b64 s[20:21], vcc
	s_cbranch_execz .LBB4_7859
; %bb.7854:                             ;   in Loop: Header=BB4_7295 Depth=2
	v_cmp_ne_u16_e32 vcc, s48, v10
	v_bfrev_b32_e32 v0, 1
	s_and_saveexec_b64 s[76:77], vcc
	s_cbranch_execz .LBB4_7858
; %bb.7855:                             ;   in Loop: Header=BB4_7295 Depth=2
	v_and_b32_e32 v1, 0x7f, v10
	v_cmp_ne_u32_e32 vcc, s39, v1
	v_mov_b32_e32 v0, 0x7f800001
	s_and_saveexec_b64 s[78:79], vcc
	s_cbranch_execz .LBB4_7857
; %bb.7856:                             ;   in Loop: Header=BB4_7295 Depth=2
	v_and_b32_e32 v2, 7, v10
	v_ffbh_u32_e32 v0, v2
	v_min_u32_e32 v4, 32, v0
	v_subrev_u32_e32 v0, 28, v4
	v_lshrrev_b32_e32 v3, 3, v1
	v_cmp_gt_u32_e32 vcc, 8, v1
	v_lshlrev_b64 v[0:1], v0, v[10:11]
	v_sub_u32_e32 v1, 29, v4
	v_and_b32_e32 v0, 7, v0
	v_cndmask_b32_e32 v1, v3, v1, vcc
	v_cndmask_b32_e32 v0, v2, v0, vcc
	v_lshlrev_b32_e32 v2, 16, v12
	v_bfrev_b32_e32 v3, 60
	v_lshlrev_b32_e32 v0, 20, v0
	v_and_b32_e32 v2, 0x80000000, v2
	v_lshl_add_u32 v1, v1, 23, v3
	v_or3_b32 v0, v2, v1, v0
.LBB4_7857:                             ;   in Loop: Header=BB4_7295 Depth=2
	s_or_b64 exec, exec, s[78:79]
.LBB4_7858:                             ;   in Loop: Header=BB4_7295 Depth=2
	s_or_b64 exec, exec, s[76:77]
.LBB4_7859:                             ;   in Loop: Header=BB4_7295 Depth=2
	s_or_b64 exec, exec, s[20:21]
	v_mul_f32_e32 v1, v61, v0
	v_and_b32_e32 v14, 0x7f800000, v1
	v_cmp_ne_u64_e32 vcc, s[46:47], v[14:15]
                                        ; implicit-def: $vgpr56
	s_and_saveexec_b64 s[20:21], vcc
	s_xor_b64 s[76:77], exec, s[20:21]
	s_cbranch_execz .LBB4_7873
; %bb.7860:                             ;   in Loop: Header=BB4_7295 Depth=2
	v_and_b32_e32 v14, 0x7fffffff, v1
	v_cmp_gt_u64_e32 vcc, s[56:57], v[14:15]
	v_and_b32_sdwa v0, v1, s48 dst_sel:DWORD dst_unused:UNUSED_PAD src0_sel:BYTE_3 src1_sel:DWORD
                                        ; implicit-def: $vgpr56
	s_and_saveexec_b64 s[20:21], vcc
	s_xor_b64 s[78:79], exec, s[20:21]
	s_cbranch_execz .LBB4_7870
; %bb.7861:                             ;   in Loop: Header=BB4_7295 Depth=2
	v_mov_b32_e32 v56, 0
	v_cmp_ne_u32_e32 vcc, 0, v1
	s_and_saveexec_b64 s[88:89], vcc
	s_cbranch_execz .LBB4_7869
; %bb.7862:                             ;   in Loop: Header=BB4_7295 Depth=2
	v_and_b32_e32 v3, 0x7fffff, v1
	v_bfe_u32 v1, v1, 23, 8
	v_cmp_gt_u32_e64 s[20:21], s49, v1
	v_sub_u32_e32 v2, 0x79, v1
	v_cmp_eq_u32_e32 vcc, 0, v1
	v_cndmask_b32_e64 v2, 0, v2, s[20:21]
	v_or_b32_e32 v4, 0x800000, v3
	v_cndmask_b32_e32 v2, v2, v47, vcc
	v_cndmask_b32_e32 v14, v4, v3, vcc
	v_add_u32_e32 v3, 20, v2
	v_lshlrev_b64 v[3:4], v3, -1
	v_add_u32_e32 v5, 19, v2
	v_lshlrev_b64 v[5:6], v5, 1
	v_lshrrev_b64 v[10:11], v2, v[14:15]
	v_bfi_b32 v4, v4, 0, 0
	v_bfi_b32 v3, v3, 0, v14
	v_cmp_eq_u64_e64 s[20:21], v[3:4], v[5:6]
	v_mov_b32_e32 v41, v11
	v_mov_b32_e32 v40, v10
	s_and_saveexec_b64 s[90:91], s[20:21]
; %bb.7863:                             ;   in Loop: Header=BB4_7295 Depth=2
	v_bfe_u32 v3, v10, 20, 1
	v_add_co_u32_e64 v3, s[20:21], v10, v3
	v_add_co_u32_e64 v40, s[20:21], -1, v3
; %bb.7864:                             ;   in Loop: Header=BB4_7295 Depth=2
	s_or_b64 exec, exec, s[90:91]
	v_add_u32_e32 v1, 0xffffff81, v1
	v_cndmask_b32_e32 v1, v1, v44, vcc
	v_lshrrev_b32_e32 v3, 23, v10
	v_add3_u32 v3, v2, v1, v3
	v_add_u32_e32 v2, 6, v3
	v_and_b32_e32 v1, 0xfffff, v40
	v_add_u32_e32 v14, v1, v10
	v_cmp_ne_u32_e32 vcc, 0, v2
                                        ; implicit-def: $vgpr10_vgpr11
                                        ; implicit-def: $vgpr1
	s_and_saveexec_b64 s[20:21], vcc
	s_xor_b64 s[20:21], exec, s[20:21]
; %bb.7865:                             ;   in Loop: Header=BB4_7295 Depth=2
	v_cmp_lt_u64_e32 vcc, s[58:59], v[14:15]
	v_add_u32_e32 v1, 7, v3
	v_cndmask_b32_e32 v1, v2, v1, vcc
	v_cndmask_b32_e64 v2, 0, 1, vcc
	v_lshrrev_b64 v[10:11], v2, v[14:15]
; %bb.7866:                             ;   in Loop: Header=BB4_7295 Depth=2
	s_andn2_saveexec_b64 s[20:21], s[20:21]
; %bb.7867:                             ;   in Loop: Header=BB4_7295 Depth=2
	v_mov_b32_e32 v10, v14
	v_bfe_u32 v1, v14, 23, 1
	v_mov_b32_e32 v11, v15
; %bb.7868:                             ;   in Loop: Header=BB4_7295 Depth=2
	s_or_b64 exec, exec, s[20:21]
	v_lshrrev_b64 v[2:3], 20, v[10:11]
	v_cmp_gt_i32_e32 vcc, 16, v1
	v_cndmask_b32_e32 v3, 0, v3, vcc
	v_cndmask_b32_e32 v2, 7, v2, vcc
	v_cmp_eq_u32_e32 vcc, 0, v1
	v_min_i32_e32 v1, 15, v1
	v_cmp_eq_u64_e64 s[20:21], 0, v[2:3]
	v_lshlrev_b32_e32 v1, 3, v1
	v_and_b32_e32 v1, 0xf8, v1
	v_and_or_b32 v1, v2, 7, v1
	s_and_b64 s[20:21], vcc, s[20:21]
	v_cndmask_b32_e64 v1, v1, 0, s[20:21]
	v_or_b32_e32 v56, v1, v0
.LBB4_7869:                             ;   in Loop: Header=BB4_7295 Depth=2
	s_or_b64 exec, exec, s[88:89]
                                        ; implicit-def: $vgpr0
.LBB4_7870:                             ;   in Loop: Header=BB4_7295 Depth=2
	s_andn2_saveexec_b64 s[20:21], s[78:79]
; %bb.7871:                             ;   in Loop: Header=BB4_7295 Depth=2
	v_or_b32_e32 v56, 0x7e, v0
; %bb.7872:                             ;   in Loop: Header=BB4_7295 Depth=2
	s_or_b64 exec, exec, s[20:21]
                                        ; implicit-def: $vgpr1
.LBB4_7873:                             ;   in Loop: Header=BB4_7295 Depth=2
	s_andn2_saveexec_b64 s[20:21], s[76:77]
; %bb.7874:                             ;   in Loop: Header=BB4_7295 Depth=2
	v_or_b32_sdwa v56, v1, s39 dst_sel:DWORD dst_unused:UNUSED_PAD src0_sel:BYTE_3 src1_sel:DWORD
; %bb.7875:                             ;   in Loop: Header=BB4_7295 Depth=2
	s_or_b64 exec, exec, s[20:21]
	v_lshrrev_b32_e32 v10, 16, v12
	v_cmp_ne_u16_sdwa s[76:77], v10, v15 src0_sel:BYTE_0 src1_sel:DWORD
	v_mov_b32_e32 v0, 0
	s_and_saveexec_b64 s[20:21], s[76:77]
	s_cbranch_execz .LBB4_7881
; %bb.7876:                             ;   in Loop: Header=BB4_7295 Depth=2
	v_cmp_ne_u16_sdwa s[78:79], v10, s48 src0_sel:BYTE_0 src1_sel:DWORD
	v_bfrev_b32_e32 v0, 1
	s_and_saveexec_b64 s[76:77], s[78:79]
	s_cbranch_execz .LBB4_7880
; %bb.7877:                             ;   in Loop: Header=BB4_7295 Depth=2
	v_bfe_u32 v1, v12, 16, 7
	v_cmp_ne_u32_e32 vcc, s39, v1
	v_mov_b32_e32 v0, 0x7f800001
	s_and_saveexec_b64 s[78:79], vcc
	s_cbranch_execz .LBB4_7879
; %bb.7878:                             ;   in Loop: Header=BB4_7295 Depth=2
	v_and_b32_e32 v2, 7, v10
	v_ffbh_u32_e32 v0, v2
	v_min_u32_e32 v4, 32, v0
	v_subrev_u32_e32 v0, 28, v4
	v_lshrrev_b32_e32 v3, 3, v1
	v_cmp_gt_u32_e32 vcc, 8, v1
	v_lshlrev_b64 v[0:1], v0, v[10:11]
	v_sub_u32_e32 v1, 29, v4
	v_and_b32_e32 v0, 7, v0
	v_cndmask_b32_e32 v1, v3, v1, vcc
	v_cndmask_b32_e32 v0, v2, v0, vcc
	v_lshlrev_b32_e32 v2, 24, v10
	v_bfrev_b32_e32 v3, 60
	v_lshlrev_b32_e32 v0, 20, v0
	v_and_b32_e32 v2, 0x80000000, v2
	v_lshl_add_u32 v1, v1, 23, v3
	v_or3_b32 v0, v2, v1, v0
.LBB4_7879:                             ;   in Loop: Header=BB4_7295 Depth=2
	s_or_b64 exec, exec, s[78:79]
.LBB4_7880:                             ;   in Loop: Header=BB4_7295 Depth=2
	s_or_b64 exec, exec, s[76:77]
.LBB4_7881:                             ;   in Loop: Header=BB4_7295 Depth=2
	s_or_b64 exec, exec, s[20:21]
	v_mul_f32_e32 v1, v61, v0
	v_and_b32_e32 v14, 0x7f800000, v1
	v_cmp_ne_u64_e32 vcc, s[46:47], v[14:15]
                                        ; implicit-def: $vgpr6
	s_and_saveexec_b64 s[20:21], vcc
	s_xor_b64 s[76:77], exec, s[20:21]
	s_cbranch_execz .LBB4_7895
; %bb.7882:                             ;   in Loop: Header=BB4_7295 Depth=2
	v_and_b32_e32 v14, 0x7fffffff, v1
	v_cmp_gt_u64_e32 vcc, s[56:57], v[14:15]
	v_and_b32_sdwa v0, v1, s48 dst_sel:DWORD dst_unused:UNUSED_PAD src0_sel:BYTE_3 src1_sel:DWORD
                                        ; implicit-def: $vgpr6
	s_and_saveexec_b64 s[20:21], vcc
	s_xor_b64 s[78:79], exec, s[20:21]
	s_cbranch_execz .LBB4_7892
; %bb.7883:                             ;   in Loop: Header=BB4_7295 Depth=2
	v_mov_b32_e32 v6, 0
	v_cmp_ne_u32_e32 vcc, 0, v1
	s_and_saveexec_b64 s[88:89], vcc
	s_cbranch_execz .LBB4_7891
; %bb.7884:                             ;   in Loop: Header=BB4_7295 Depth=2
	v_and_b32_e32 v3, 0x7fffff, v1
	v_bfe_u32 v1, v1, 23, 8
	v_cmp_gt_u32_e64 s[20:21], s49, v1
	v_sub_u32_e32 v2, 0x79, v1
	v_cmp_eq_u32_e32 vcc, 0, v1
	v_cndmask_b32_e64 v2, 0, v2, s[20:21]
	v_or_b32_e32 v4, 0x800000, v3
	v_cndmask_b32_e32 v2, v2, v47, vcc
	v_cndmask_b32_e32 v14, v4, v3, vcc
	v_add_u32_e32 v3, 20, v2
	v_lshlrev_b64 v[3:4], v3, -1
	v_add_u32_e32 v5, 19, v2
	v_lshlrev_b64 v[5:6], v5, 1
	v_lshrrev_b64 v[10:11], v2, v[14:15]
	v_bfi_b32 v4, v4, 0, 0
	v_bfi_b32 v3, v3, 0, v14
	v_cmp_eq_u64_e64 s[20:21], v[3:4], v[5:6]
	v_mov_b32_e32 v41, v11
	v_mov_b32_e32 v40, v10
	s_and_saveexec_b64 s[90:91], s[20:21]
; %bb.7885:                             ;   in Loop: Header=BB4_7295 Depth=2
	v_bfe_u32 v3, v10, 20, 1
	v_add_co_u32_e64 v3, s[20:21], v10, v3
	v_add_co_u32_e64 v40, s[20:21], -1, v3
; %bb.7886:                             ;   in Loop: Header=BB4_7295 Depth=2
	s_or_b64 exec, exec, s[90:91]
	v_add_u32_e32 v1, 0xffffff81, v1
	v_cndmask_b32_e32 v1, v1, v44, vcc
	v_lshrrev_b32_e32 v3, 23, v10
	v_add3_u32 v3, v2, v1, v3
	v_add_u32_e32 v2, 6, v3
	v_and_b32_e32 v1, 0xfffff, v40
	v_add_u32_e32 v14, v1, v10
	v_cmp_ne_u32_e32 vcc, 0, v2
                                        ; implicit-def: $vgpr10_vgpr11
                                        ; implicit-def: $vgpr1
	s_and_saveexec_b64 s[20:21], vcc
	s_xor_b64 s[20:21], exec, s[20:21]
; %bb.7887:                             ;   in Loop: Header=BB4_7295 Depth=2
	v_cmp_lt_u64_e32 vcc, s[58:59], v[14:15]
	v_add_u32_e32 v1, 7, v3
	v_cndmask_b32_e32 v1, v2, v1, vcc
	v_cndmask_b32_e64 v2, 0, 1, vcc
	v_lshrrev_b64 v[10:11], v2, v[14:15]
; %bb.7888:                             ;   in Loop: Header=BB4_7295 Depth=2
	s_andn2_saveexec_b64 s[20:21], s[20:21]
; %bb.7889:                             ;   in Loop: Header=BB4_7295 Depth=2
	v_mov_b32_e32 v10, v14
	v_bfe_u32 v1, v14, 23, 1
	v_mov_b32_e32 v11, v15
; %bb.7890:                             ;   in Loop: Header=BB4_7295 Depth=2
	s_or_b64 exec, exec, s[20:21]
	v_lshrrev_b64 v[2:3], 20, v[10:11]
	v_cmp_gt_i32_e32 vcc, 16, v1
	v_cndmask_b32_e32 v3, 0, v3, vcc
	v_cndmask_b32_e32 v2, 7, v2, vcc
	v_cmp_eq_u32_e32 vcc, 0, v1
	v_min_i32_e32 v1, 15, v1
	v_cmp_eq_u64_e64 s[20:21], 0, v[2:3]
	v_lshlrev_b32_e32 v1, 3, v1
	v_and_b32_e32 v1, 0xf8, v1
	v_and_or_b32 v1, v2, 7, v1
	s_and_b64 s[20:21], vcc, s[20:21]
	v_cndmask_b32_e64 v1, v1, 0, s[20:21]
	v_or_b32_e32 v6, v1, v0
.LBB4_7891:                             ;   in Loop: Header=BB4_7295 Depth=2
	s_or_b64 exec, exec, s[88:89]
                                        ; implicit-def: $vgpr0
.LBB4_7892:                             ;   in Loop: Header=BB4_7295 Depth=2
	s_andn2_saveexec_b64 s[20:21], s[78:79]
; %bb.7893:                             ;   in Loop: Header=BB4_7295 Depth=2
	v_or_b32_e32 v6, 0x7e, v0
; %bb.7894:                             ;   in Loop: Header=BB4_7295 Depth=2
	s_or_b64 exec, exec, s[20:21]
                                        ; implicit-def: $vgpr1
.LBB4_7895:                             ;   in Loop: Header=BB4_7295 Depth=2
	s_andn2_saveexec_b64 s[20:21], s[76:77]
; %bb.7896:                             ;   in Loop: Header=BB4_7295 Depth=2
	v_or_b32_sdwa v6, v1, s39 dst_sel:DWORD dst_unused:UNUSED_PAD src0_sel:BYTE_3 src1_sel:DWORD
; %bb.7897:                             ;   in Loop: Header=BB4_7295 Depth=2
	s_or_b64 exec, exec, s[20:21]
	v_cmp_lt_u32_e32 vcc, s61, v12
	v_mov_b32_e32 v0, 0
	s_and_saveexec_b64 s[20:21], vcc
	s_cbranch_execz .LBB4_7903
; %bb.7898:                             ;   in Loop: Header=BB4_7295 Depth=2
	v_lshrrev_b32_e32 v10, 24, v12
	v_cmp_ne_u32_e32 vcc, s48, v10
	v_bfrev_b32_e32 v0, 1
	s_and_saveexec_b64 s[76:77], vcc
	s_cbranch_execz .LBB4_7902
; %bb.7899:                             ;   in Loop: Header=BB4_7295 Depth=2
	v_bfe_u32 v1, v12, 24, 7
	v_cmp_ne_u32_e32 vcc, s39, v1
	v_mov_b32_e32 v0, 0x7f800001
	s_and_saveexec_b64 s[78:79], vcc
	s_cbranch_execz .LBB4_7901
; %bb.7900:                             ;   in Loop: Header=BB4_7295 Depth=2
	v_and_b32_e32 v2, 7, v10
	v_ffbh_u32_e32 v0, v2
	v_min_u32_e32 v4, 32, v0
	v_subrev_u32_e32 v0, 28, v4
	v_lshrrev_b32_e32 v3, 3, v1
	v_cmp_gt_u32_e32 vcc, 8, v1
	v_lshlrev_b64 v[0:1], v0, v[10:11]
	v_sub_u32_e32 v1, 29, v4
	v_and_b32_e32 v0, 7, v0
	v_cndmask_b32_e32 v1, v3, v1, vcc
	v_cndmask_b32_e32 v0, v2, v0, vcc
	v_lshlrev_b32_e32 v2, 24, v10
	v_bfrev_b32_e32 v3, 60
	v_lshlrev_b32_e32 v0, 20, v0
	v_and_b32_e32 v2, 0x80000000, v2
	v_lshl_add_u32 v1, v1, 23, v3
	v_or3_b32 v0, v2, v1, v0
.LBB4_7901:                             ;   in Loop: Header=BB4_7295 Depth=2
	s_or_b64 exec, exec, s[78:79]
.LBB4_7902:                             ;   in Loop: Header=BB4_7295 Depth=2
	s_or_b64 exec, exec, s[76:77]
.LBB4_7903:                             ;   in Loop: Header=BB4_7295 Depth=2
	s_or_b64 exec, exec, s[20:21]
	v_mul_f32_e32 v1, v61, v0
	v_and_b32_e32 v14, 0x7f800000, v1
	v_cmp_ne_u64_e32 vcc, s[46:47], v[14:15]
                                        ; implicit-def: $vgpr7
	s_and_saveexec_b64 s[20:21], vcc
	s_xor_b64 s[76:77], exec, s[20:21]
	s_cbranch_execz .LBB4_7917
; %bb.7904:                             ;   in Loop: Header=BB4_7295 Depth=2
	v_and_b32_e32 v14, 0x7fffffff, v1
	v_cmp_gt_u64_e32 vcc, s[56:57], v[14:15]
	v_and_b32_sdwa v0, v1, s48 dst_sel:DWORD dst_unused:UNUSED_PAD src0_sel:BYTE_3 src1_sel:DWORD
                                        ; implicit-def: $vgpr7
	s_and_saveexec_b64 s[20:21], vcc
	s_xor_b64 s[78:79], exec, s[20:21]
	s_cbranch_execz .LBB4_7914
; %bb.7905:                             ;   in Loop: Header=BB4_7295 Depth=2
	v_mov_b32_e32 v7, 0
	v_cmp_ne_u32_e32 vcc, 0, v1
	s_and_saveexec_b64 s[88:89], vcc
	s_cbranch_execz .LBB4_7913
; %bb.7906:                             ;   in Loop: Header=BB4_7295 Depth=2
	v_and_b32_e32 v3, 0x7fffff, v1
	v_bfe_u32 v1, v1, 23, 8
	v_cmp_gt_u32_e64 s[20:21], s49, v1
	v_sub_u32_e32 v2, 0x79, v1
	v_cmp_eq_u32_e32 vcc, 0, v1
	v_cndmask_b32_e64 v2, 0, v2, s[20:21]
	v_or_b32_e32 v4, 0x800000, v3
	v_cndmask_b32_e32 v2, v2, v47, vcc
	v_cndmask_b32_e32 v14, v4, v3, vcc
	v_add_u32_e32 v3, 20, v2
	v_lshlrev_b64 v[3:4], v3, -1
	v_add_u32_e32 v5, 19, v2
	v_lshlrev_b64 v[7:8], v5, 1
	v_lshrrev_b64 v[10:11], v2, v[14:15]
	v_bfi_b32 v4, v4, 0, 0
	v_bfi_b32 v3, v3, 0, v14
	v_cmp_eq_u64_e64 s[20:21], v[3:4], v[7:8]
	v_mov_b32_e32 v41, v11
	v_mov_b32_e32 v40, v10
	s_and_saveexec_b64 s[90:91], s[20:21]
; %bb.7907:                             ;   in Loop: Header=BB4_7295 Depth=2
	v_bfe_u32 v3, v10, 20, 1
	v_add_co_u32_e64 v3, s[20:21], v10, v3
	v_add_co_u32_e64 v40, s[20:21], -1, v3
; %bb.7908:                             ;   in Loop: Header=BB4_7295 Depth=2
	s_or_b64 exec, exec, s[90:91]
	v_add_u32_e32 v1, 0xffffff81, v1
	v_cndmask_b32_e32 v1, v1, v44, vcc
	v_lshrrev_b32_e32 v3, 23, v10
	v_add3_u32 v3, v2, v1, v3
	v_add_u32_e32 v2, 6, v3
	v_and_b32_e32 v1, 0xfffff, v40
	v_add_u32_e32 v14, v1, v10
	v_cmp_ne_u32_e32 vcc, 0, v2
                                        ; implicit-def: $vgpr10_vgpr11
                                        ; implicit-def: $vgpr1
	s_and_saveexec_b64 s[20:21], vcc
	s_xor_b64 s[20:21], exec, s[20:21]
; %bb.7909:                             ;   in Loop: Header=BB4_7295 Depth=2
	v_cmp_lt_u64_e32 vcc, s[58:59], v[14:15]
	v_add_u32_e32 v1, 7, v3
	v_cndmask_b32_e32 v1, v2, v1, vcc
	v_cndmask_b32_e64 v2, 0, 1, vcc
	v_lshrrev_b64 v[10:11], v2, v[14:15]
; %bb.7910:                             ;   in Loop: Header=BB4_7295 Depth=2
	s_andn2_saveexec_b64 s[20:21], s[20:21]
; %bb.7911:                             ;   in Loop: Header=BB4_7295 Depth=2
	v_mov_b32_e32 v10, v14
	v_bfe_u32 v1, v14, 23, 1
	v_mov_b32_e32 v11, v15
; %bb.7912:                             ;   in Loop: Header=BB4_7295 Depth=2
	s_or_b64 exec, exec, s[20:21]
	v_lshrrev_b64 v[2:3], 20, v[10:11]
	v_cmp_gt_i32_e32 vcc, 16, v1
	v_cndmask_b32_e32 v3, 0, v3, vcc
	v_cndmask_b32_e32 v2, 7, v2, vcc
	v_cmp_eq_u32_e32 vcc, 0, v1
	v_min_i32_e32 v1, 15, v1
	v_cmp_eq_u64_e64 s[20:21], 0, v[2:3]
	v_lshlrev_b32_e32 v1, 3, v1
	v_and_b32_e32 v1, 0xf8, v1
	v_and_or_b32 v1, v2, 7, v1
	s_and_b64 s[20:21], vcc, s[20:21]
	v_cndmask_b32_e64 v1, v1, 0, s[20:21]
	v_or_b32_e32 v7, v1, v0
.LBB4_7913:                             ;   in Loop: Header=BB4_7295 Depth=2
	s_or_b64 exec, exec, s[88:89]
                                        ; implicit-def: $vgpr0
.LBB4_7914:                             ;   in Loop: Header=BB4_7295 Depth=2
	s_andn2_saveexec_b64 s[20:21], s[78:79]
; %bb.7915:                             ;   in Loop: Header=BB4_7295 Depth=2
	v_or_b32_e32 v7, 0x7e, v0
; %bb.7916:                             ;   in Loop: Header=BB4_7295 Depth=2
	s_or_b64 exec, exec, s[20:21]
                                        ; implicit-def: $vgpr1
.LBB4_7917:                             ;   in Loop: Header=BB4_7295 Depth=2
	s_andn2_saveexec_b64 s[20:21], s[76:77]
; %bb.7918:                             ;   in Loop: Header=BB4_7295 Depth=2
	v_or_b32_sdwa v7, v1, s39 dst_sel:DWORD dst_unused:UNUSED_PAD src0_sel:BYTE_3 src1_sel:DWORD
; %bb.7919:                             ;   in Loop: Header=BB4_7295 Depth=2
	s_or_b64 exec, exec, s[20:21]
	v_mov_b32_e32 v14, v13
	v_cmp_ne_u16_sdwa s[76:77], v13, v15 src0_sel:BYTE_0 src1_sel:DWORD
	v_mov_b32_e32 v0, 0
	s_and_saveexec_b64 s[20:21], s[76:77]
	s_cbranch_execz .LBB4_7925
; %bb.7920:                             ;   in Loop: Header=BB4_7295 Depth=2
	v_cmp_ne_u16_sdwa s[78:79], v13, s48 src0_sel:BYTE_0 src1_sel:DWORD
	v_bfrev_b32_e32 v0, 1
	s_and_saveexec_b64 s[76:77], s[78:79]
	s_cbranch_execz .LBB4_7924
; %bb.7921:                             ;   in Loop: Header=BB4_7295 Depth=2
	v_and_b32_e32 v1, 0x7f, v13
	v_cmp_ne_u32_e32 vcc, s39, v1
	v_mov_b32_e32 v0, 0x7f800001
	s_and_saveexec_b64 s[78:79], vcc
	s_cbranch_execz .LBB4_7923
; %bb.7922:                             ;   in Loop: Header=BB4_7295 Depth=2
	v_and_b32_e32 v0, 7, v13
	v_ffbh_u32_e32 v0, v0
	v_min_u32_e32 v0, 32, v0
	v_lshrrev_b32_e32 v2, 3, v1
	v_cmp_gt_u32_e32 vcc, 8, v1
	v_subrev_u32_e32 v1, 28, v0
	v_sub_u32_e32 v0, 29, v0
	v_cndmask_b32_e32 v2, v2, v0, vcc
	v_cndmask_b32_e32 v0, 0, v1, vcc
	v_lshlrev_b64 v[0:1], v0, v[14:15]
	v_lshlrev_b32_e32 v1, 24, v14
	v_lshlrev_b32_e32 v0, 20, v0
	v_bfrev_b32_e32 v3, 60
	v_and_b32_e32 v0, 0x700000, v0
	v_and_b32_e32 v1, 0x80000000, v1
	v_lshl_add_u32 v2, v2, 23, v3
	v_or3_b32 v0, v1, v2, v0
.LBB4_7923:                             ;   in Loop: Header=BB4_7295 Depth=2
	s_or_b64 exec, exec, s[78:79]
.LBB4_7924:                             ;   in Loop: Header=BB4_7295 Depth=2
	s_or_b64 exec, exec, s[76:77]
.LBB4_7925:                             ;   in Loop: Header=BB4_7295 Depth=2
	s_or_b64 exec, exec, s[20:21]
	v_mul_f32_e32 v1, v61, v0
	v_and_b32_e32 v2, 0x7f800000, v1
	v_mov_b32_e32 v3, v15
	v_cmp_ne_u64_e32 vcc, s[46:47], v[2:3]
                                        ; implicit-def: $vgpr8
	s_and_saveexec_b64 s[20:21], vcc
	s_xor_b64 s[76:77], exec, s[20:21]
	s_cbranch_execz .LBB4_7939
; %bb.7926:                             ;   in Loop: Header=BB4_7295 Depth=2
	v_and_b32_e32 v2, 0x7fffffff, v1
	v_mov_b32_e32 v3, v15
	v_cmp_gt_u64_e32 vcc, s[56:57], v[2:3]
	v_and_b32_sdwa v0, v1, s48 dst_sel:DWORD dst_unused:UNUSED_PAD src0_sel:BYTE_3 src1_sel:DWORD
                                        ; implicit-def: $vgpr8
	s_and_saveexec_b64 s[20:21], vcc
	s_xor_b64 s[78:79], exec, s[20:21]
	s_cbranch_execz .LBB4_7936
; %bb.7927:                             ;   in Loop: Header=BB4_7295 Depth=2
	v_mov_b32_e32 v8, 0
	v_cmp_ne_u32_e32 vcc, 0, v1
	s_and_saveexec_b64 s[88:89], vcc
	s_cbranch_execz .LBB4_7935
; %bb.7928:                             ;   in Loop: Header=BB4_7295 Depth=2
	v_and_b32_e32 v3, 0x7fffff, v1
	v_bfe_u32 v1, v1, 23, 8
	v_cmp_gt_u32_e64 s[20:21], s49, v1
	v_sub_u32_e32 v2, 0x79, v1
	v_cmp_eq_u32_e32 vcc, 0, v1
	v_cndmask_b32_e64 v2, 0, v2, s[20:21]
	v_cndmask_b32_e32 v2, v2, v47, vcc
	v_add_u32_e32 v5, 20, v2
	v_or_b32_e32 v4, 0x800000, v3
	v_lshlrev_b64 v[8:9], v5, -1
	v_add_u32_e32 v5, 19, v2
	v_cndmask_b32_e32 v3, v4, v3, vcc
	v_lshlrev_b64 v[10:11], v5, 1
	v_mov_b32_e32 v4, v15
	v_bfi_b32 v9, v9, 0, 0
	v_bfi_b32 v8, v8, 0, v3
	v_cmp_eq_u64_e64 s[20:21], v[8:9], v[10:11]
	v_lshrrev_b64 v[10:11], v2, v[3:4]
	v_mov_b32_e32 v41, v11
	v_mov_b32_e32 v40, v10
	s_and_saveexec_b64 s[90:91], s[20:21]
; %bb.7929:                             ;   in Loop: Header=BB4_7295 Depth=2
	v_bfe_u32 v3, v10, 20, 1
	v_add_co_u32_e64 v3, s[20:21], v10, v3
	v_add_co_u32_e64 v40, s[20:21], -1, v3
; %bb.7930:                             ;   in Loop: Header=BB4_7295 Depth=2
	s_or_b64 exec, exec, s[90:91]
	v_add_u32_e32 v1, 0xffffff81, v1
	v_cndmask_b32_e32 v1, v1, v44, vcc
	v_lshrrev_b32_e32 v3, 23, v10
	v_add3_u32 v3, v2, v1, v3
	v_add_u32_e32 v2, 6, v3
	v_and_b32_e32 v1, 0xfffff, v40
	v_add_u32_e32 v10, v1, v10
	v_mov_b32_e32 v11, v15
	v_cmp_ne_u32_e32 vcc, 0, v2
                                        ; implicit-def: $vgpr1
	s_and_saveexec_b64 s[20:21], vcc
	s_xor_b64 s[20:21], exec, s[20:21]
; %bb.7931:                             ;   in Loop: Header=BB4_7295 Depth=2
	v_cmp_lt_u64_e32 vcc, s[58:59], v[10:11]
	v_add_u32_e32 v1, 7, v3
	v_cndmask_b32_e32 v1, v2, v1, vcc
	v_cndmask_b32_e64 v2, 0, 1, vcc
	v_lshrrev_b64 v[10:11], v2, v[10:11]
; %bb.7932:                             ;   in Loop: Header=BB4_7295 Depth=2
	s_andn2_saveexec_b64 s[20:21], s[20:21]
; %bb.7933:                             ;   in Loop: Header=BB4_7295 Depth=2
	v_bfe_u32 v1, v10, 23, 1
; %bb.7934:                             ;   in Loop: Header=BB4_7295 Depth=2
	s_or_b64 exec, exec, s[20:21]
	v_lshrrev_b64 v[2:3], 20, v[10:11]
	v_cmp_gt_i32_e32 vcc, 16, v1
	v_cndmask_b32_e32 v3, 0, v3, vcc
	v_cndmask_b32_e32 v2, 7, v2, vcc
	v_cmp_eq_u32_e32 vcc, 0, v1
	v_min_i32_e32 v1, 15, v1
	v_cmp_eq_u64_e64 s[20:21], 0, v[2:3]
	v_lshlrev_b32_e32 v1, 3, v1
	v_and_b32_e32 v1, 0xf8, v1
	v_and_or_b32 v1, v2, 7, v1
	s_and_b64 s[20:21], vcc, s[20:21]
	v_cndmask_b32_e64 v1, v1, 0, s[20:21]
	v_or_b32_e32 v8, v1, v0
.LBB4_7935:                             ;   in Loop: Header=BB4_7295 Depth=2
	s_or_b64 exec, exec, s[88:89]
                                        ; implicit-def: $vgpr0
.LBB4_7936:                             ;   in Loop: Header=BB4_7295 Depth=2
	s_andn2_saveexec_b64 s[20:21], s[78:79]
; %bb.7937:                             ;   in Loop: Header=BB4_7295 Depth=2
	v_or_b32_e32 v8, 0x7e, v0
; %bb.7938:                             ;   in Loop: Header=BB4_7295 Depth=2
	s_or_b64 exec, exec, s[20:21]
                                        ; implicit-def: $vgpr1
.LBB4_7939:                             ;   in Loop: Header=BB4_7295 Depth=2
	s_andn2_saveexec_b64 s[20:21], s[76:77]
; %bb.7940:                             ;   in Loop: Header=BB4_7295 Depth=2
	v_or_b32_sdwa v8, v1, s39 dst_sel:DWORD dst_unused:UNUSED_PAD src0_sel:BYTE_3 src1_sel:DWORD
; %bb.7941:                             ;   in Loop: Header=BB4_7295 Depth=2
	s_or_b64 exec, exec, s[20:21]
	v_lshrrev_b16_e32 v10, 8, v14
	v_cmp_ne_u16_e32 vcc, 0, v10
	v_mov_b32_e32 v0, 0
	s_and_saveexec_b64 s[20:21], vcc
	s_cbranch_execz .LBB4_7947
; %bb.7942:                             ;   in Loop: Header=BB4_7295 Depth=2
	v_cmp_ne_u16_e32 vcc, s48, v10
	v_bfrev_b32_e32 v0, 1
	s_and_saveexec_b64 s[76:77], vcc
	s_cbranch_execz .LBB4_7946
; %bb.7943:                             ;   in Loop: Header=BB4_7295 Depth=2
	v_and_b32_e32 v1, 0x7f, v10
	v_cmp_ne_u32_e32 vcc, s39, v1
	v_mov_b32_e32 v0, 0x7f800001
	s_and_saveexec_b64 s[78:79], vcc
	s_cbranch_execz .LBB4_7945
; %bb.7944:                             ;   in Loop: Header=BB4_7295 Depth=2
	v_and_b32_e32 v2, 7, v10
	v_ffbh_u32_e32 v0, v2
	v_min_u32_e32 v4, 32, v0
	v_subrev_u32_e32 v0, 28, v4
	v_lshrrev_b32_e32 v3, 3, v1
	v_cmp_gt_u32_e32 vcc, 8, v1
	v_lshlrev_b64 v[0:1], v0, v[10:11]
	v_sub_u32_e32 v1, 29, v4
	v_and_b32_e32 v0, 7, v0
	v_cndmask_b32_e32 v1, v3, v1, vcc
	v_cndmask_b32_e32 v0, v2, v0, vcc
	v_lshlrev_b32_e32 v2, 16, v14
	v_bfrev_b32_e32 v3, 60
	v_lshlrev_b32_e32 v0, 20, v0
	v_and_b32_e32 v2, 0x80000000, v2
	v_lshl_add_u32 v1, v1, 23, v3
	v_or3_b32 v0, v2, v1, v0
.LBB4_7945:                             ;   in Loop: Header=BB4_7295 Depth=2
	s_or_b64 exec, exec, s[78:79]
.LBB4_7946:                             ;   in Loop: Header=BB4_7295 Depth=2
	s_or_b64 exec, exec, s[76:77]
.LBB4_7947:                             ;   in Loop: Header=BB4_7295 Depth=2
	s_or_b64 exec, exec, s[20:21]
	v_mul_f32_e32 v1, v61, v0
	v_and_b32_e32 v14, 0x7f800000, v1
	v_cmp_ne_u64_e32 vcc, s[46:47], v[14:15]
                                        ; implicit-def: $vgpr9
	s_and_saveexec_b64 s[20:21], vcc
	s_xor_b64 s[76:77], exec, s[20:21]
	s_cbranch_execz .LBB4_7961
; %bb.7948:                             ;   in Loop: Header=BB4_7295 Depth=2
	v_and_b32_e32 v14, 0x7fffffff, v1
	v_cmp_gt_u64_e32 vcc, s[56:57], v[14:15]
	v_and_b32_sdwa v0, v1, s48 dst_sel:DWORD dst_unused:UNUSED_PAD src0_sel:BYTE_3 src1_sel:DWORD
                                        ; implicit-def: $vgpr9
	s_and_saveexec_b64 s[20:21], vcc
	s_xor_b64 s[78:79], exec, s[20:21]
	s_cbranch_execz .LBB4_7958
; %bb.7949:                             ;   in Loop: Header=BB4_7295 Depth=2
	v_mov_b32_e32 v9, 0
	v_cmp_ne_u32_e32 vcc, 0, v1
	s_and_saveexec_b64 s[88:89], vcc
	s_cbranch_execz .LBB4_7957
; %bb.7950:                             ;   in Loop: Header=BB4_7295 Depth=2
	v_and_b32_e32 v3, 0x7fffff, v1
	v_bfe_u32 v1, v1, 23, 8
	v_cmp_gt_u32_e64 s[20:21], s49, v1
	v_sub_u32_e32 v2, 0x79, v1
	v_cmp_eq_u32_e32 vcc, 0, v1
	v_cndmask_b32_e64 v2, 0, v2, s[20:21]
	v_or_b32_e32 v4, 0x800000, v3
	v_cndmask_b32_e32 v2, v2, v47, vcc
	v_cndmask_b32_e32 v14, v4, v3, vcc
	v_add_u32_e32 v3, 20, v2
	v_lshlrev_b64 v[3:4], v3, -1
	v_add_u32_e32 v5, 19, v2
	v_lshlrev_b64 v[9:10], v5, 1
	v_bfi_b32 v4, v4, 0, 0
	v_bfi_b32 v3, v3, 0, v14
	v_cmp_eq_u64_e64 s[20:21], v[3:4], v[9:10]
	v_lshrrev_b64 v[10:11], v2, v[14:15]
	v_mov_b32_e32 v41, v11
	v_mov_b32_e32 v40, v10
	s_and_saveexec_b64 s[90:91], s[20:21]
; %bb.7951:                             ;   in Loop: Header=BB4_7295 Depth=2
	v_bfe_u32 v3, v10, 20, 1
	v_add_co_u32_e64 v3, s[20:21], v10, v3
	v_add_co_u32_e64 v40, s[20:21], -1, v3
; %bb.7952:                             ;   in Loop: Header=BB4_7295 Depth=2
	s_or_b64 exec, exec, s[90:91]
	v_add_u32_e32 v1, 0xffffff81, v1
	v_cndmask_b32_e32 v1, v1, v44, vcc
	v_lshrrev_b32_e32 v3, 23, v10
	v_add3_u32 v3, v2, v1, v3
	v_add_u32_e32 v2, 6, v3
	v_and_b32_e32 v1, 0xfffff, v40
	v_add_u32_e32 v14, v1, v10
	v_cmp_ne_u32_e32 vcc, 0, v2
                                        ; implicit-def: $vgpr10_vgpr11
                                        ; implicit-def: $vgpr1
	s_and_saveexec_b64 s[20:21], vcc
	s_xor_b64 s[20:21], exec, s[20:21]
; %bb.7953:                             ;   in Loop: Header=BB4_7295 Depth=2
	v_cmp_lt_u64_e32 vcc, s[58:59], v[14:15]
	v_add_u32_e32 v1, 7, v3
	v_cndmask_b32_e32 v1, v2, v1, vcc
	v_cndmask_b32_e64 v2, 0, 1, vcc
	v_lshrrev_b64 v[10:11], v2, v[14:15]
; %bb.7954:                             ;   in Loop: Header=BB4_7295 Depth=2
	s_andn2_saveexec_b64 s[20:21], s[20:21]
; %bb.7955:                             ;   in Loop: Header=BB4_7295 Depth=2
	v_mov_b32_e32 v10, v14
	v_bfe_u32 v1, v14, 23, 1
	v_mov_b32_e32 v11, v15
; %bb.7956:                             ;   in Loop: Header=BB4_7295 Depth=2
	s_or_b64 exec, exec, s[20:21]
	v_lshrrev_b64 v[2:3], 20, v[10:11]
	v_cmp_gt_i32_e32 vcc, 16, v1
	v_cndmask_b32_e32 v3, 0, v3, vcc
	v_cndmask_b32_e32 v2, 7, v2, vcc
	v_cmp_eq_u32_e32 vcc, 0, v1
	v_min_i32_e32 v1, 15, v1
	v_cmp_eq_u64_e64 s[20:21], 0, v[2:3]
	v_lshlrev_b32_e32 v1, 3, v1
	v_and_b32_e32 v1, 0xf8, v1
	v_and_or_b32 v1, v2, 7, v1
	s_and_b64 s[20:21], vcc, s[20:21]
	v_cndmask_b32_e64 v1, v1, 0, s[20:21]
	v_or_b32_e32 v9, v1, v0
.LBB4_7957:                             ;   in Loop: Header=BB4_7295 Depth=2
	s_or_b64 exec, exec, s[88:89]
                                        ; implicit-def: $vgpr0
.LBB4_7958:                             ;   in Loop: Header=BB4_7295 Depth=2
	s_andn2_saveexec_b64 s[20:21], s[78:79]
; %bb.7959:                             ;   in Loop: Header=BB4_7295 Depth=2
	v_or_b32_e32 v9, 0x7e, v0
; %bb.7960:                             ;   in Loop: Header=BB4_7295 Depth=2
	s_or_b64 exec, exec, s[20:21]
                                        ; implicit-def: $vgpr1
.LBB4_7961:                             ;   in Loop: Header=BB4_7295 Depth=2
	s_andn2_saveexec_b64 s[20:21], s[76:77]
; %bb.7962:                             ;   in Loop: Header=BB4_7295 Depth=2
	v_or_b32_sdwa v9, v1, s39 dst_sel:DWORD dst_unused:UNUSED_PAD src0_sel:BYTE_3 src1_sel:DWORD
; %bb.7963:                             ;   in Loop: Header=BB4_7295 Depth=2
	s_or_b64 exec, exec, s[20:21]
	v_lshrrev_b32_e32 v10, 16, v13
	v_cmp_ne_u16_sdwa s[76:77], v10, v15 src0_sel:BYTE_0 src1_sel:DWORD
	v_mov_b32_e32 v0, 0
	s_and_saveexec_b64 s[20:21], s[76:77]
	s_cbranch_execz .LBB4_7969
; %bb.7964:                             ;   in Loop: Header=BB4_7295 Depth=2
	v_cmp_ne_u16_sdwa s[78:79], v10, s48 src0_sel:BYTE_0 src1_sel:DWORD
	v_bfrev_b32_e32 v0, 1
	s_and_saveexec_b64 s[76:77], s[78:79]
	s_cbranch_execz .LBB4_7968
; %bb.7965:                             ;   in Loop: Header=BB4_7295 Depth=2
	v_bfe_u32 v1, v13, 16, 7
	v_cmp_ne_u32_e32 vcc, s39, v1
	v_mov_b32_e32 v0, 0x7f800001
	s_and_saveexec_b64 s[78:79], vcc
	s_cbranch_execz .LBB4_7967
; %bb.7966:                             ;   in Loop: Header=BB4_7295 Depth=2
	v_and_b32_e32 v2, 7, v10
	v_ffbh_u32_e32 v0, v2
	v_min_u32_e32 v4, 32, v0
	v_subrev_u32_e32 v0, 28, v4
	v_lshrrev_b32_e32 v3, 3, v1
	v_cmp_gt_u32_e32 vcc, 8, v1
	v_lshlrev_b64 v[0:1], v0, v[10:11]
	v_sub_u32_e32 v1, 29, v4
	v_and_b32_e32 v0, 7, v0
	v_cndmask_b32_e32 v1, v3, v1, vcc
	v_cndmask_b32_e32 v0, v2, v0, vcc
	v_lshlrev_b32_e32 v2, 24, v10
	v_bfrev_b32_e32 v3, 60
	v_lshlrev_b32_e32 v0, 20, v0
	v_and_b32_e32 v2, 0x80000000, v2
	v_lshl_add_u32 v1, v1, 23, v3
	v_or3_b32 v0, v2, v1, v0
.LBB4_7967:                             ;   in Loop: Header=BB4_7295 Depth=2
	s_or_b64 exec, exec, s[78:79]
.LBB4_7968:                             ;   in Loop: Header=BB4_7295 Depth=2
	s_or_b64 exec, exec, s[76:77]
.LBB4_7969:                             ;   in Loop: Header=BB4_7295 Depth=2
	s_or_b64 exec, exec, s[20:21]
	v_mul_f32_e32 v1, v61, v0
	v_and_b32_e32 v14, 0x7f800000, v1
	v_cmp_ne_u64_e32 vcc, s[46:47], v[14:15]
                                        ; implicit-def: $vgpr37
	s_and_saveexec_b64 s[20:21], vcc
	s_xor_b64 s[76:77], exec, s[20:21]
	s_cbranch_execz .LBB4_7983
; %bb.7970:                             ;   in Loop: Header=BB4_7295 Depth=2
	v_and_b32_e32 v14, 0x7fffffff, v1
	v_cmp_gt_u64_e32 vcc, s[56:57], v[14:15]
	v_and_b32_sdwa v0, v1, s48 dst_sel:DWORD dst_unused:UNUSED_PAD src0_sel:BYTE_3 src1_sel:DWORD
                                        ; implicit-def: $vgpr37
	s_and_saveexec_b64 s[20:21], vcc
	s_xor_b64 s[78:79], exec, s[20:21]
	s_cbranch_execz .LBB4_7980
; %bb.7971:                             ;   in Loop: Header=BB4_7295 Depth=2
	v_mov_b32_e32 v37, 0
	v_cmp_ne_u32_e32 vcc, 0, v1
	s_and_saveexec_b64 s[88:89], vcc
	s_cbranch_execz .LBB4_7979
; %bb.7972:                             ;   in Loop: Header=BB4_7295 Depth=2
	v_and_b32_e32 v3, 0x7fffff, v1
	v_bfe_u32 v1, v1, 23, 8
	v_cmp_gt_u32_e64 s[20:21], s49, v1
	v_sub_u32_e32 v2, 0x79, v1
	v_cmp_eq_u32_e32 vcc, 0, v1
	v_cndmask_b32_e64 v2, 0, v2, s[20:21]
	v_or_b32_e32 v4, 0x800000, v3
	v_cndmask_b32_e32 v2, v2, v47, vcc
	v_cndmask_b32_e32 v14, v4, v3, vcc
	v_add_u32_e32 v3, 20, v2
	v_lshlrev_b64 v[3:4], v3, -1
	v_add_u32_e32 v5, 19, v2
	v_lshlrev_b64 v[10:11], v5, 1
	v_bfi_b32 v4, v4, 0, 0
	v_bfi_b32 v3, v3, 0, v14
	v_cmp_eq_u64_e64 s[20:21], v[3:4], v[10:11]
	v_lshrrev_b64 v[10:11], v2, v[14:15]
	v_mov_b32_e32 v41, v11
	v_mov_b32_e32 v40, v10
	s_and_saveexec_b64 s[90:91], s[20:21]
; %bb.7973:                             ;   in Loop: Header=BB4_7295 Depth=2
	v_bfe_u32 v3, v10, 20, 1
	v_add_co_u32_e64 v3, s[20:21], v10, v3
	v_add_co_u32_e64 v40, s[20:21], -1, v3
; %bb.7974:                             ;   in Loop: Header=BB4_7295 Depth=2
	s_or_b64 exec, exec, s[90:91]
	v_add_u32_e32 v1, 0xffffff81, v1
	v_cndmask_b32_e32 v1, v1, v44, vcc
	v_lshrrev_b32_e32 v3, 23, v10
	v_add3_u32 v3, v2, v1, v3
	v_add_u32_e32 v2, 6, v3
	v_and_b32_e32 v1, 0xfffff, v40
	v_add_u32_e32 v14, v1, v10
	v_cmp_ne_u32_e32 vcc, 0, v2
                                        ; implicit-def: $vgpr10_vgpr11
                                        ; implicit-def: $vgpr1
	s_and_saveexec_b64 s[20:21], vcc
	s_xor_b64 s[20:21], exec, s[20:21]
; %bb.7975:                             ;   in Loop: Header=BB4_7295 Depth=2
	v_cmp_lt_u64_e32 vcc, s[58:59], v[14:15]
	v_add_u32_e32 v1, 7, v3
	v_cndmask_b32_e32 v1, v2, v1, vcc
	v_cndmask_b32_e64 v2, 0, 1, vcc
	v_lshrrev_b64 v[10:11], v2, v[14:15]
; %bb.7976:                             ;   in Loop: Header=BB4_7295 Depth=2
	s_andn2_saveexec_b64 s[20:21], s[20:21]
; %bb.7977:                             ;   in Loop: Header=BB4_7295 Depth=2
	v_mov_b32_e32 v10, v14
	v_bfe_u32 v1, v14, 23, 1
	v_mov_b32_e32 v11, v15
; %bb.7978:                             ;   in Loop: Header=BB4_7295 Depth=2
	s_or_b64 exec, exec, s[20:21]
	v_lshrrev_b64 v[2:3], 20, v[10:11]
	v_cmp_gt_i32_e32 vcc, 16, v1
	v_cndmask_b32_e32 v3, 0, v3, vcc
	v_cndmask_b32_e32 v2, 7, v2, vcc
	v_cmp_eq_u32_e32 vcc, 0, v1
	v_min_i32_e32 v1, 15, v1
	v_cmp_eq_u64_e64 s[20:21], 0, v[2:3]
	v_lshlrev_b32_e32 v1, 3, v1
	v_and_b32_e32 v1, 0xf8, v1
	v_and_or_b32 v1, v2, 7, v1
	s_and_b64 s[20:21], vcc, s[20:21]
	v_cndmask_b32_e64 v1, v1, 0, s[20:21]
	v_or_b32_e32 v37, v1, v0
.LBB4_7979:                             ;   in Loop: Header=BB4_7295 Depth=2
	s_or_b64 exec, exec, s[88:89]
                                        ; implicit-def: $vgpr0
.LBB4_7980:                             ;   in Loop: Header=BB4_7295 Depth=2
	s_andn2_saveexec_b64 s[20:21], s[78:79]
; %bb.7981:                             ;   in Loop: Header=BB4_7295 Depth=2
	v_or_b32_e32 v37, 0x7e, v0
; %bb.7982:                             ;   in Loop: Header=BB4_7295 Depth=2
	s_or_b64 exec, exec, s[20:21]
                                        ; implicit-def: $vgpr1
.LBB4_7983:                             ;   in Loop: Header=BB4_7295 Depth=2
	s_andn2_saveexec_b64 s[20:21], s[76:77]
; %bb.7984:                             ;   in Loop: Header=BB4_7295 Depth=2
	v_or_b32_sdwa v37, v1, s39 dst_sel:DWORD dst_unused:UNUSED_PAD src0_sel:BYTE_3 src1_sel:DWORD
; %bb.7985:                             ;   in Loop: Header=BB4_7295 Depth=2
	s_or_b64 exec, exec, s[20:21]
	v_cmp_lt_u64_e32 vcc, s[60:61], v[12:13]
	v_mov_b32_e32 v0, 0
	s_and_saveexec_b64 s[20:21], vcc
	s_cbranch_execz .LBB4_7991
; %bb.7986:                             ;   in Loop: Header=BB4_7295 Depth=2
	v_lshrrev_b32_e32 v10, 24, v13
	v_cmp_ne_u32_e32 vcc, s48, v10
	v_bfrev_b32_e32 v0, 1
	s_and_saveexec_b64 s[76:77], vcc
	s_cbranch_execz .LBB4_7990
; %bb.7987:                             ;   in Loop: Header=BB4_7295 Depth=2
	v_bfe_u32 v1, v13, 24, 7
	v_cmp_ne_u32_e32 vcc, s39, v1
	v_mov_b32_e32 v0, 0x7f800001
	s_and_saveexec_b64 s[78:79], vcc
	s_cbranch_execz .LBB4_7989
; %bb.7988:                             ;   in Loop: Header=BB4_7295 Depth=2
	v_and_b32_e32 v2, 7, v10
	v_ffbh_u32_e32 v0, v2
	v_min_u32_e32 v4, 32, v0
	v_subrev_u32_e32 v0, 28, v4
	v_lshrrev_b32_e32 v3, 3, v1
	v_cmp_gt_u32_e32 vcc, 8, v1
	v_lshlrev_b64 v[0:1], v0, v[10:11]
	v_sub_u32_e32 v1, 29, v4
	v_and_b32_e32 v0, 7, v0
	v_cndmask_b32_e32 v1, v3, v1, vcc
	v_cndmask_b32_e32 v0, v2, v0, vcc
	v_lshlrev_b32_e32 v2, 24, v10
	v_bfrev_b32_e32 v3, 60
	v_lshlrev_b32_e32 v0, 20, v0
	v_and_b32_e32 v2, 0x80000000, v2
	v_lshl_add_u32 v1, v1, 23, v3
	v_or3_b32 v0, v2, v1, v0
.LBB4_7989:                             ;   in Loop: Header=BB4_7295 Depth=2
	s_or_b64 exec, exec, s[78:79]
.LBB4_7990:                             ;   in Loop: Header=BB4_7295 Depth=2
	s_or_b64 exec, exec, s[76:77]
.LBB4_7991:                             ;   in Loop: Header=BB4_7295 Depth=2
	s_or_b64 exec, exec, s[20:21]
	v_mul_f32_e32 v1, v61, v0
	v_and_b32_e32 v14, 0x7f800000, v1
	v_cmp_ne_u64_e32 vcc, s[46:47], v[14:15]
                                        ; implicit-def: $vgpr57
	s_and_saveexec_b64 s[20:21], vcc
	s_xor_b64 s[76:77], exec, s[20:21]
	s_cbranch_execz .LBB4_8005
; %bb.7992:                             ;   in Loop: Header=BB4_7295 Depth=2
	v_and_b32_e32 v14, 0x7fffffff, v1
	v_cmp_gt_u64_e32 vcc, s[56:57], v[14:15]
	v_and_b32_sdwa v0, v1, s48 dst_sel:DWORD dst_unused:UNUSED_PAD src0_sel:BYTE_3 src1_sel:DWORD
                                        ; implicit-def: $vgpr57
	s_and_saveexec_b64 s[20:21], vcc
	s_xor_b64 s[78:79], exec, s[20:21]
	s_cbranch_execz .LBB4_8002
; %bb.7993:                             ;   in Loop: Header=BB4_7295 Depth=2
	v_mov_b32_e32 v57, 0
	v_cmp_ne_u32_e32 vcc, 0, v1
	s_and_saveexec_b64 s[88:89], vcc
	s_cbranch_execz .LBB4_8001
; %bb.7994:                             ;   in Loop: Header=BB4_7295 Depth=2
	v_and_b32_e32 v3, 0x7fffff, v1
	v_bfe_u32 v1, v1, 23, 8
	v_cmp_gt_u32_e64 s[20:21], s49, v1
	v_sub_u32_e32 v2, 0x79, v1
	v_cmp_eq_u32_e32 vcc, 0, v1
	v_cndmask_b32_e64 v2, 0, v2, s[20:21]
	v_or_b32_e32 v4, 0x800000, v3
	v_cndmask_b32_e32 v2, v2, v47, vcc
	v_cndmask_b32_e32 v14, v4, v3, vcc
	v_add_u32_e32 v3, 20, v2
	v_lshlrev_b64 v[3:4], v3, -1
	v_add_u32_e32 v5, 19, v2
	v_lshlrev_b64 v[10:11], v5, 1
	v_bfi_b32 v4, v4, 0, 0
	v_bfi_b32 v3, v3, 0, v14
	v_cmp_eq_u64_e64 s[20:21], v[3:4], v[10:11]
	v_lshrrev_b64 v[10:11], v2, v[14:15]
	v_mov_b32_e32 v12, v11
	v_mov_b32_e32 v11, v10
	s_and_saveexec_b64 s[90:91], s[20:21]
; %bb.7995:                             ;   in Loop: Header=BB4_7295 Depth=2
	v_bfe_u32 v3, v10, 20, 1
	v_add_co_u32_e64 v3, s[20:21], v10, v3
	v_add_co_u32_e64 v11, s[20:21], -1, v3
; %bb.7996:                             ;   in Loop: Header=BB4_7295 Depth=2
	s_or_b64 exec, exec, s[90:91]
	v_add_u32_e32 v1, 0xffffff81, v1
	v_cndmask_b32_e32 v1, v1, v44, vcc
	v_lshrrev_b32_e32 v3, 23, v10
	v_add3_u32 v3, v2, v1, v3
	v_add_u32_e32 v2, 6, v3
	v_and_b32_e32 v1, 0xfffff, v11
	v_add_u32_e32 v14, v1, v10
	v_cmp_ne_u32_e32 vcc, 0, v2
                                        ; implicit-def: $vgpr10_vgpr11
                                        ; implicit-def: $vgpr1
	s_and_saveexec_b64 s[20:21], vcc
	s_xor_b64 s[20:21], exec, s[20:21]
; %bb.7997:                             ;   in Loop: Header=BB4_7295 Depth=2
	v_cmp_lt_u64_e32 vcc, s[58:59], v[14:15]
	v_add_u32_e32 v1, 7, v3
	v_cndmask_b32_e32 v1, v2, v1, vcc
	v_cndmask_b32_e64 v2, 0, 1, vcc
	v_lshrrev_b64 v[10:11], v2, v[14:15]
; %bb.7998:                             ;   in Loop: Header=BB4_7295 Depth=2
	s_andn2_saveexec_b64 s[20:21], s[20:21]
; %bb.7999:                             ;   in Loop: Header=BB4_7295 Depth=2
	v_mov_b32_e32 v10, v14
	v_bfe_u32 v1, v14, 23, 1
	v_mov_b32_e32 v11, v15
; %bb.8000:                             ;   in Loop: Header=BB4_7295 Depth=2
	s_or_b64 exec, exec, s[20:21]
	v_lshrrev_b64 v[2:3], 20, v[10:11]
	v_cmp_gt_i32_e32 vcc, 16, v1
	v_cndmask_b32_e32 v3, 0, v3, vcc
	v_cndmask_b32_e32 v2, 7, v2, vcc
	v_cmp_eq_u32_e32 vcc, 0, v1
	v_min_i32_e32 v1, 15, v1
	v_cmp_eq_u64_e64 s[20:21], 0, v[2:3]
	v_lshlrev_b32_e32 v1, 3, v1
	v_and_b32_e32 v1, 0xf8, v1
	v_and_or_b32 v1, v2, 7, v1
	s_and_b64 s[20:21], vcc, s[20:21]
	v_cndmask_b32_e64 v1, v1, 0, s[20:21]
	v_or_b32_e32 v57, v1, v0
.LBB4_8001:                             ;   in Loop: Header=BB4_7295 Depth=2
	s_or_b64 exec, exec, s[88:89]
                                        ; implicit-def: $vgpr0
.LBB4_8002:                             ;   in Loop: Header=BB4_7295 Depth=2
	s_andn2_saveexec_b64 s[20:21], s[78:79]
; %bb.8003:                             ;   in Loop: Header=BB4_7295 Depth=2
	v_or_b32_e32 v57, 0x7e, v0
; %bb.8004:                             ;   in Loop: Header=BB4_7295 Depth=2
	s_or_b64 exec, exec, s[20:21]
                                        ; implicit-def: $vgpr1
.LBB4_8005:                             ;   in Loop: Header=BB4_7295 Depth=2
	s_andn2_saveexec_b64 s[20:21], s[76:77]
; %bb.8006:                             ;   in Loop: Header=BB4_7295 Depth=2
	v_or_b32_sdwa v57, v1, s39 dst_sel:DWORD dst_unused:UNUSED_PAD src0_sel:BYTE_3 src1_sel:DWORD
; %bb.8007:                             ;   in Loop: Header=BB4_7295 Depth=2
	s_or_b64 exec, exec, s[20:21]
	global_load_dwordx4 v[10:13], v[54:55], off offset:2048 glc slc
	v_mov_b32_e32 v0, 0
	s_waitcnt vmcnt(0)
	v_cmp_ne_u16_sdwa s[76:77], v10, v15 src0_sel:BYTE_0 src1_sel:DWORD
	s_and_saveexec_b64 s[20:21], s[76:77]
	s_cbranch_execz .LBB4_8013
; %bb.8008:                             ;   in Loop: Header=BB4_7295 Depth=2
	v_cmp_ne_u16_sdwa s[78:79], v10, s48 src0_sel:BYTE_0 src1_sel:DWORD
	v_bfrev_b32_e32 v0, 1
	s_and_saveexec_b64 s[76:77], s[78:79]
	s_cbranch_execz .LBB4_8012
; %bb.8009:                             ;   in Loop: Header=BB4_7295 Depth=2
	v_and_b32_e32 v1, 0x7f, v10
	v_cmp_ne_u32_e32 vcc, s39, v1
	v_mov_b32_e32 v0, 0x7f800001
	s_and_saveexec_b64 s[78:79], vcc
	s_cbranch_execz .LBB4_8011
; %bb.8010:                             ;   in Loop: Header=BB4_7295 Depth=2
	v_and_b32_e32 v0, 7, v10
	v_ffbh_u32_e32 v0, v0
	v_min_u32_e32 v0, 32, v0
	v_lshrrev_b32_e32 v2, 3, v1
	v_cmp_gt_u32_e32 vcc, 8, v1
	v_subrev_u32_e32 v1, 28, v0
	v_sub_u32_e32 v0, 29, v0
	v_cndmask_b32_e32 v2, v2, v0, vcc
	v_cndmask_b32_e32 v0, 0, v1, vcc
	v_lshlrev_b64 v[0:1], v0, v[10:11]
	v_lshlrev_b32_e32 v1, 24, v10
	v_lshlrev_b32_e32 v0, 20, v0
	v_bfrev_b32_e32 v3, 60
	v_and_b32_e32 v0, 0x700000, v0
	v_and_b32_e32 v1, 0x80000000, v1
	v_lshl_add_u32 v2, v2, 23, v3
	v_or3_b32 v0, v1, v2, v0
.LBB4_8011:                             ;   in Loop: Header=BB4_7295 Depth=2
	s_or_b64 exec, exec, s[78:79]
.LBB4_8012:                             ;   in Loop: Header=BB4_7295 Depth=2
	s_or_b64 exec, exec, s[76:77]
.LBB4_8013:                             ;   in Loop: Header=BB4_7295 Depth=2
	s_or_b64 exec, exec, s[20:21]
	v_mul_f32_e32 v1, v61, v0
	v_and_b32_e32 v14, 0x7f800000, v1
	v_cmp_ne_u64_e32 vcc, s[46:47], v[14:15]
                                        ; implicit-def: $vgpr62
	s_and_saveexec_b64 s[20:21], vcc
	s_xor_b64 s[76:77], exec, s[20:21]
	s_cbranch_execz .LBB4_8027
; %bb.8014:                             ;   in Loop: Header=BB4_7295 Depth=2
	v_and_b32_e32 v14, 0x7fffffff, v1
	v_cmp_gt_u64_e32 vcc, s[56:57], v[14:15]
	v_and_b32_sdwa v0, v1, s48 dst_sel:DWORD dst_unused:UNUSED_PAD src0_sel:BYTE_3 src1_sel:DWORD
                                        ; implicit-def: $vgpr62
	s_and_saveexec_b64 s[20:21], vcc
	s_xor_b64 s[78:79], exec, s[20:21]
	s_cbranch_execz .LBB4_8024
; %bb.8015:                             ;   in Loop: Header=BB4_7295 Depth=2
	v_mov_b32_e32 v62, 0
	v_cmp_ne_u32_e32 vcc, 0, v1
	s_and_saveexec_b64 s[88:89], vcc
	s_cbranch_execz .LBB4_8023
; %bb.8016:                             ;   in Loop: Header=BB4_7295 Depth=2
	v_and_b32_e32 v3, 0x7fffff, v1
	v_bfe_u32 v1, v1, 23, 8
	v_cmp_gt_u32_e64 s[20:21], s49, v1
	v_sub_u32_e32 v2, 0x79, v1
	v_cmp_eq_u32_e32 vcc, 0, v1
	v_cndmask_b32_e64 v2, 0, v2, s[20:21]
	v_or_b32_e32 v4, 0x800000, v3
	v_cndmask_b32_e32 v2, v2, v47, vcc
	v_cndmask_b32_e32 v14, v4, v3, vcc
	v_add_u32_e32 v3, 20, v2
	v_lshlrev_b64 v[3:4], v3, -1
	v_add_u32_e32 v5, 19, v2
	v_lshlrev_b64 v[18:19], v5, 1
	v_lshrrev_b64 v[40:41], v2, v[14:15]
	v_bfi_b32 v4, v4, 0, 0
	v_bfi_b32 v3, v3, 0, v14
	v_cmp_eq_u64_e64 s[20:21], v[3:4], v[18:19]
	v_mov_b32_e32 v42, v41
	v_mov_b32_e32 v41, v40
	s_and_saveexec_b64 s[90:91], s[20:21]
; %bb.8017:                             ;   in Loop: Header=BB4_7295 Depth=2
	v_bfe_u32 v3, v40, 20, 1
	v_add_co_u32_e64 v3, s[20:21], v40, v3
	v_add_co_u32_e64 v41, s[20:21], -1, v3
; %bb.8018:                             ;   in Loop: Header=BB4_7295 Depth=2
	s_or_b64 exec, exec, s[90:91]
	v_add_u32_e32 v1, 0xffffff81, v1
	v_cndmask_b32_e32 v1, v1, v44, vcc
	v_lshrrev_b32_e32 v3, 23, v40
	v_add3_u32 v3, v2, v1, v3
	v_add_u32_e32 v2, 6, v3
	v_and_b32_e32 v1, 0xfffff, v41
	v_add_u32_e32 v14, v1, v40
	v_cmp_ne_u32_e32 vcc, 0, v2
                                        ; implicit-def: $vgpr40_vgpr41
                                        ; implicit-def: $vgpr1
	s_and_saveexec_b64 s[20:21], vcc
	s_xor_b64 s[20:21], exec, s[20:21]
; %bb.8019:                             ;   in Loop: Header=BB4_7295 Depth=2
	v_cmp_lt_u64_e32 vcc, s[58:59], v[14:15]
	v_add_u32_e32 v1, 7, v3
	v_cndmask_b32_e32 v1, v2, v1, vcc
	v_cndmask_b32_e64 v2, 0, 1, vcc
	v_lshrrev_b64 v[40:41], v2, v[14:15]
; %bb.8020:                             ;   in Loop: Header=BB4_7295 Depth=2
	s_andn2_saveexec_b64 s[20:21], s[20:21]
; %bb.8021:                             ;   in Loop: Header=BB4_7295 Depth=2
	v_mov_b32_e32 v41, v15
	v_bfe_u32 v1, v14, 23, 1
	v_mov_b32_e32 v40, v14
; %bb.8022:                             ;   in Loop: Header=BB4_7295 Depth=2
	s_or_b64 exec, exec, s[20:21]
	v_lshrrev_b64 v[2:3], 20, v[40:41]
	v_cmp_gt_i32_e32 vcc, 16, v1
	v_cndmask_b32_e32 v3, 0, v3, vcc
	v_cndmask_b32_e32 v2, 7, v2, vcc
	v_cmp_eq_u32_e32 vcc, 0, v1
	v_min_i32_e32 v1, 15, v1
	v_cmp_eq_u64_e64 s[20:21], 0, v[2:3]
	v_lshlrev_b32_e32 v1, 3, v1
	v_and_b32_e32 v1, 0xf8, v1
	v_and_or_b32 v1, v2, 7, v1
	s_and_b64 s[20:21], vcc, s[20:21]
	v_cndmask_b32_e64 v1, v1, 0, s[20:21]
	v_or_b32_e32 v62, v1, v0
.LBB4_8023:                             ;   in Loop: Header=BB4_7295 Depth=2
	s_or_b64 exec, exec, s[88:89]
                                        ; implicit-def: $vgpr0
.LBB4_8024:                             ;   in Loop: Header=BB4_7295 Depth=2
	s_andn2_saveexec_b64 s[20:21], s[78:79]
; %bb.8025:                             ;   in Loop: Header=BB4_7295 Depth=2
	v_or_b32_e32 v62, 0x7e, v0
; %bb.8026:                             ;   in Loop: Header=BB4_7295 Depth=2
	s_or_b64 exec, exec, s[20:21]
                                        ; implicit-def: $vgpr1
.LBB4_8027:                             ;   in Loop: Header=BB4_7295 Depth=2
	s_andn2_saveexec_b64 s[20:21], s[76:77]
; %bb.8028:                             ;   in Loop: Header=BB4_7295 Depth=2
	v_or_b32_sdwa v62, v1, s39 dst_sel:DWORD dst_unused:UNUSED_PAD src0_sel:BYTE_3 src1_sel:DWORD
; %bb.8029:                             ;   in Loop: Header=BB4_7295 Depth=2
	s_or_b64 exec, exec, s[20:21]
	v_lshrrev_b16_e32 v14, 8, v10
	v_cmp_ne_u16_e32 vcc, 0, v14
	v_mov_b32_e32 v0, 0
	s_and_saveexec_b64 s[20:21], vcc
	s_cbranch_execz .LBB4_8035
; %bb.8030:                             ;   in Loop: Header=BB4_7295 Depth=2
	v_cmp_ne_u16_e32 vcc, s48, v14
	v_bfrev_b32_e32 v0, 1
	s_and_saveexec_b64 s[76:77], vcc
	s_cbranch_execz .LBB4_8034
; %bb.8031:                             ;   in Loop: Header=BB4_7295 Depth=2
	v_and_b32_e32 v1, 0x7f, v14
	v_cmp_ne_u32_e32 vcc, s39, v1
	v_mov_b32_e32 v0, 0x7f800001
	s_and_saveexec_b64 s[78:79], vcc
	s_cbranch_execz .LBB4_8033
; %bb.8032:                             ;   in Loop: Header=BB4_7295 Depth=2
	v_and_b32_e32 v2, 7, v14
	v_ffbh_u32_e32 v0, v2
	v_min_u32_e32 v4, 32, v0
	v_subrev_u32_e32 v0, 28, v4
	v_lshrrev_b32_e32 v3, 3, v1
	v_cmp_gt_u32_e32 vcc, 8, v1
	v_lshlrev_b64 v[0:1], v0, v[14:15]
	v_sub_u32_e32 v1, 29, v4
	v_and_b32_e32 v0, 7, v0
	v_cndmask_b32_e32 v1, v3, v1, vcc
	v_cndmask_b32_e32 v0, v2, v0, vcc
	v_lshlrev_b32_e32 v2, 16, v10
	v_bfrev_b32_e32 v3, 60
	v_lshlrev_b32_e32 v0, 20, v0
	v_and_b32_e32 v2, 0x80000000, v2
	v_lshl_add_u32 v1, v1, 23, v3
	v_or3_b32 v0, v2, v1, v0
.LBB4_8033:                             ;   in Loop: Header=BB4_7295 Depth=2
	s_or_b64 exec, exec, s[78:79]
.LBB4_8034:                             ;   in Loop: Header=BB4_7295 Depth=2
	s_or_b64 exec, exec, s[76:77]
.LBB4_8035:                             ;   in Loop: Header=BB4_7295 Depth=2
	s_or_b64 exec, exec, s[20:21]
	v_mul_f32_e32 v1, v61, v0
	v_and_b32_e32 v14, 0x7f800000, v1
	v_cmp_ne_u64_e32 vcc, s[46:47], v[14:15]
                                        ; implicit-def: $vgpr22
	s_and_saveexec_b64 s[20:21], vcc
	s_xor_b64 s[76:77], exec, s[20:21]
	s_cbranch_execz .LBB4_8049
; %bb.8036:                             ;   in Loop: Header=BB4_7295 Depth=2
	v_and_b32_e32 v14, 0x7fffffff, v1
	v_cmp_gt_u64_e32 vcc, s[56:57], v[14:15]
	v_and_b32_sdwa v0, v1, s48 dst_sel:DWORD dst_unused:UNUSED_PAD src0_sel:BYTE_3 src1_sel:DWORD
                                        ; implicit-def: $vgpr22
	s_and_saveexec_b64 s[20:21], vcc
	s_xor_b64 s[78:79], exec, s[20:21]
	s_cbranch_execz .LBB4_8046
; %bb.8037:                             ;   in Loop: Header=BB4_7295 Depth=2
	v_mov_b32_e32 v22, 0
	v_cmp_ne_u32_e32 vcc, 0, v1
	s_and_saveexec_b64 s[88:89], vcc
	s_cbranch_execz .LBB4_8045
; %bb.8038:                             ;   in Loop: Header=BB4_7295 Depth=2
	v_and_b32_e32 v3, 0x7fffff, v1
	v_bfe_u32 v1, v1, 23, 8
	v_cmp_gt_u32_e64 s[20:21], s49, v1
	v_sub_u32_e32 v2, 0x79, v1
	v_cmp_eq_u32_e32 vcc, 0, v1
	v_cndmask_b32_e64 v2, 0, v2, s[20:21]
	v_or_b32_e32 v4, 0x800000, v3
	v_cndmask_b32_e32 v2, v2, v47, vcc
	v_cndmask_b32_e32 v14, v4, v3, vcc
	v_add_u32_e32 v3, 20, v2
	v_lshlrev_b64 v[3:4], v3, -1
	v_add_u32_e32 v5, 19, v2
	v_lshlrev_b64 v[18:19], v5, 1
	v_lshrrev_b64 v[40:41], v2, v[14:15]
	v_bfi_b32 v4, v4, 0, 0
	v_bfi_b32 v3, v3, 0, v14
	v_cmp_eq_u64_e64 s[20:21], v[3:4], v[18:19]
	v_mov_b32_e32 v42, v41
	v_mov_b32_e32 v41, v40
	s_and_saveexec_b64 s[90:91], s[20:21]
; %bb.8039:                             ;   in Loop: Header=BB4_7295 Depth=2
	v_bfe_u32 v3, v40, 20, 1
	v_add_co_u32_e64 v3, s[20:21], v40, v3
	v_add_co_u32_e64 v41, s[20:21], -1, v3
; %bb.8040:                             ;   in Loop: Header=BB4_7295 Depth=2
	s_or_b64 exec, exec, s[90:91]
	v_add_u32_e32 v1, 0xffffff81, v1
	v_cndmask_b32_e32 v1, v1, v44, vcc
	v_lshrrev_b32_e32 v3, 23, v40
	v_add3_u32 v3, v2, v1, v3
	v_add_u32_e32 v2, 6, v3
	v_and_b32_e32 v1, 0xfffff, v41
	v_add_u32_e32 v14, v1, v40
	v_cmp_ne_u32_e32 vcc, 0, v2
                                        ; implicit-def: $vgpr40_vgpr41
                                        ; implicit-def: $vgpr1
	s_and_saveexec_b64 s[20:21], vcc
	s_xor_b64 s[20:21], exec, s[20:21]
; %bb.8041:                             ;   in Loop: Header=BB4_7295 Depth=2
	v_cmp_lt_u64_e32 vcc, s[58:59], v[14:15]
	v_add_u32_e32 v1, 7, v3
	v_cndmask_b32_e32 v1, v2, v1, vcc
	v_cndmask_b32_e64 v2, 0, 1, vcc
	v_lshrrev_b64 v[40:41], v2, v[14:15]
; %bb.8042:                             ;   in Loop: Header=BB4_7295 Depth=2
	s_andn2_saveexec_b64 s[20:21], s[20:21]
; %bb.8043:                             ;   in Loop: Header=BB4_7295 Depth=2
	v_mov_b32_e32 v41, v15
	v_bfe_u32 v1, v14, 23, 1
	v_mov_b32_e32 v40, v14
; %bb.8044:                             ;   in Loop: Header=BB4_7295 Depth=2
	s_or_b64 exec, exec, s[20:21]
	v_lshrrev_b64 v[2:3], 20, v[40:41]
	v_cmp_gt_i32_e32 vcc, 16, v1
	v_cndmask_b32_e32 v3, 0, v3, vcc
	v_cndmask_b32_e32 v2, 7, v2, vcc
	v_cmp_eq_u32_e32 vcc, 0, v1
	v_min_i32_e32 v1, 15, v1
	v_cmp_eq_u64_e64 s[20:21], 0, v[2:3]
	v_lshlrev_b32_e32 v1, 3, v1
	v_and_b32_e32 v1, 0xf8, v1
	v_and_or_b32 v1, v2, 7, v1
	s_and_b64 s[20:21], vcc, s[20:21]
	v_cndmask_b32_e64 v1, v1, 0, s[20:21]
	v_or_b32_e32 v22, v1, v0
.LBB4_8045:                             ;   in Loop: Header=BB4_7295 Depth=2
	s_or_b64 exec, exec, s[88:89]
                                        ; implicit-def: $vgpr0
.LBB4_8046:                             ;   in Loop: Header=BB4_7295 Depth=2
	s_andn2_saveexec_b64 s[20:21], s[78:79]
; %bb.8047:                             ;   in Loop: Header=BB4_7295 Depth=2
	v_or_b32_e32 v22, 0x7e, v0
; %bb.8048:                             ;   in Loop: Header=BB4_7295 Depth=2
	s_or_b64 exec, exec, s[20:21]
                                        ; implicit-def: $vgpr1
.LBB4_8049:                             ;   in Loop: Header=BB4_7295 Depth=2
	s_andn2_saveexec_b64 s[20:21], s[76:77]
; %bb.8050:                             ;   in Loop: Header=BB4_7295 Depth=2
	v_or_b32_sdwa v22, v1, s39 dst_sel:DWORD dst_unused:UNUSED_PAD src0_sel:BYTE_3 src1_sel:DWORD
; %bb.8051:                             ;   in Loop: Header=BB4_7295 Depth=2
	s_or_b64 exec, exec, s[20:21]
	v_lshrrev_b32_e32 v14, 16, v10
	v_cmp_ne_u16_sdwa s[76:77], v14, v15 src0_sel:BYTE_0 src1_sel:DWORD
	v_mov_b32_e32 v0, 0
	s_and_saveexec_b64 s[20:21], s[76:77]
	s_cbranch_execz .LBB4_8057
; %bb.8052:                             ;   in Loop: Header=BB4_7295 Depth=2
	v_cmp_ne_u16_sdwa s[78:79], v14, s48 src0_sel:BYTE_0 src1_sel:DWORD
	v_bfrev_b32_e32 v0, 1
	s_and_saveexec_b64 s[76:77], s[78:79]
	s_cbranch_execz .LBB4_8056
; %bb.8053:                             ;   in Loop: Header=BB4_7295 Depth=2
	v_bfe_u32 v1, v10, 16, 7
	v_cmp_ne_u32_e32 vcc, s39, v1
	v_mov_b32_e32 v0, 0x7f800001
	s_and_saveexec_b64 s[78:79], vcc
	s_cbranch_execz .LBB4_8055
; %bb.8054:                             ;   in Loop: Header=BB4_7295 Depth=2
	v_and_b32_e32 v2, 7, v14
	v_ffbh_u32_e32 v0, v2
	v_min_u32_e32 v4, 32, v0
	v_subrev_u32_e32 v0, 28, v4
	v_lshrrev_b32_e32 v3, 3, v1
	v_cmp_gt_u32_e32 vcc, 8, v1
	v_lshlrev_b64 v[0:1], v0, v[14:15]
	v_sub_u32_e32 v1, 29, v4
	v_and_b32_e32 v0, 7, v0
	v_cndmask_b32_e32 v1, v3, v1, vcc
	v_cndmask_b32_e32 v0, v2, v0, vcc
	v_lshlrev_b32_e32 v2, 24, v14
	v_bfrev_b32_e32 v3, 60
	v_lshlrev_b32_e32 v0, 20, v0
	v_and_b32_e32 v2, 0x80000000, v2
	v_lshl_add_u32 v1, v1, 23, v3
	v_or3_b32 v0, v2, v1, v0
.LBB4_8055:                             ;   in Loop: Header=BB4_7295 Depth=2
	s_or_b64 exec, exec, s[78:79]
.LBB4_8056:                             ;   in Loop: Header=BB4_7295 Depth=2
	s_or_b64 exec, exec, s[76:77]
.LBB4_8057:                             ;   in Loop: Header=BB4_7295 Depth=2
	s_or_b64 exec, exec, s[20:21]
	v_mul_f32_e32 v1, v61, v0
	v_and_b32_e32 v14, 0x7f800000, v1
	v_cmp_ne_u64_e32 vcc, s[46:47], v[14:15]
                                        ; implicit-def: $vgpr23
	s_and_saveexec_b64 s[20:21], vcc
	s_xor_b64 s[76:77], exec, s[20:21]
	s_cbranch_execz .LBB4_8071
; %bb.8058:                             ;   in Loop: Header=BB4_7295 Depth=2
	v_and_b32_e32 v14, 0x7fffffff, v1
	v_cmp_gt_u64_e32 vcc, s[56:57], v[14:15]
	v_and_b32_sdwa v0, v1, s48 dst_sel:DWORD dst_unused:UNUSED_PAD src0_sel:BYTE_3 src1_sel:DWORD
                                        ; implicit-def: $vgpr23
	s_and_saveexec_b64 s[20:21], vcc
	s_xor_b64 s[78:79], exec, s[20:21]
	s_cbranch_execz .LBB4_8068
; %bb.8059:                             ;   in Loop: Header=BB4_7295 Depth=2
	v_mov_b32_e32 v23, 0
	v_cmp_ne_u32_e32 vcc, 0, v1
	s_and_saveexec_b64 s[88:89], vcc
	s_cbranch_execz .LBB4_8067
; %bb.8060:                             ;   in Loop: Header=BB4_7295 Depth=2
	v_and_b32_e32 v3, 0x7fffff, v1
	v_bfe_u32 v1, v1, 23, 8
	v_cmp_gt_u32_e64 s[20:21], s49, v1
	v_sub_u32_e32 v2, 0x79, v1
	v_cmp_eq_u32_e32 vcc, 0, v1
	v_cndmask_b32_e64 v2, 0, v2, s[20:21]
	v_or_b32_e32 v4, 0x800000, v3
	v_cndmask_b32_e32 v2, v2, v47, vcc
	v_cndmask_b32_e32 v14, v4, v3, vcc
	v_add_u32_e32 v3, 20, v2
	v_lshlrev_b64 v[3:4], v3, -1
	v_add_u32_e32 v5, 19, v2
	v_lshlrev_b64 v[18:19], v5, 1
	v_lshrrev_b64 v[40:41], v2, v[14:15]
	v_bfi_b32 v4, v4, 0, 0
	v_bfi_b32 v3, v3, 0, v14
	v_cmp_eq_u64_e64 s[20:21], v[3:4], v[18:19]
	v_mov_b32_e32 v42, v41
	v_mov_b32_e32 v41, v40
	s_and_saveexec_b64 s[90:91], s[20:21]
; %bb.8061:                             ;   in Loop: Header=BB4_7295 Depth=2
	v_bfe_u32 v3, v40, 20, 1
	v_add_co_u32_e64 v3, s[20:21], v40, v3
	v_add_co_u32_e64 v41, s[20:21], -1, v3
; %bb.8062:                             ;   in Loop: Header=BB4_7295 Depth=2
	s_or_b64 exec, exec, s[90:91]
	v_add_u32_e32 v1, 0xffffff81, v1
	v_cndmask_b32_e32 v1, v1, v44, vcc
	v_lshrrev_b32_e32 v3, 23, v40
	v_add3_u32 v3, v2, v1, v3
	v_add_u32_e32 v2, 6, v3
	v_and_b32_e32 v1, 0xfffff, v41
	v_add_u32_e32 v14, v1, v40
	v_cmp_ne_u32_e32 vcc, 0, v2
                                        ; implicit-def: $vgpr40_vgpr41
                                        ; implicit-def: $vgpr1
	s_and_saveexec_b64 s[20:21], vcc
	s_xor_b64 s[20:21], exec, s[20:21]
; %bb.8063:                             ;   in Loop: Header=BB4_7295 Depth=2
	v_cmp_lt_u64_e32 vcc, s[58:59], v[14:15]
	v_add_u32_e32 v1, 7, v3
	v_cndmask_b32_e32 v1, v2, v1, vcc
	v_cndmask_b32_e64 v2, 0, 1, vcc
	v_lshrrev_b64 v[40:41], v2, v[14:15]
; %bb.8064:                             ;   in Loop: Header=BB4_7295 Depth=2
	s_andn2_saveexec_b64 s[20:21], s[20:21]
; %bb.8065:                             ;   in Loop: Header=BB4_7295 Depth=2
	v_mov_b32_e32 v41, v15
	v_bfe_u32 v1, v14, 23, 1
	v_mov_b32_e32 v40, v14
; %bb.8066:                             ;   in Loop: Header=BB4_7295 Depth=2
	s_or_b64 exec, exec, s[20:21]
	v_lshrrev_b64 v[2:3], 20, v[40:41]
	v_cmp_gt_i32_e32 vcc, 16, v1
	v_cndmask_b32_e32 v3, 0, v3, vcc
	v_cndmask_b32_e32 v2, 7, v2, vcc
	v_cmp_eq_u32_e32 vcc, 0, v1
	v_min_i32_e32 v1, 15, v1
	v_cmp_eq_u64_e64 s[20:21], 0, v[2:3]
	v_lshlrev_b32_e32 v1, 3, v1
	v_and_b32_e32 v1, 0xf8, v1
	v_and_or_b32 v1, v2, 7, v1
	s_and_b64 s[20:21], vcc, s[20:21]
	v_cndmask_b32_e64 v1, v1, 0, s[20:21]
	v_or_b32_e32 v23, v1, v0
.LBB4_8067:                             ;   in Loop: Header=BB4_7295 Depth=2
	s_or_b64 exec, exec, s[88:89]
                                        ; implicit-def: $vgpr0
.LBB4_8068:                             ;   in Loop: Header=BB4_7295 Depth=2
	s_andn2_saveexec_b64 s[20:21], s[78:79]
; %bb.8069:                             ;   in Loop: Header=BB4_7295 Depth=2
	v_or_b32_e32 v23, 0x7e, v0
; %bb.8070:                             ;   in Loop: Header=BB4_7295 Depth=2
	s_or_b64 exec, exec, s[20:21]
                                        ; implicit-def: $vgpr1
.LBB4_8071:                             ;   in Loop: Header=BB4_7295 Depth=2
	s_andn2_saveexec_b64 s[20:21], s[76:77]
; %bb.8072:                             ;   in Loop: Header=BB4_7295 Depth=2
	v_or_b32_sdwa v23, v1, s39 dst_sel:DWORD dst_unused:UNUSED_PAD src0_sel:BYTE_3 src1_sel:DWORD
; %bb.8073:                             ;   in Loop: Header=BB4_7295 Depth=2
	s_or_b64 exec, exec, s[20:21]
	v_cmp_lt_u32_e32 vcc, s61, v10
	v_mov_b32_e32 v0, 0
	s_and_saveexec_b64 s[20:21], vcc
	s_cbranch_execz .LBB4_8079
; %bb.8074:                             ;   in Loop: Header=BB4_7295 Depth=2
	v_lshrrev_b32_e32 v14, 24, v10
	v_cmp_ne_u32_e32 vcc, s48, v14
	v_bfrev_b32_e32 v0, 1
	s_and_saveexec_b64 s[76:77], vcc
	s_cbranch_execz .LBB4_8078
; %bb.8075:                             ;   in Loop: Header=BB4_7295 Depth=2
	v_bfe_u32 v1, v10, 24, 7
	v_cmp_ne_u32_e32 vcc, s39, v1
	v_mov_b32_e32 v0, 0x7f800001
	s_and_saveexec_b64 s[78:79], vcc
	s_cbranch_execz .LBB4_8077
; %bb.8076:                             ;   in Loop: Header=BB4_7295 Depth=2
	v_and_b32_e32 v2, 7, v14
	v_ffbh_u32_e32 v0, v2
	v_min_u32_e32 v4, 32, v0
	v_subrev_u32_e32 v0, 28, v4
	v_lshrrev_b32_e32 v3, 3, v1
	v_cmp_gt_u32_e32 vcc, 8, v1
	v_lshlrev_b64 v[0:1], v0, v[14:15]
	v_sub_u32_e32 v1, 29, v4
	v_and_b32_e32 v0, 7, v0
	v_cndmask_b32_e32 v1, v3, v1, vcc
	v_cndmask_b32_e32 v0, v2, v0, vcc
	v_lshlrev_b32_e32 v2, 24, v14
	v_bfrev_b32_e32 v3, 60
	v_lshlrev_b32_e32 v0, 20, v0
	v_and_b32_e32 v2, 0x80000000, v2
	v_lshl_add_u32 v1, v1, 23, v3
	v_or3_b32 v0, v2, v1, v0
.LBB4_8077:                             ;   in Loop: Header=BB4_7295 Depth=2
	s_or_b64 exec, exec, s[78:79]
.LBB4_8078:                             ;   in Loop: Header=BB4_7295 Depth=2
	s_or_b64 exec, exec, s[76:77]
.LBB4_8079:                             ;   in Loop: Header=BB4_7295 Depth=2
	s_or_b64 exec, exec, s[20:21]
	v_mul_f32_e32 v1, v61, v0
	v_and_b32_e32 v14, 0x7f800000, v1
	v_cmp_ne_u64_e32 vcc, s[46:47], v[14:15]
                                        ; implicit-def: $vgpr46
	s_and_saveexec_b64 s[20:21], vcc
	s_xor_b64 s[76:77], exec, s[20:21]
	s_cbranch_execz .LBB4_8093
; %bb.8080:                             ;   in Loop: Header=BB4_7295 Depth=2
	v_and_b32_e32 v14, 0x7fffffff, v1
	v_cmp_gt_u64_e32 vcc, s[56:57], v[14:15]
	v_and_b32_sdwa v0, v1, s48 dst_sel:DWORD dst_unused:UNUSED_PAD src0_sel:BYTE_3 src1_sel:DWORD
                                        ; implicit-def: $vgpr46
	s_and_saveexec_b64 s[20:21], vcc
	s_xor_b64 s[78:79], exec, s[20:21]
	s_cbranch_execz .LBB4_8090
; %bb.8081:                             ;   in Loop: Header=BB4_7295 Depth=2
	v_mov_b32_e32 v46, 0
	v_cmp_ne_u32_e32 vcc, 0, v1
	s_and_saveexec_b64 s[88:89], vcc
	s_cbranch_execz .LBB4_8089
; %bb.8082:                             ;   in Loop: Header=BB4_7295 Depth=2
	v_and_b32_e32 v3, 0x7fffff, v1
	v_bfe_u32 v1, v1, 23, 8
	v_cmp_gt_u32_e64 s[20:21], s49, v1
	v_sub_u32_e32 v2, 0x79, v1
	v_cmp_eq_u32_e32 vcc, 0, v1
	v_cndmask_b32_e64 v2, 0, v2, s[20:21]
	v_or_b32_e32 v4, 0x800000, v3
	v_cndmask_b32_e32 v2, v2, v47, vcc
	v_cndmask_b32_e32 v14, v4, v3, vcc
	v_add_u32_e32 v3, 20, v2
	v_lshlrev_b64 v[3:4], v3, -1
	v_add_u32_e32 v5, 19, v2
	v_lshlrev_b64 v[18:19], v5, 1
	v_lshrrev_b64 v[40:41], v2, v[14:15]
	v_bfi_b32 v4, v4, 0, 0
	v_bfi_b32 v3, v3, 0, v14
	v_cmp_eq_u64_e64 s[20:21], v[3:4], v[18:19]
	v_mov_b32_e32 v42, v41
	v_mov_b32_e32 v41, v40
	s_and_saveexec_b64 s[90:91], s[20:21]
; %bb.8083:                             ;   in Loop: Header=BB4_7295 Depth=2
	v_bfe_u32 v3, v40, 20, 1
	v_add_co_u32_e64 v3, s[20:21], v40, v3
	v_add_co_u32_e64 v41, s[20:21], -1, v3
; %bb.8084:                             ;   in Loop: Header=BB4_7295 Depth=2
	s_or_b64 exec, exec, s[90:91]
	v_add_u32_e32 v1, 0xffffff81, v1
	v_cndmask_b32_e32 v1, v1, v44, vcc
	v_lshrrev_b32_e32 v3, 23, v40
	v_add3_u32 v3, v2, v1, v3
	v_add_u32_e32 v2, 6, v3
	v_and_b32_e32 v1, 0xfffff, v41
	v_add_u32_e32 v14, v1, v40
	v_cmp_ne_u32_e32 vcc, 0, v2
                                        ; implicit-def: $vgpr40_vgpr41
                                        ; implicit-def: $vgpr1
	s_and_saveexec_b64 s[20:21], vcc
	s_xor_b64 s[20:21], exec, s[20:21]
; %bb.8085:                             ;   in Loop: Header=BB4_7295 Depth=2
	v_cmp_lt_u64_e32 vcc, s[58:59], v[14:15]
	v_add_u32_e32 v1, 7, v3
	v_cndmask_b32_e32 v1, v2, v1, vcc
	v_cndmask_b32_e64 v2, 0, 1, vcc
	v_lshrrev_b64 v[40:41], v2, v[14:15]
; %bb.8086:                             ;   in Loop: Header=BB4_7295 Depth=2
	s_andn2_saveexec_b64 s[20:21], s[20:21]
; %bb.8087:                             ;   in Loop: Header=BB4_7295 Depth=2
	v_mov_b32_e32 v41, v15
	v_bfe_u32 v1, v14, 23, 1
	v_mov_b32_e32 v40, v14
; %bb.8088:                             ;   in Loop: Header=BB4_7295 Depth=2
	s_or_b64 exec, exec, s[20:21]
	v_lshrrev_b64 v[2:3], 20, v[40:41]
	v_cmp_gt_i32_e32 vcc, 16, v1
	v_cndmask_b32_e32 v3, 0, v3, vcc
	v_cndmask_b32_e32 v2, 7, v2, vcc
	v_cmp_eq_u32_e32 vcc, 0, v1
	v_min_i32_e32 v1, 15, v1
	v_cmp_eq_u64_e64 s[20:21], 0, v[2:3]
	v_lshlrev_b32_e32 v1, 3, v1
	v_and_b32_e32 v1, 0xf8, v1
	v_and_or_b32 v1, v2, 7, v1
	s_and_b64 s[20:21], vcc, s[20:21]
	v_cndmask_b32_e64 v1, v1, 0, s[20:21]
	v_or_b32_e32 v46, v1, v0
.LBB4_8089:                             ;   in Loop: Header=BB4_7295 Depth=2
	s_or_b64 exec, exec, s[88:89]
                                        ; implicit-def: $vgpr0
.LBB4_8090:                             ;   in Loop: Header=BB4_7295 Depth=2
	s_andn2_saveexec_b64 s[20:21], s[78:79]
; %bb.8091:                             ;   in Loop: Header=BB4_7295 Depth=2
	v_or_b32_e32 v46, 0x7e, v0
; %bb.8092:                             ;   in Loop: Header=BB4_7295 Depth=2
	s_or_b64 exec, exec, s[20:21]
                                        ; implicit-def: $vgpr1
.LBB4_8093:                             ;   in Loop: Header=BB4_7295 Depth=2
	s_andn2_saveexec_b64 s[20:21], s[76:77]
; %bb.8094:                             ;   in Loop: Header=BB4_7295 Depth=2
	v_or_b32_sdwa v46, v1, s39 dst_sel:DWORD dst_unused:UNUSED_PAD src0_sel:BYTE_3 src1_sel:DWORD
; %bb.8095:                             ;   in Loop: Header=BB4_7295 Depth=2
	s_or_b64 exec, exec, s[20:21]
	v_mov_b32_e32 v14, v11
	v_cmp_ne_u16_sdwa s[76:77], v11, v15 src0_sel:BYTE_0 src1_sel:DWORD
	v_mov_b32_e32 v0, 0
	s_and_saveexec_b64 s[20:21], s[76:77]
	s_cbranch_execz .LBB4_8101
; %bb.8096:                             ;   in Loop: Header=BB4_7295 Depth=2
	v_cmp_ne_u16_sdwa s[78:79], v11, s48 src0_sel:BYTE_0 src1_sel:DWORD
	v_bfrev_b32_e32 v0, 1
	s_and_saveexec_b64 s[76:77], s[78:79]
	s_cbranch_execz .LBB4_8100
; %bb.8097:                             ;   in Loop: Header=BB4_7295 Depth=2
	v_and_b32_e32 v1, 0x7f, v11
	v_cmp_ne_u32_e32 vcc, s39, v1
	v_mov_b32_e32 v0, 0x7f800001
	s_and_saveexec_b64 s[78:79], vcc
	s_cbranch_execz .LBB4_8099
; %bb.8098:                             ;   in Loop: Header=BB4_7295 Depth=2
	v_and_b32_e32 v0, 7, v11
	v_ffbh_u32_e32 v0, v0
	v_min_u32_e32 v0, 32, v0
	v_lshrrev_b32_e32 v2, 3, v1
	v_cmp_gt_u32_e32 vcc, 8, v1
	v_subrev_u32_e32 v1, 28, v0
	v_sub_u32_e32 v0, 29, v0
	v_cndmask_b32_e32 v2, v2, v0, vcc
	v_cndmask_b32_e32 v0, 0, v1, vcc
	v_lshlrev_b64 v[0:1], v0, v[14:15]
	v_lshlrev_b32_e32 v1, 24, v14
	v_lshlrev_b32_e32 v0, 20, v0
	v_bfrev_b32_e32 v3, 60
	v_and_b32_e32 v0, 0x700000, v0
	v_and_b32_e32 v1, 0x80000000, v1
	v_lshl_add_u32 v2, v2, 23, v3
	v_or3_b32 v0, v1, v2, v0
.LBB4_8099:                             ;   in Loop: Header=BB4_7295 Depth=2
	s_or_b64 exec, exec, s[78:79]
.LBB4_8100:                             ;   in Loop: Header=BB4_7295 Depth=2
	s_or_b64 exec, exec, s[76:77]
.LBB4_8101:                             ;   in Loop: Header=BB4_7295 Depth=2
	s_or_b64 exec, exec, s[20:21]
	v_mul_f32_e32 v1, v61, v0
	v_and_b32_e32 v2, 0x7f800000, v1
	v_mov_b32_e32 v3, v15
	v_cmp_ne_u64_e32 vcc, s[46:47], v[2:3]
                                        ; implicit-def: $vgpr20
	s_and_saveexec_b64 s[20:21], vcc
	s_xor_b64 s[76:77], exec, s[20:21]
	s_cbranch_execz .LBB4_8115
; %bb.8102:                             ;   in Loop: Header=BB4_7295 Depth=2
	v_and_b32_e32 v2, 0x7fffffff, v1
	v_mov_b32_e32 v3, v15
	v_cmp_gt_u64_e32 vcc, s[56:57], v[2:3]
	v_and_b32_sdwa v0, v1, s48 dst_sel:DWORD dst_unused:UNUSED_PAD src0_sel:BYTE_3 src1_sel:DWORD
                                        ; implicit-def: $vgpr20
	s_and_saveexec_b64 s[20:21], vcc
	s_xor_b64 s[78:79], exec, s[20:21]
	s_cbranch_execz .LBB4_8112
; %bb.8103:                             ;   in Loop: Header=BB4_7295 Depth=2
	v_mov_b32_e32 v20, 0
	v_cmp_ne_u32_e32 vcc, 0, v1
	s_and_saveexec_b64 s[88:89], vcc
	s_cbranch_execz .LBB4_8111
; %bb.8104:                             ;   in Loop: Header=BB4_7295 Depth=2
	v_and_b32_e32 v3, 0x7fffff, v1
	v_bfe_u32 v1, v1, 23, 8
	v_cmp_gt_u32_e64 s[20:21], s49, v1
	v_sub_u32_e32 v2, 0x79, v1
	v_cmp_eq_u32_e32 vcc, 0, v1
	v_cndmask_b32_e64 v2, 0, v2, s[20:21]
	v_cndmask_b32_e32 v2, v2, v47, vcc
	v_or_b32_e32 v4, 0x800000, v3
	v_add_u32_e32 v5, 20, v2
	v_cndmask_b32_e32 v3, v4, v3, vcc
	v_mov_b32_e32 v4, v15
	v_lshlrev_b64 v[18:19], v5, -1
	v_add_u32_e32 v5, 19, v2
	v_lshlrev_b64 v[20:21], v5, 1
	v_lshrrev_b64 v[40:41], v2, v[3:4]
	v_bfi_b32 v19, v19, 0, 0
	v_bfi_b32 v18, v18, 0, v3
	v_cmp_eq_u64_e64 s[20:21], v[18:19], v[20:21]
	v_mov_b32_e32 v42, v41
	v_mov_b32_e32 v41, v40
	s_and_saveexec_b64 s[90:91], s[20:21]
; %bb.8105:                             ;   in Loop: Header=BB4_7295 Depth=2
	v_bfe_u32 v3, v40, 20, 1
	v_add_co_u32_e64 v3, s[20:21], v40, v3
	v_add_co_u32_e64 v41, s[20:21], -1, v3
; %bb.8106:                             ;   in Loop: Header=BB4_7295 Depth=2
	s_or_b64 exec, exec, s[90:91]
	v_add_u32_e32 v1, 0xffffff81, v1
	v_cndmask_b32_e32 v1, v1, v44, vcc
	v_lshrrev_b32_e32 v3, 23, v40
	v_add3_u32 v3, v2, v1, v3
	v_add_u32_e32 v2, 6, v3
	v_and_b32_e32 v1, 0xfffff, v41
	v_add_u32_e32 v40, v1, v40
	v_mov_b32_e32 v41, v15
	v_cmp_ne_u32_e32 vcc, 0, v2
                                        ; implicit-def: $vgpr1
	s_and_saveexec_b64 s[20:21], vcc
	s_xor_b64 s[20:21], exec, s[20:21]
; %bb.8107:                             ;   in Loop: Header=BB4_7295 Depth=2
	v_cmp_lt_u64_e32 vcc, s[58:59], v[40:41]
	v_add_u32_e32 v1, 7, v3
	v_cndmask_b32_e32 v1, v2, v1, vcc
	v_cndmask_b32_e64 v2, 0, 1, vcc
	v_lshrrev_b64 v[40:41], v2, v[40:41]
; %bb.8108:                             ;   in Loop: Header=BB4_7295 Depth=2
	s_andn2_saveexec_b64 s[20:21], s[20:21]
; %bb.8109:                             ;   in Loop: Header=BB4_7295 Depth=2
	v_bfe_u32 v1, v40, 23, 1
; %bb.8110:                             ;   in Loop: Header=BB4_7295 Depth=2
	s_or_b64 exec, exec, s[20:21]
	v_lshrrev_b64 v[2:3], 20, v[40:41]
	v_cmp_gt_i32_e32 vcc, 16, v1
	v_cndmask_b32_e32 v3, 0, v3, vcc
	v_cndmask_b32_e32 v2, 7, v2, vcc
	v_cmp_eq_u32_e32 vcc, 0, v1
	v_min_i32_e32 v1, 15, v1
	v_cmp_eq_u64_e64 s[20:21], 0, v[2:3]
	v_lshlrev_b32_e32 v1, 3, v1
	v_and_b32_e32 v1, 0xf8, v1
	v_and_or_b32 v1, v2, 7, v1
	s_and_b64 s[20:21], vcc, s[20:21]
	v_cndmask_b32_e64 v1, v1, 0, s[20:21]
	v_or_b32_e32 v20, v1, v0
.LBB4_8111:                             ;   in Loop: Header=BB4_7295 Depth=2
	s_or_b64 exec, exec, s[88:89]
                                        ; implicit-def: $vgpr0
.LBB4_8112:                             ;   in Loop: Header=BB4_7295 Depth=2
	s_andn2_saveexec_b64 s[20:21], s[78:79]
; %bb.8113:                             ;   in Loop: Header=BB4_7295 Depth=2
	v_or_b32_e32 v20, 0x7e, v0
; %bb.8114:                             ;   in Loop: Header=BB4_7295 Depth=2
	s_or_b64 exec, exec, s[20:21]
                                        ; implicit-def: $vgpr1
.LBB4_8115:                             ;   in Loop: Header=BB4_7295 Depth=2
	s_andn2_saveexec_b64 s[20:21], s[76:77]
; %bb.8116:                             ;   in Loop: Header=BB4_7295 Depth=2
	v_or_b32_sdwa v20, v1, s39 dst_sel:DWORD dst_unused:UNUSED_PAD src0_sel:BYTE_3 src1_sel:DWORD
; %bb.8117:                             ;   in Loop: Header=BB4_7295 Depth=2
	s_or_b64 exec, exec, s[20:21]
	v_lshrrev_b16_e32 v30, 8, v14
	v_cmp_ne_u16_e32 vcc, 0, v30
	v_mov_b32_e32 v0, 0
	s_and_saveexec_b64 s[20:21], vcc
	s_cbranch_execz .LBB4_8123
; %bb.8118:                             ;   in Loop: Header=BB4_7295 Depth=2
	v_cmp_ne_u16_e32 vcc, s48, v30
	v_bfrev_b32_e32 v0, 1
	s_and_saveexec_b64 s[76:77], vcc
	s_cbranch_execz .LBB4_8122
; %bb.8119:                             ;   in Loop: Header=BB4_7295 Depth=2
	v_and_b32_e32 v1, 0x7f, v30
	v_cmp_ne_u32_e32 vcc, s39, v1
	v_mov_b32_e32 v0, 0x7f800001
	s_and_saveexec_b64 s[78:79], vcc
	s_cbranch_execz .LBB4_8121
; %bb.8120:                             ;   in Loop: Header=BB4_7295 Depth=2
	v_and_b32_e32 v2, 7, v30
	v_ffbh_u32_e32 v0, v2
	v_min_u32_e32 v4, 32, v0
	v_subrev_u32_e32 v0, 28, v4
	v_lshrrev_b32_e32 v3, 3, v1
	v_cmp_gt_u32_e32 vcc, 8, v1
	v_lshlrev_b64 v[0:1], v0, v[30:31]
	v_sub_u32_e32 v1, 29, v4
	v_and_b32_e32 v0, 7, v0
	v_cndmask_b32_e32 v1, v3, v1, vcc
	v_cndmask_b32_e32 v0, v2, v0, vcc
	v_lshlrev_b32_e32 v2, 16, v14
	v_bfrev_b32_e32 v3, 60
	v_lshlrev_b32_e32 v0, 20, v0
	v_and_b32_e32 v2, 0x80000000, v2
	v_lshl_add_u32 v1, v1, 23, v3
	v_or3_b32 v0, v2, v1, v0
.LBB4_8121:                             ;   in Loop: Header=BB4_7295 Depth=2
	s_or_b64 exec, exec, s[78:79]
.LBB4_8122:                             ;   in Loop: Header=BB4_7295 Depth=2
	s_or_b64 exec, exec, s[76:77]
.LBB4_8123:                             ;   in Loop: Header=BB4_7295 Depth=2
	s_or_b64 exec, exec, s[20:21]
	v_mul_f32_e32 v1, v61, v0
	v_and_b32_e32 v14, 0x7f800000, v1
	v_cmp_ne_u64_e32 vcc, s[46:47], v[14:15]
                                        ; implicit-def: $vgpr3
	s_and_saveexec_b64 s[20:21], vcc
	s_xor_b64 s[76:77], exec, s[20:21]
	s_cbranch_execz .LBB4_8137
; %bb.8124:                             ;   in Loop: Header=BB4_7295 Depth=2
	v_and_b32_e32 v14, 0x7fffffff, v1
	v_cmp_gt_u64_e32 vcc, s[56:57], v[14:15]
	v_and_b32_sdwa v0, v1, s48 dst_sel:DWORD dst_unused:UNUSED_PAD src0_sel:BYTE_3 src1_sel:DWORD
                                        ; implicit-def: $vgpr3
	s_and_saveexec_b64 s[20:21], vcc
	s_xor_b64 s[78:79], exec, s[20:21]
	s_cbranch_execz .LBB4_8134
; %bb.8125:                             ;   in Loop: Header=BB4_7295 Depth=2
	v_mov_b32_e32 v3, 0
	v_cmp_ne_u32_e32 vcc, 0, v1
	s_and_saveexec_b64 s[88:89], vcc
	s_cbranch_execz .LBB4_8133
; %bb.8126:                             ;   in Loop: Header=BB4_7295 Depth=2
	v_and_b32_e32 v3, 0x7fffff, v1
	v_bfe_u32 v1, v1, 23, 8
	v_cmp_gt_u32_e64 s[20:21], s49, v1
	v_sub_u32_e32 v2, 0x79, v1
	v_cmp_eq_u32_e32 vcc, 0, v1
	v_cndmask_b32_e64 v2, 0, v2, s[20:21]
	v_or_b32_e32 v4, 0x800000, v3
	v_cndmask_b32_e32 v2, v2, v47, vcc
	v_cndmask_b32_e32 v14, v4, v3, vcc
	v_add_u32_e32 v3, 20, v2
	v_lshlrev_b64 v[3:4], v3, -1
	v_add_u32_e32 v5, 19, v2
	v_lshlrev_b64 v[18:19], v5, 1
	v_lshrrev_b64 v[40:41], v2, v[14:15]
	v_bfi_b32 v4, v4, 0, 0
	v_bfi_b32 v3, v3, 0, v14
	v_cmp_eq_u64_e64 s[20:21], v[3:4], v[18:19]
	v_mov_b32_e32 v42, v41
	v_mov_b32_e32 v41, v40
	s_and_saveexec_b64 s[90:91], s[20:21]
; %bb.8127:                             ;   in Loop: Header=BB4_7295 Depth=2
	v_bfe_u32 v3, v40, 20, 1
	v_add_co_u32_e64 v3, s[20:21], v40, v3
	v_add_co_u32_e64 v41, s[20:21], -1, v3
; %bb.8128:                             ;   in Loop: Header=BB4_7295 Depth=2
	s_or_b64 exec, exec, s[90:91]
	v_add_u32_e32 v1, 0xffffff81, v1
	v_cndmask_b32_e32 v1, v1, v44, vcc
	v_lshrrev_b32_e32 v3, 23, v40
	v_add3_u32 v3, v2, v1, v3
	v_add_u32_e32 v2, 6, v3
	v_and_b32_e32 v1, 0xfffff, v41
	v_add_u32_e32 v14, v1, v40
	v_cmp_ne_u32_e32 vcc, 0, v2
                                        ; implicit-def: $vgpr40_vgpr41
                                        ; implicit-def: $vgpr1
	s_and_saveexec_b64 s[20:21], vcc
	s_xor_b64 s[20:21], exec, s[20:21]
; %bb.8129:                             ;   in Loop: Header=BB4_7295 Depth=2
	v_cmp_lt_u64_e32 vcc, s[58:59], v[14:15]
	v_add_u32_e32 v1, 7, v3
	v_cndmask_b32_e32 v1, v2, v1, vcc
	v_cndmask_b32_e64 v2, 0, 1, vcc
	v_lshrrev_b64 v[40:41], v2, v[14:15]
; %bb.8130:                             ;   in Loop: Header=BB4_7295 Depth=2
	s_andn2_saveexec_b64 s[20:21], s[20:21]
; %bb.8131:                             ;   in Loop: Header=BB4_7295 Depth=2
	v_mov_b32_e32 v41, v15
	v_bfe_u32 v1, v14, 23, 1
	v_mov_b32_e32 v40, v14
; %bb.8132:                             ;   in Loop: Header=BB4_7295 Depth=2
	s_or_b64 exec, exec, s[20:21]
	v_lshrrev_b64 v[2:3], 20, v[40:41]
	v_cmp_gt_i32_e32 vcc, 16, v1
	v_cndmask_b32_e32 v3, 0, v3, vcc
	v_cndmask_b32_e32 v2, 7, v2, vcc
	v_cmp_eq_u32_e32 vcc, 0, v1
	v_min_i32_e32 v1, 15, v1
	v_cmp_eq_u64_e64 s[20:21], 0, v[2:3]
	v_lshlrev_b32_e32 v1, 3, v1
	v_and_b32_e32 v1, 0xf8, v1
	v_and_or_b32 v1, v2, 7, v1
	s_and_b64 s[20:21], vcc, s[20:21]
	v_cndmask_b32_e64 v1, v1, 0, s[20:21]
	v_or_b32_e32 v3, v1, v0
.LBB4_8133:                             ;   in Loop: Header=BB4_7295 Depth=2
	s_or_b64 exec, exec, s[88:89]
                                        ; implicit-def: $vgpr0
.LBB4_8134:                             ;   in Loop: Header=BB4_7295 Depth=2
	s_andn2_saveexec_b64 s[20:21], s[78:79]
; %bb.8135:                             ;   in Loop: Header=BB4_7295 Depth=2
	v_or_b32_e32 v3, 0x7e, v0
; %bb.8136:                             ;   in Loop: Header=BB4_7295 Depth=2
	s_or_b64 exec, exec, s[20:21]
                                        ; implicit-def: $vgpr1
.LBB4_8137:                             ;   in Loop: Header=BB4_7295 Depth=2
	s_andn2_saveexec_b64 s[20:21], s[76:77]
; %bb.8138:                             ;   in Loop: Header=BB4_7295 Depth=2
	v_or_b32_sdwa v3, v1, s39 dst_sel:DWORD dst_unused:UNUSED_PAD src0_sel:BYTE_3 src1_sel:DWORD
; %bb.8139:                             ;   in Loop: Header=BB4_7295 Depth=2
	s_or_b64 exec, exec, s[20:21]
	v_lshrrev_b32_e32 v14, 16, v11
	v_cmp_ne_u16_sdwa s[76:77], v14, v15 src0_sel:BYTE_0 src1_sel:DWORD
	v_mov_b32_e32 v0, 0
	s_and_saveexec_b64 s[20:21], s[76:77]
	s_cbranch_execz .LBB4_8145
; %bb.8140:                             ;   in Loop: Header=BB4_7295 Depth=2
	v_cmp_ne_u16_sdwa s[78:79], v14, s48 src0_sel:BYTE_0 src1_sel:DWORD
	v_bfrev_b32_e32 v0, 1
	s_and_saveexec_b64 s[76:77], s[78:79]
	s_cbranch_execz .LBB4_8144
; %bb.8141:                             ;   in Loop: Header=BB4_7295 Depth=2
	v_bfe_u32 v1, v11, 16, 7
	v_cmp_ne_u32_e32 vcc, s39, v1
	v_mov_b32_e32 v0, 0x7f800001
	s_and_saveexec_b64 s[78:79], vcc
	s_cbranch_execz .LBB4_8143
; %bb.8142:                             ;   in Loop: Header=BB4_7295 Depth=2
	v_and_b32_e32 v2, 7, v14
	v_ffbh_u32_e32 v0, v2
	v_min_u32_e32 v5, 32, v0
	v_subrev_u32_e32 v0, 28, v5
	v_lshrrev_b32_e32 v4, 3, v1
	v_cmp_gt_u32_e32 vcc, 8, v1
	v_lshlrev_b64 v[0:1], v0, v[14:15]
	v_sub_u32_e32 v1, 29, v5
	v_and_b32_e32 v0, 7, v0
	v_cndmask_b32_e32 v1, v4, v1, vcc
	v_cndmask_b32_e32 v0, v2, v0, vcc
	v_lshlrev_b32_e32 v2, 24, v14
	v_bfrev_b32_e32 v4, 60
	v_lshlrev_b32_e32 v0, 20, v0
	v_and_b32_e32 v2, 0x80000000, v2
	v_lshl_add_u32 v1, v1, 23, v4
	v_or3_b32 v0, v2, v1, v0
.LBB4_8143:                             ;   in Loop: Header=BB4_7295 Depth=2
	s_or_b64 exec, exec, s[78:79]
.LBB4_8144:                             ;   in Loop: Header=BB4_7295 Depth=2
	s_or_b64 exec, exec, s[76:77]
.LBB4_8145:                             ;   in Loop: Header=BB4_7295 Depth=2
	s_or_b64 exec, exec, s[20:21]
	v_mul_f32_e32 v1, v61, v0
	v_and_b32_e32 v14, 0x7f800000, v1
	v_cmp_ne_u64_e32 vcc, s[46:47], v[14:15]
                                        ; implicit-def: $vgpr42
	s_and_saveexec_b64 s[20:21], vcc
	s_xor_b64 s[76:77], exec, s[20:21]
	s_cbranch_execz .LBB4_8159
; %bb.8146:                             ;   in Loop: Header=BB4_7295 Depth=2
	v_and_b32_e32 v14, 0x7fffffff, v1
	v_cmp_gt_u64_e32 vcc, s[56:57], v[14:15]
	v_and_b32_sdwa v0, v1, s48 dst_sel:DWORD dst_unused:UNUSED_PAD src0_sel:BYTE_3 src1_sel:DWORD
                                        ; implicit-def: $vgpr42
	s_and_saveexec_b64 s[20:21], vcc
	s_xor_b64 s[78:79], exec, s[20:21]
	s_cbranch_execz .LBB4_8156
; %bb.8147:                             ;   in Loop: Header=BB4_7295 Depth=2
	v_mov_b32_e32 v42, 0
	v_cmp_ne_u32_e32 vcc, 0, v1
	s_and_saveexec_b64 s[88:89], vcc
	s_cbranch_execz .LBB4_8155
; %bb.8148:                             ;   in Loop: Header=BB4_7295 Depth=2
	v_and_b32_e32 v4, 0x7fffff, v1
	v_bfe_u32 v1, v1, 23, 8
	v_cmp_gt_u32_e64 s[20:21], s49, v1
	v_sub_u32_e32 v2, 0x79, v1
	v_cmp_eq_u32_e32 vcc, 0, v1
	v_cndmask_b32_e64 v2, 0, v2, s[20:21]
	v_or_b32_e32 v5, 0x800000, v4
	v_cndmask_b32_e32 v2, v2, v47, vcc
	v_cndmask_b32_e32 v14, v5, v4, vcc
	v_add_u32_e32 v4, 20, v2
	v_lshlrev_b64 v[4:5], v4, -1
	v_add_u32_e32 v18, 19, v2
	v_lshlrev_b64 v[18:19], v18, 1
	v_lshrrev_b64 v[40:41], v2, v[14:15]
	v_bfi_b32 v5, v5, 0, 0
	v_bfi_b32 v4, v4, 0, v14
	v_cmp_eq_u64_e64 s[20:21], v[4:5], v[18:19]
	v_mov_b32_e32 v42, v41
	v_mov_b32_e32 v41, v40
	s_and_saveexec_b64 s[90:91], s[20:21]
; %bb.8149:                             ;   in Loop: Header=BB4_7295 Depth=2
	v_bfe_u32 v4, v40, 20, 1
	v_add_co_u32_e64 v4, s[20:21], v40, v4
	v_add_co_u32_e64 v41, s[20:21], -1, v4
; %bb.8150:                             ;   in Loop: Header=BB4_7295 Depth=2
	s_or_b64 exec, exec, s[90:91]
	v_add_u32_e32 v1, 0xffffff81, v1
	v_cndmask_b32_e32 v1, v1, v44, vcc
	v_lshrrev_b32_e32 v4, 23, v40
	v_add3_u32 v4, v2, v1, v4
	v_add_u32_e32 v2, 6, v4
	v_and_b32_e32 v1, 0xfffff, v41
	v_add_u32_e32 v14, v1, v40
	v_cmp_ne_u32_e32 vcc, 0, v2
                                        ; implicit-def: $vgpr40_vgpr41
                                        ; implicit-def: $vgpr1
	s_and_saveexec_b64 s[20:21], vcc
	s_xor_b64 s[20:21], exec, s[20:21]
; %bb.8151:                             ;   in Loop: Header=BB4_7295 Depth=2
	v_cmp_lt_u64_e32 vcc, s[58:59], v[14:15]
	v_add_u32_e32 v1, 7, v4
	v_cndmask_b32_e32 v1, v2, v1, vcc
	v_cndmask_b32_e64 v2, 0, 1, vcc
	v_lshrrev_b64 v[40:41], v2, v[14:15]
; %bb.8152:                             ;   in Loop: Header=BB4_7295 Depth=2
	s_andn2_saveexec_b64 s[20:21], s[20:21]
; %bb.8153:                             ;   in Loop: Header=BB4_7295 Depth=2
	v_mov_b32_e32 v41, v15
	v_bfe_u32 v1, v14, 23, 1
	v_mov_b32_e32 v40, v14
; %bb.8154:                             ;   in Loop: Header=BB4_7295 Depth=2
	s_or_b64 exec, exec, s[20:21]
	v_lshrrev_b64 v[4:5], 20, v[40:41]
	v_cmp_gt_i32_e32 vcc, 16, v1
	v_cndmask_b32_e32 v5, 0, v5, vcc
	v_cndmask_b32_e32 v4, 7, v4, vcc
	v_cmp_eq_u32_e32 vcc, 0, v1
	v_min_i32_e32 v1, 15, v1
	v_cmp_eq_u64_e64 s[20:21], 0, v[4:5]
	v_lshlrev_b32_e32 v1, 3, v1
	v_and_b32_e32 v1, 0xf8, v1
	v_and_or_b32 v1, v4, 7, v1
	s_and_b64 s[20:21], vcc, s[20:21]
	v_cndmask_b32_e64 v1, v1, 0, s[20:21]
	v_or_b32_e32 v42, v1, v0
.LBB4_8155:                             ;   in Loop: Header=BB4_7295 Depth=2
	s_or_b64 exec, exec, s[88:89]
                                        ; implicit-def: $vgpr0
.LBB4_8156:                             ;   in Loop: Header=BB4_7295 Depth=2
	s_andn2_saveexec_b64 s[20:21], s[78:79]
; %bb.8157:                             ;   in Loop: Header=BB4_7295 Depth=2
	v_or_b32_e32 v42, 0x7e, v0
; %bb.8158:                             ;   in Loop: Header=BB4_7295 Depth=2
	s_or_b64 exec, exec, s[20:21]
                                        ; implicit-def: $vgpr1
.LBB4_8159:                             ;   in Loop: Header=BB4_7295 Depth=2
	s_andn2_saveexec_b64 s[20:21], s[76:77]
; %bb.8160:                             ;   in Loop: Header=BB4_7295 Depth=2
	v_or_b32_sdwa v42, v1, s39 dst_sel:DWORD dst_unused:UNUSED_PAD src0_sel:BYTE_3 src1_sel:DWORD
; %bb.8161:                             ;   in Loop: Header=BB4_7295 Depth=2
	s_or_b64 exec, exec, s[20:21]
	v_cmp_lt_u64_e32 vcc, s[60:61], v[10:11]
	v_mov_b32_e32 v0, 0
	s_and_saveexec_b64 s[20:21], vcc
	s_cbranch_execz .LBB4_8167
; %bb.8162:                             ;   in Loop: Header=BB4_7295 Depth=2
	v_lshrrev_b32_e32 v10, 24, v11
	v_cmp_ne_u32_e32 vcc, s48, v10
	v_bfrev_b32_e32 v0, 1
	s_and_saveexec_b64 s[76:77], vcc
	s_cbranch_execz .LBB4_8166
; %bb.8163:                             ;   in Loop: Header=BB4_7295 Depth=2
	v_bfe_u32 v1, v11, 24, 7
	v_cmp_ne_u32_e32 vcc, s39, v1
	v_mov_b32_e32 v0, 0x7f800001
	s_and_saveexec_b64 s[78:79], vcc
	s_cbranch_execz .LBB4_8165
; %bb.8164:                             ;   in Loop: Header=BB4_7295 Depth=2
	v_and_b32_e32 v2, 7, v10
	v_ffbh_u32_e32 v0, v2
	v_min_u32_e32 v5, 32, v0
	v_subrev_u32_e32 v0, 28, v5
	v_lshrrev_b32_e32 v4, 3, v1
	v_cmp_gt_u32_e32 vcc, 8, v1
	v_lshlrev_b64 v[0:1], v0, v[10:11]
	v_sub_u32_e32 v1, 29, v5
	v_and_b32_e32 v0, 7, v0
	v_cndmask_b32_e32 v1, v4, v1, vcc
	v_cndmask_b32_e32 v0, v2, v0, vcc
	v_lshlrev_b32_e32 v2, 24, v10
	v_bfrev_b32_e32 v4, 60
	v_lshlrev_b32_e32 v0, 20, v0
	v_and_b32_e32 v2, 0x80000000, v2
	v_lshl_add_u32 v1, v1, 23, v4
	v_or3_b32 v0, v2, v1, v0
.LBB4_8165:                             ;   in Loop: Header=BB4_7295 Depth=2
	s_or_b64 exec, exec, s[78:79]
.LBB4_8166:                             ;   in Loop: Header=BB4_7295 Depth=2
	s_or_b64 exec, exec, s[76:77]
.LBB4_8167:                             ;   in Loop: Header=BB4_7295 Depth=2
	s_or_b64 exec, exec, s[20:21]
	v_mul_f32_e32 v1, v61, v0
	v_and_b32_e32 v14, 0x7f800000, v1
	v_cmp_ne_u64_e32 vcc, s[46:47], v[14:15]
                                        ; implicit-def: $vgpr45
	s_and_saveexec_b64 s[20:21], vcc
	s_xor_b64 s[76:77], exec, s[20:21]
	s_cbranch_execz .LBB4_8181
; %bb.8168:                             ;   in Loop: Header=BB4_7295 Depth=2
	v_and_b32_e32 v14, 0x7fffffff, v1
	v_cmp_gt_u64_e32 vcc, s[56:57], v[14:15]
	v_and_b32_sdwa v0, v1, s48 dst_sel:DWORD dst_unused:UNUSED_PAD src0_sel:BYTE_3 src1_sel:DWORD
                                        ; implicit-def: $vgpr45
	s_and_saveexec_b64 s[20:21], vcc
	s_xor_b64 s[78:79], exec, s[20:21]
	s_cbranch_execz .LBB4_8178
; %bb.8169:                             ;   in Loop: Header=BB4_7295 Depth=2
	v_mov_b32_e32 v45, 0
	v_cmp_ne_u32_e32 vcc, 0, v1
	s_and_saveexec_b64 s[88:89], vcc
	s_cbranch_execz .LBB4_8177
; %bb.8170:                             ;   in Loop: Header=BB4_7295 Depth=2
	v_and_b32_e32 v4, 0x7fffff, v1
	v_bfe_u32 v1, v1, 23, 8
	v_cmp_gt_u32_e64 s[20:21], s49, v1
	v_sub_u32_e32 v2, 0x79, v1
	v_cmp_eq_u32_e32 vcc, 0, v1
	v_cndmask_b32_e64 v2, 0, v2, s[20:21]
	v_or_b32_e32 v5, 0x800000, v4
	v_cndmask_b32_e32 v2, v2, v47, vcc
	v_cndmask_b32_e32 v14, v5, v4, vcc
	v_add_u32_e32 v4, 20, v2
	v_lshlrev_b64 v[4:5], v4, -1
	v_add_u32_e32 v10, 19, v2
	v_lshlrev_b64 v[10:11], v10, 1
	v_bfi_b32 v5, v5, 0, 0
	v_bfi_b32 v4, v4, 0, v14
	v_cmp_eq_u64_e64 s[20:21], v[4:5], v[10:11]
	v_lshrrev_b64 v[10:11], v2, v[14:15]
	v_mov_b32_e32 v41, v11
	v_mov_b32_e32 v40, v10
	s_and_saveexec_b64 s[90:91], s[20:21]
; %bb.8171:                             ;   in Loop: Header=BB4_7295 Depth=2
	v_bfe_u32 v4, v10, 20, 1
	v_add_co_u32_e64 v4, s[20:21], v10, v4
	v_add_co_u32_e64 v40, s[20:21], -1, v4
; %bb.8172:                             ;   in Loop: Header=BB4_7295 Depth=2
	s_or_b64 exec, exec, s[90:91]
	v_add_u32_e32 v1, 0xffffff81, v1
	v_cndmask_b32_e32 v1, v1, v44, vcc
	v_lshrrev_b32_e32 v4, 23, v10
	v_add3_u32 v4, v2, v1, v4
	v_add_u32_e32 v2, 6, v4
	v_and_b32_e32 v1, 0xfffff, v40
	v_add_u32_e32 v14, v1, v10
	v_cmp_ne_u32_e32 vcc, 0, v2
                                        ; implicit-def: $vgpr10_vgpr11
                                        ; implicit-def: $vgpr1
	s_and_saveexec_b64 s[20:21], vcc
	s_xor_b64 s[20:21], exec, s[20:21]
; %bb.8173:                             ;   in Loop: Header=BB4_7295 Depth=2
	v_cmp_lt_u64_e32 vcc, s[58:59], v[14:15]
	v_add_u32_e32 v1, 7, v4
	v_cndmask_b32_e32 v1, v2, v1, vcc
	v_cndmask_b32_e64 v2, 0, 1, vcc
	v_lshrrev_b64 v[10:11], v2, v[14:15]
; %bb.8174:                             ;   in Loop: Header=BB4_7295 Depth=2
	s_andn2_saveexec_b64 s[20:21], s[20:21]
; %bb.8175:                             ;   in Loop: Header=BB4_7295 Depth=2
	v_mov_b32_e32 v10, v14
	v_bfe_u32 v1, v14, 23, 1
	v_mov_b32_e32 v11, v15
; %bb.8176:                             ;   in Loop: Header=BB4_7295 Depth=2
	s_or_b64 exec, exec, s[20:21]
	v_lshrrev_b64 v[4:5], 20, v[10:11]
	v_cmp_gt_i32_e32 vcc, 16, v1
	v_cndmask_b32_e32 v5, 0, v5, vcc
	v_cndmask_b32_e32 v4, 7, v4, vcc
	v_cmp_eq_u32_e32 vcc, 0, v1
	v_min_i32_e32 v1, 15, v1
	v_cmp_eq_u64_e64 s[20:21], 0, v[4:5]
	v_lshlrev_b32_e32 v1, 3, v1
	v_and_b32_e32 v1, 0xf8, v1
	v_and_or_b32 v1, v4, 7, v1
	s_and_b64 s[20:21], vcc, s[20:21]
	v_cndmask_b32_e64 v1, v1, 0, s[20:21]
	v_or_b32_e32 v45, v1, v0
.LBB4_8177:                             ;   in Loop: Header=BB4_7295 Depth=2
	s_or_b64 exec, exec, s[88:89]
                                        ; implicit-def: $vgpr0
.LBB4_8178:                             ;   in Loop: Header=BB4_7295 Depth=2
	s_andn2_saveexec_b64 s[20:21], s[78:79]
; %bb.8179:                             ;   in Loop: Header=BB4_7295 Depth=2
	v_or_b32_e32 v45, 0x7e, v0
; %bb.8180:                             ;   in Loop: Header=BB4_7295 Depth=2
	s_or_b64 exec, exec, s[20:21]
                                        ; implicit-def: $vgpr1
.LBB4_8181:                             ;   in Loop: Header=BB4_7295 Depth=2
	s_andn2_saveexec_b64 s[20:21], s[76:77]
; %bb.8182:                             ;   in Loop: Header=BB4_7295 Depth=2
	v_or_b32_sdwa v45, v1, s39 dst_sel:DWORD dst_unused:UNUSED_PAD src0_sel:BYTE_3 src1_sel:DWORD
; %bb.8183:                             ;   in Loop: Header=BB4_7295 Depth=2
	s_or_b64 exec, exec, s[20:21]
	v_cmp_ne_u16_sdwa s[76:77], v12, v15 src0_sel:BYTE_0 src1_sel:DWORD
	v_mov_b32_e32 v0, 0
	s_and_saveexec_b64 s[20:21], s[76:77]
	s_cbranch_execz .LBB4_8189
; %bb.8184:                             ;   in Loop: Header=BB4_7295 Depth=2
	v_cmp_ne_u16_sdwa s[78:79], v12, s48 src0_sel:BYTE_0 src1_sel:DWORD
	v_bfrev_b32_e32 v0, 1
	s_and_saveexec_b64 s[76:77], s[78:79]
	s_cbranch_execz .LBB4_8188
; %bb.8185:                             ;   in Loop: Header=BB4_7295 Depth=2
	v_and_b32_e32 v1, 0x7f, v12
	v_cmp_ne_u32_e32 vcc, s39, v1
	v_mov_b32_e32 v0, 0x7f800001
	s_and_saveexec_b64 s[78:79], vcc
	s_cbranch_execz .LBB4_8187
; %bb.8186:                             ;   in Loop: Header=BB4_7295 Depth=2
	v_and_b32_e32 v0, 7, v12
	v_ffbh_u32_e32 v0, v0
	v_min_u32_e32 v0, 32, v0
	v_lshrrev_b32_e32 v2, 3, v1
	v_cmp_gt_u32_e32 vcc, 8, v1
	v_subrev_u32_e32 v1, 28, v0
	v_sub_u32_e32 v0, 29, v0
	v_cndmask_b32_e32 v2, v2, v0, vcc
	v_cndmask_b32_e32 v0, 0, v1, vcc
	v_lshlrev_b64 v[0:1], v0, v[12:13]
	v_lshlrev_b32_e32 v1, 24, v12
	v_lshlrev_b32_e32 v0, 20, v0
	v_bfrev_b32_e32 v4, 60
	v_and_b32_e32 v0, 0x700000, v0
	v_and_b32_e32 v1, 0x80000000, v1
	v_lshl_add_u32 v2, v2, 23, v4
	v_or3_b32 v0, v1, v2, v0
.LBB4_8187:                             ;   in Loop: Header=BB4_7295 Depth=2
	s_or_b64 exec, exec, s[78:79]
.LBB4_8188:                             ;   in Loop: Header=BB4_7295 Depth=2
	s_or_b64 exec, exec, s[76:77]
.LBB4_8189:                             ;   in Loop: Header=BB4_7295 Depth=2
	s_or_b64 exec, exec, s[20:21]
	v_mul_f32_e32 v1, v61, v0
	v_and_b32_e32 v14, 0x7f800000, v1
	v_cmp_ne_u64_e32 vcc, s[46:47], v[14:15]
                                        ; implicit-def: $vgpr18
	s_and_saveexec_b64 s[20:21], vcc
	s_xor_b64 s[76:77], exec, s[20:21]
	s_cbranch_execz .LBB4_8203
; %bb.8190:                             ;   in Loop: Header=BB4_7295 Depth=2
	v_and_b32_e32 v14, 0x7fffffff, v1
	v_cmp_gt_u64_e32 vcc, s[56:57], v[14:15]
	v_and_b32_sdwa v0, v1, s48 dst_sel:DWORD dst_unused:UNUSED_PAD src0_sel:BYTE_3 src1_sel:DWORD
                                        ; implicit-def: $vgpr18
	s_and_saveexec_b64 s[20:21], vcc
	s_xor_b64 s[78:79], exec, s[20:21]
	s_cbranch_execz .LBB4_8200
; %bb.8191:                             ;   in Loop: Header=BB4_7295 Depth=2
	v_mov_b32_e32 v18, 0
	v_cmp_ne_u32_e32 vcc, 0, v1
	s_and_saveexec_b64 s[88:89], vcc
	s_cbranch_execz .LBB4_8199
; %bb.8192:                             ;   in Loop: Header=BB4_7295 Depth=2
	v_and_b32_e32 v4, 0x7fffff, v1
	v_bfe_u32 v1, v1, 23, 8
	v_cmp_gt_u32_e64 s[20:21], s49, v1
	v_sub_u32_e32 v2, 0x79, v1
	v_cmp_eq_u32_e32 vcc, 0, v1
	v_cndmask_b32_e64 v2, 0, v2, s[20:21]
	v_or_b32_e32 v5, 0x800000, v4
	v_cndmask_b32_e32 v2, v2, v47, vcc
	v_cndmask_b32_e32 v14, v5, v4, vcc
	v_add_u32_e32 v4, 20, v2
	v_lshlrev_b64 v[4:5], v4, -1
	v_add_u32_e32 v10, 19, v2
	v_lshlrev_b64 v[10:11], v10, 1
	v_bfi_b32 v5, v5, 0, 0
	v_bfi_b32 v4, v4, 0, v14
	v_cmp_eq_u64_e64 s[20:21], v[4:5], v[10:11]
	v_lshrrev_b64 v[10:11], v2, v[14:15]
	v_mov_b32_e32 v41, v11
	v_mov_b32_e32 v40, v10
	s_and_saveexec_b64 s[90:91], s[20:21]
; %bb.8193:                             ;   in Loop: Header=BB4_7295 Depth=2
	v_bfe_u32 v4, v10, 20, 1
	v_add_co_u32_e64 v4, s[20:21], v10, v4
	v_add_co_u32_e64 v40, s[20:21], -1, v4
; %bb.8194:                             ;   in Loop: Header=BB4_7295 Depth=2
	s_or_b64 exec, exec, s[90:91]
	v_add_u32_e32 v1, 0xffffff81, v1
	v_cndmask_b32_e32 v1, v1, v44, vcc
	v_lshrrev_b32_e32 v4, 23, v10
	v_add3_u32 v4, v2, v1, v4
	v_add_u32_e32 v2, 6, v4
	v_and_b32_e32 v1, 0xfffff, v40
	v_add_u32_e32 v14, v1, v10
	v_cmp_ne_u32_e32 vcc, 0, v2
                                        ; implicit-def: $vgpr10_vgpr11
                                        ; implicit-def: $vgpr1
	s_and_saveexec_b64 s[20:21], vcc
	s_xor_b64 s[20:21], exec, s[20:21]
; %bb.8195:                             ;   in Loop: Header=BB4_7295 Depth=2
	v_cmp_lt_u64_e32 vcc, s[58:59], v[14:15]
	v_add_u32_e32 v1, 7, v4
	v_cndmask_b32_e32 v1, v2, v1, vcc
	v_cndmask_b32_e64 v2, 0, 1, vcc
	v_lshrrev_b64 v[10:11], v2, v[14:15]
; %bb.8196:                             ;   in Loop: Header=BB4_7295 Depth=2
	s_andn2_saveexec_b64 s[20:21], s[20:21]
; %bb.8197:                             ;   in Loop: Header=BB4_7295 Depth=2
	v_mov_b32_e32 v10, v14
	v_bfe_u32 v1, v14, 23, 1
	v_mov_b32_e32 v11, v15
; %bb.8198:                             ;   in Loop: Header=BB4_7295 Depth=2
	s_or_b64 exec, exec, s[20:21]
	v_lshrrev_b64 v[4:5], 20, v[10:11]
	v_cmp_gt_i32_e32 vcc, 16, v1
	v_cndmask_b32_e32 v5, 0, v5, vcc
	v_cndmask_b32_e32 v4, 7, v4, vcc
	v_cmp_eq_u32_e32 vcc, 0, v1
	v_min_i32_e32 v1, 15, v1
	v_cmp_eq_u64_e64 s[20:21], 0, v[4:5]
	v_lshlrev_b32_e32 v1, 3, v1
	v_and_b32_e32 v1, 0xf8, v1
	v_and_or_b32 v1, v4, 7, v1
	s_and_b64 s[20:21], vcc, s[20:21]
	v_cndmask_b32_e64 v1, v1, 0, s[20:21]
	v_or_b32_e32 v18, v1, v0
.LBB4_8199:                             ;   in Loop: Header=BB4_7295 Depth=2
	s_or_b64 exec, exec, s[88:89]
                                        ; implicit-def: $vgpr0
.LBB4_8200:                             ;   in Loop: Header=BB4_7295 Depth=2
	s_andn2_saveexec_b64 s[20:21], s[78:79]
; %bb.8201:                             ;   in Loop: Header=BB4_7295 Depth=2
	v_or_b32_e32 v18, 0x7e, v0
; %bb.8202:                             ;   in Loop: Header=BB4_7295 Depth=2
	s_or_b64 exec, exec, s[20:21]
                                        ; implicit-def: $vgpr1
.LBB4_8203:                             ;   in Loop: Header=BB4_7295 Depth=2
	s_andn2_saveexec_b64 s[20:21], s[76:77]
; %bb.8204:                             ;   in Loop: Header=BB4_7295 Depth=2
	v_or_b32_sdwa v18, v1, s39 dst_sel:DWORD dst_unused:UNUSED_PAD src0_sel:BYTE_3 src1_sel:DWORD
; %bb.8205:                             ;   in Loop: Header=BB4_7295 Depth=2
	s_or_b64 exec, exec, s[20:21]
	v_lshrrev_b16_e32 v10, 8, v12
	v_cmp_ne_u16_e32 vcc, 0, v10
	v_mov_b32_e32 v0, 0
	s_and_saveexec_b64 s[20:21], vcc
	s_cbranch_execz .LBB4_8211
; %bb.8206:                             ;   in Loop: Header=BB4_7295 Depth=2
	v_cmp_ne_u16_e32 vcc, s48, v10
	v_bfrev_b32_e32 v0, 1
	s_and_saveexec_b64 s[76:77], vcc
	s_cbranch_execz .LBB4_8210
; %bb.8207:                             ;   in Loop: Header=BB4_7295 Depth=2
	v_and_b32_e32 v1, 0x7f, v10
	v_cmp_ne_u32_e32 vcc, s39, v1
	v_mov_b32_e32 v0, 0x7f800001
	s_and_saveexec_b64 s[78:79], vcc
	s_cbranch_execz .LBB4_8209
; %bb.8208:                             ;   in Loop: Header=BB4_7295 Depth=2
	v_and_b32_e32 v2, 7, v10
	v_ffbh_u32_e32 v0, v2
	v_min_u32_e32 v5, 32, v0
	v_subrev_u32_e32 v0, 28, v5
	v_lshrrev_b32_e32 v4, 3, v1
	v_cmp_gt_u32_e32 vcc, 8, v1
	v_lshlrev_b64 v[0:1], v0, v[10:11]
	v_sub_u32_e32 v1, 29, v5
	v_and_b32_e32 v0, 7, v0
	v_cndmask_b32_e32 v1, v4, v1, vcc
	v_cndmask_b32_e32 v0, v2, v0, vcc
	v_lshlrev_b32_e32 v2, 16, v12
	v_bfrev_b32_e32 v4, 60
	v_lshlrev_b32_e32 v0, 20, v0
	v_and_b32_e32 v2, 0x80000000, v2
	v_lshl_add_u32 v1, v1, 23, v4
	v_or3_b32 v0, v2, v1, v0
.LBB4_8209:                             ;   in Loop: Header=BB4_7295 Depth=2
	s_or_b64 exec, exec, s[78:79]
.LBB4_8210:                             ;   in Loop: Header=BB4_7295 Depth=2
	s_or_b64 exec, exec, s[76:77]
.LBB4_8211:                             ;   in Loop: Header=BB4_7295 Depth=2
	s_or_b64 exec, exec, s[20:21]
	v_mul_f32_e32 v1, v61, v0
	v_and_b32_e32 v14, 0x7f800000, v1
	v_cmp_ne_u64_e32 vcc, s[46:47], v[14:15]
                                        ; implicit-def: $vgpr19
	s_and_saveexec_b64 s[20:21], vcc
	s_xor_b64 s[76:77], exec, s[20:21]
	s_cbranch_execz .LBB4_8225
; %bb.8212:                             ;   in Loop: Header=BB4_7295 Depth=2
	v_and_b32_e32 v14, 0x7fffffff, v1
	v_cmp_gt_u64_e32 vcc, s[56:57], v[14:15]
	v_and_b32_sdwa v0, v1, s48 dst_sel:DWORD dst_unused:UNUSED_PAD src0_sel:BYTE_3 src1_sel:DWORD
                                        ; implicit-def: $vgpr19
	s_and_saveexec_b64 s[20:21], vcc
	s_xor_b64 s[78:79], exec, s[20:21]
	s_cbranch_execz .LBB4_8222
; %bb.8213:                             ;   in Loop: Header=BB4_7295 Depth=2
	v_mov_b32_e32 v19, 0
	v_cmp_ne_u32_e32 vcc, 0, v1
	s_and_saveexec_b64 s[88:89], vcc
	s_cbranch_execz .LBB4_8221
; %bb.8214:                             ;   in Loop: Header=BB4_7295 Depth=2
	v_and_b32_e32 v4, 0x7fffff, v1
	v_bfe_u32 v1, v1, 23, 8
	v_cmp_gt_u32_e64 s[20:21], s49, v1
	v_sub_u32_e32 v2, 0x79, v1
	v_cmp_eq_u32_e32 vcc, 0, v1
	v_cndmask_b32_e64 v2, 0, v2, s[20:21]
	v_or_b32_e32 v5, 0x800000, v4
	v_cndmask_b32_e32 v2, v2, v47, vcc
	v_cndmask_b32_e32 v14, v5, v4, vcc
	v_add_u32_e32 v4, 20, v2
	v_lshlrev_b64 v[4:5], v4, -1
	v_add_u32_e32 v10, 19, v2
	v_lshlrev_b64 v[10:11], v10, 1
	v_bfi_b32 v5, v5, 0, 0
	v_bfi_b32 v4, v4, 0, v14
	v_cmp_eq_u64_e64 s[20:21], v[4:5], v[10:11]
	v_lshrrev_b64 v[10:11], v2, v[14:15]
	v_mov_b32_e32 v41, v11
	v_mov_b32_e32 v40, v10
	s_and_saveexec_b64 s[90:91], s[20:21]
; %bb.8215:                             ;   in Loop: Header=BB4_7295 Depth=2
	v_bfe_u32 v4, v10, 20, 1
	v_add_co_u32_e64 v4, s[20:21], v10, v4
	v_add_co_u32_e64 v40, s[20:21], -1, v4
; %bb.8216:                             ;   in Loop: Header=BB4_7295 Depth=2
	s_or_b64 exec, exec, s[90:91]
	v_add_u32_e32 v1, 0xffffff81, v1
	v_cndmask_b32_e32 v1, v1, v44, vcc
	v_lshrrev_b32_e32 v4, 23, v10
	v_add3_u32 v4, v2, v1, v4
	v_add_u32_e32 v2, 6, v4
	v_and_b32_e32 v1, 0xfffff, v40
	v_add_u32_e32 v14, v1, v10
	v_cmp_ne_u32_e32 vcc, 0, v2
                                        ; implicit-def: $vgpr10_vgpr11
                                        ; implicit-def: $vgpr1
	s_and_saveexec_b64 s[20:21], vcc
	s_xor_b64 s[20:21], exec, s[20:21]
; %bb.8217:                             ;   in Loop: Header=BB4_7295 Depth=2
	v_cmp_lt_u64_e32 vcc, s[58:59], v[14:15]
	v_add_u32_e32 v1, 7, v4
	v_cndmask_b32_e32 v1, v2, v1, vcc
	v_cndmask_b32_e64 v2, 0, 1, vcc
	v_lshrrev_b64 v[10:11], v2, v[14:15]
; %bb.8218:                             ;   in Loop: Header=BB4_7295 Depth=2
	s_andn2_saveexec_b64 s[20:21], s[20:21]
; %bb.8219:                             ;   in Loop: Header=BB4_7295 Depth=2
	v_mov_b32_e32 v10, v14
	v_bfe_u32 v1, v14, 23, 1
	v_mov_b32_e32 v11, v15
; %bb.8220:                             ;   in Loop: Header=BB4_7295 Depth=2
	s_or_b64 exec, exec, s[20:21]
	v_lshrrev_b64 v[4:5], 20, v[10:11]
	v_cmp_gt_i32_e32 vcc, 16, v1
	v_cndmask_b32_e32 v5, 0, v5, vcc
	v_cndmask_b32_e32 v4, 7, v4, vcc
	v_cmp_eq_u32_e32 vcc, 0, v1
	v_min_i32_e32 v1, 15, v1
	v_cmp_eq_u64_e64 s[20:21], 0, v[4:5]
	v_lshlrev_b32_e32 v1, 3, v1
	v_and_b32_e32 v1, 0xf8, v1
	v_and_or_b32 v1, v4, 7, v1
	s_and_b64 s[20:21], vcc, s[20:21]
	v_cndmask_b32_e64 v1, v1, 0, s[20:21]
	v_or_b32_e32 v19, v1, v0
.LBB4_8221:                             ;   in Loop: Header=BB4_7295 Depth=2
	s_or_b64 exec, exec, s[88:89]
                                        ; implicit-def: $vgpr0
.LBB4_8222:                             ;   in Loop: Header=BB4_7295 Depth=2
	s_andn2_saveexec_b64 s[20:21], s[78:79]
; %bb.8223:                             ;   in Loop: Header=BB4_7295 Depth=2
	v_or_b32_e32 v19, 0x7e, v0
; %bb.8224:                             ;   in Loop: Header=BB4_7295 Depth=2
	s_or_b64 exec, exec, s[20:21]
                                        ; implicit-def: $vgpr1
.LBB4_8225:                             ;   in Loop: Header=BB4_7295 Depth=2
	s_andn2_saveexec_b64 s[20:21], s[76:77]
; %bb.8226:                             ;   in Loop: Header=BB4_7295 Depth=2
	v_or_b32_sdwa v19, v1, s39 dst_sel:DWORD dst_unused:UNUSED_PAD src0_sel:BYTE_3 src1_sel:DWORD
; %bb.8227:                             ;   in Loop: Header=BB4_7295 Depth=2
	s_or_b64 exec, exec, s[20:21]
	v_lshrrev_b32_e32 v10, 16, v12
	v_cmp_ne_u16_sdwa s[76:77], v10, v15 src0_sel:BYTE_0 src1_sel:DWORD
	v_mov_b32_e32 v0, 0
	s_and_saveexec_b64 s[20:21], s[76:77]
	s_cbranch_execz .LBB4_8233
; %bb.8228:                             ;   in Loop: Header=BB4_7295 Depth=2
	v_cmp_ne_u16_sdwa s[78:79], v10, s48 src0_sel:BYTE_0 src1_sel:DWORD
	v_bfrev_b32_e32 v0, 1
	s_and_saveexec_b64 s[76:77], s[78:79]
	s_cbranch_execz .LBB4_8232
; %bb.8229:                             ;   in Loop: Header=BB4_7295 Depth=2
	v_bfe_u32 v1, v12, 16, 7
	v_cmp_ne_u32_e32 vcc, s39, v1
	v_mov_b32_e32 v0, 0x7f800001
	s_and_saveexec_b64 s[78:79], vcc
	s_cbranch_execz .LBB4_8231
; %bb.8230:                             ;   in Loop: Header=BB4_7295 Depth=2
	v_and_b32_e32 v2, 7, v10
	v_ffbh_u32_e32 v0, v2
	v_min_u32_e32 v5, 32, v0
	v_subrev_u32_e32 v0, 28, v5
	v_lshrrev_b32_e32 v4, 3, v1
	v_cmp_gt_u32_e32 vcc, 8, v1
	v_lshlrev_b64 v[0:1], v0, v[10:11]
	v_sub_u32_e32 v1, 29, v5
	v_and_b32_e32 v0, 7, v0
	v_cndmask_b32_e32 v1, v4, v1, vcc
	v_cndmask_b32_e32 v0, v2, v0, vcc
	v_lshlrev_b32_e32 v2, 24, v10
	v_bfrev_b32_e32 v4, 60
	v_lshlrev_b32_e32 v0, 20, v0
	v_and_b32_e32 v2, 0x80000000, v2
	v_lshl_add_u32 v1, v1, 23, v4
	v_or3_b32 v0, v2, v1, v0
.LBB4_8231:                             ;   in Loop: Header=BB4_7295 Depth=2
	s_or_b64 exec, exec, s[78:79]
.LBB4_8232:                             ;   in Loop: Header=BB4_7295 Depth=2
	s_or_b64 exec, exec, s[76:77]
.LBB4_8233:                             ;   in Loop: Header=BB4_7295 Depth=2
	s_or_b64 exec, exec, s[20:21]
	v_mul_f32_e32 v2, v61, v0
	v_and_b32_e32 v14, 0x7f800000, v2
	v_cmp_ne_u64_e32 vcc, s[46:47], v[14:15]
                                        ; implicit-def: $vgpr0
	s_and_saveexec_b64 s[20:21], vcc
	s_xor_b64 s[76:77], exec, s[20:21]
	s_cbranch_execz .LBB4_8247
; %bb.8234:                             ;   in Loop: Header=BB4_7295 Depth=2
	v_and_b32_e32 v14, 0x7fffffff, v2
	v_cmp_gt_u64_e32 vcc, s[56:57], v[14:15]
	v_and_b32_sdwa v1, v2, s48 dst_sel:DWORD dst_unused:UNUSED_PAD src0_sel:BYTE_3 src1_sel:DWORD
                                        ; implicit-def: $vgpr0
	s_and_saveexec_b64 s[20:21], vcc
	s_xor_b64 s[78:79], exec, s[20:21]
	s_cbranch_execz .LBB4_8244
; %bb.8235:                             ;   in Loop: Header=BB4_7295 Depth=2
	v_mov_b32_e32 v0, 0
	v_cmp_ne_u32_e32 vcc, 0, v2
	s_and_saveexec_b64 s[88:89], vcc
	s_cbranch_execz .LBB4_8243
; %bb.8236:                             ;   in Loop: Header=BB4_7295 Depth=2
	v_bfe_u32 v0, v2, 23, 8
	v_and_b32_e32 v4, 0x7fffff, v2
	v_cmp_gt_u32_e64 s[20:21], s49, v0
	v_sub_u32_e32 v2, 0x79, v0
	v_cmp_eq_u32_e32 vcc, 0, v0
	v_cndmask_b32_e64 v2, 0, v2, s[20:21]
	v_or_b32_e32 v5, 0x800000, v4
	v_cndmask_b32_e32 v2, v2, v47, vcc
	v_cndmask_b32_e32 v14, v5, v4, vcc
	v_add_u32_e32 v4, 20, v2
	v_lshlrev_b64 v[4:5], v4, -1
	v_add_u32_e32 v10, 19, v2
	v_lshlrev_b64 v[10:11], v10, 1
	v_bfi_b32 v5, v5, 0, 0
	v_bfi_b32 v4, v4, 0, v14
	v_cmp_eq_u64_e64 s[20:21], v[4:5], v[10:11]
	v_lshrrev_b64 v[10:11], v2, v[14:15]
	v_mov_b32_e32 v41, v11
	v_mov_b32_e32 v40, v10
	s_and_saveexec_b64 s[90:91], s[20:21]
; %bb.8237:                             ;   in Loop: Header=BB4_7295 Depth=2
	v_bfe_u32 v4, v10, 20, 1
	v_add_co_u32_e64 v4, s[20:21], v10, v4
	v_add_co_u32_e64 v40, s[20:21], -1, v4
; %bb.8238:                             ;   in Loop: Header=BB4_7295 Depth=2
	s_or_b64 exec, exec, s[90:91]
	v_add_u32_e32 v0, 0xffffff81, v0
	v_cndmask_b32_e32 v0, v0, v44, vcc
	v_lshrrev_b32_e32 v4, 23, v10
	v_add3_u32 v4, v2, v0, v4
	v_add_u32_e32 v2, 6, v4
	v_and_b32_e32 v0, 0xfffff, v40
	v_add_u32_e32 v14, v0, v10
	v_cmp_ne_u32_e32 vcc, 0, v2
                                        ; implicit-def: $vgpr10_vgpr11
                                        ; implicit-def: $vgpr0
	s_and_saveexec_b64 s[20:21], vcc
	s_xor_b64 s[20:21], exec, s[20:21]
; %bb.8239:                             ;   in Loop: Header=BB4_7295 Depth=2
	v_cmp_lt_u64_e32 vcc, s[58:59], v[14:15]
	v_add_u32_e32 v0, 7, v4
	v_cndmask_b32_e32 v0, v2, v0, vcc
	v_cndmask_b32_e64 v2, 0, 1, vcc
	v_lshrrev_b64 v[10:11], v2, v[14:15]
; %bb.8240:                             ;   in Loop: Header=BB4_7295 Depth=2
	s_andn2_saveexec_b64 s[20:21], s[20:21]
; %bb.8241:                             ;   in Loop: Header=BB4_7295 Depth=2
	v_mov_b32_e32 v10, v14
	v_bfe_u32 v0, v14, 23, 1
	v_mov_b32_e32 v11, v15
; %bb.8242:                             ;   in Loop: Header=BB4_7295 Depth=2
	s_or_b64 exec, exec, s[20:21]
	v_lshrrev_b64 v[4:5], 20, v[10:11]
	v_cmp_gt_i32_e32 vcc, 16, v0
	v_cndmask_b32_e32 v5, 0, v5, vcc
	v_cndmask_b32_e32 v4, 7, v4, vcc
	v_cmp_eq_u32_e32 vcc, 0, v0
	v_min_i32_e32 v0, 15, v0
	v_cmp_eq_u64_e64 s[20:21], 0, v[4:5]
	v_lshlrev_b32_e32 v0, 3, v0
	v_and_b32_e32 v0, 0xf8, v0
	v_and_or_b32 v0, v4, 7, v0
	s_and_b64 s[20:21], vcc, s[20:21]
	v_cndmask_b32_e64 v0, v0, 0, s[20:21]
	v_or_b32_e32 v0, v0, v1
.LBB4_8243:                             ;   in Loop: Header=BB4_7295 Depth=2
	s_or_b64 exec, exec, s[88:89]
                                        ; implicit-def: $vgpr1
.LBB4_8244:                             ;   in Loop: Header=BB4_7295 Depth=2
	s_andn2_saveexec_b64 s[20:21], s[78:79]
; %bb.8245:                             ;   in Loop: Header=BB4_7295 Depth=2
	v_or_b32_e32 v0, 0x7e, v1
; %bb.8246:                             ;   in Loop: Header=BB4_7295 Depth=2
	s_or_b64 exec, exec, s[20:21]
                                        ; implicit-def: $vgpr2
.LBB4_8247:                             ;   in Loop: Header=BB4_7295 Depth=2
	s_andn2_saveexec_b64 s[20:21], s[76:77]
; %bb.8248:                             ;   in Loop: Header=BB4_7295 Depth=2
	v_or_b32_sdwa v0, v2, s39 dst_sel:DWORD dst_unused:UNUSED_PAD src0_sel:BYTE_3 src1_sel:DWORD
; %bb.8249:                             ;   in Loop: Header=BB4_7295 Depth=2
	s_or_b64 exec, exec, s[20:21]
	v_cmp_lt_u32_e32 vcc, s61, v12
	v_mov_b32_e32 v1, 0
	s_and_saveexec_b64 s[20:21], vcc
	s_cbranch_execz .LBB4_8255
; %bb.8250:                             ;   in Loop: Header=BB4_7295 Depth=2
	v_lshrrev_b32_e32 v10, 24, v12
	v_cmp_ne_u32_e32 vcc, s48, v10
	v_bfrev_b32_e32 v1, 1
	s_and_saveexec_b64 s[76:77], vcc
	s_cbranch_execz .LBB4_8254
; %bb.8251:                             ;   in Loop: Header=BB4_7295 Depth=2
	v_bfe_u32 v2, v12, 24, 7
	v_cmp_ne_u32_e32 vcc, s39, v2
	v_mov_b32_e32 v1, 0x7f800001
	s_and_saveexec_b64 s[78:79], vcc
	s_cbranch_execz .LBB4_8253
; %bb.8252:                             ;   in Loop: Header=BB4_7295 Depth=2
	v_and_b32_e32 v4, 7, v10
	v_ffbh_u32_e32 v1, v4
	v_min_u32_e32 v11, 32, v1
	v_subrev_u32_e32 v1, 28, v11
	v_lshrrev_b32_e32 v5, 3, v2
	v_cmp_gt_u32_e32 vcc, 8, v2
	v_lshlrev_b64 v[1:2], v1, v[10:11]
	v_sub_u32_e32 v2, 29, v11
	v_and_b32_e32 v1, 7, v1
	v_cndmask_b32_e32 v2, v5, v2, vcc
	v_cndmask_b32_e32 v1, v4, v1, vcc
	v_lshlrev_b32_e32 v4, 24, v10
	v_bfrev_b32_e32 v5, 60
	v_lshlrev_b32_e32 v1, 20, v1
	v_and_b32_e32 v4, 0x80000000, v4
	v_lshl_add_u32 v2, v2, 23, v5
	v_or3_b32 v1, v4, v2, v1
.LBB4_8253:                             ;   in Loop: Header=BB4_7295 Depth=2
	s_or_b64 exec, exec, s[78:79]
.LBB4_8254:                             ;   in Loop: Header=BB4_7295 Depth=2
	s_or_b64 exec, exec, s[76:77]
.LBB4_8255:                             ;   in Loop: Header=BB4_7295 Depth=2
	s_or_b64 exec, exec, s[20:21]
	v_mul_f32_e32 v2, v61, v1
	v_and_b32_e32 v14, 0x7f800000, v2
	v_cmp_ne_u64_e32 vcc, s[46:47], v[14:15]
                                        ; implicit-def: $vgpr1
	s_and_saveexec_b64 s[20:21], vcc
	s_xor_b64 s[76:77], exec, s[20:21]
	s_cbranch_execz .LBB4_8269
; %bb.8256:                             ;   in Loop: Header=BB4_7295 Depth=2
	v_and_b32_e32 v14, 0x7fffffff, v2
	v_cmp_gt_u64_e32 vcc, s[56:57], v[14:15]
	v_and_b32_sdwa v4, v2, s48 dst_sel:DWORD dst_unused:UNUSED_PAD src0_sel:BYTE_3 src1_sel:DWORD
                                        ; implicit-def: $vgpr1
	s_and_saveexec_b64 s[20:21], vcc
	s_xor_b64 s[78:79], exec, s[20:21]
	s_cbranch_execz .LBB4_8266
; %bb.8257:                             ;   in Loop: Header=BB4_7295 Depth=2
	v_mov_b32_e32 v1, 0
	v_cmp_ne_u32_e32 vcc, 0, v2
	s_and_saveexec_b64 s[88:89], vcc
	s_cbranch_execz .LBB4_8265
; %bb.8258:                             ;   in Loop: Header=BB4_7295 Depth=2
	v_bfe_u32 v1, v2, 23, 8
	v_and_b32_e32 v5, 0x7fffff, v2
	v_cmp_gt_u32_e64 s[20:21], s49, v1
	v_sub_u32_e32 v2, 0x79, v1
	v_cmp_eq_u32_e32 vcc, 0, v1
	v_cndmask_b32_e64 v2, 0, v2, s[20:21]
	v_or_b32_e32 v10, 0x800000, v5
	v_cndmask_b32_e32 v2, v2, v47, vcc
	v_cndmask_b32_e32 v14, v10, v5, vcc
	v_add_u32_e32 v5, 20, v2
	v_lshlrev_b64 v[10:11], v5, -1
	v_add_u32_e32 v5, 19, v2
	v_lshlrev_b64 v[24:25], v5, 1
	v_bfi_b32 v11, v11, 0, 0
	v_bfi_b32 v10, v10, 0, v14
	v_cmp_eq_u64_e64 s[20:21], v[10:11], v[24:25]
	v_lshrrev_b64 v[10:11], v2, v[14:15]
	v_mov_b32_e32 v41, v11
	v_mov_b32_e32 v40, v10
	s_and_saveexec_b64 s[90:91], s[20:21]
; %bb.8259:                             ;   in Loop: Header=BB4_7295 Depth=2
	v_bfe_u32 v5, v10, 20, 1
	v_add_co_u32_e64 v5, s[20:21], v10, v5
	v_add_co_u32_e64 v40, s[20:21], -1, v5
; %bb.8260:                             ;   in Loop: Header=BB4_7295 Depth=2
	s_or_b64 exec, exec, s[90:91]
	v_add_u32_e32 v1, 0xffffff81, v1
	v_cndmask_b32_e32 v1, v1, v44, vcc
	v_lshrrev_b32_e32 v5, 23, v10
	v_add3_u32 v5, v2, v1, v5
	v_add_u32_e32 v2, 6, v5
	v_and_b32_e32 v1, 0xfffff, v40
	v_add_u32_e32 v14, v1, v10
	v_cmp_ne_u32_e32 vcc, 0, v2
                                        ; implicit-def: $vgpr10_vgpr11
                                        ; implicit-def: $vgpr1
	s_and_saveexec_b64 s[20:21], vcc
	s_xor_b64 s[20:21], exec, s[20:21]
; %bb.8261:                             ;   in Loop: Header=BB4_7295 Depth=2
	v_cmp_lt_u64_e32 vcc, s[58:59], v[14:15]
	v_add_u32_e32 v1, 7, v5
	v_cndmask_b32_e32 v1, v2, v1, vcc
	v_cndmask_b32_e64 v2, 0, 1, vcc
	v_lshrrev_b64 v[10:11], v2, v[14:15]
; %bb.8262:                             ;   in Loop: Header=BB4_7295 Depth=2
	s_andn2_saveexec_b64 s[20:21], s[20:21]
; %bb.8263:                             ;   in Loop: Header=BB4_7295 Depth=2
	v_mov_b32_e32 v10, v14
	v_bfe_u32 v1, v14, 23, 1
	v_mov_b32_e32 v11, v15
; %bb.8264:                             ;   in Loop: Header=BB4_7295 Depth=2
	s_or_b64 exec, exec, s[20:21]
	v_lshrrev_b64 v[10:11], 20, v[10:11]
	v_cmp_gt_i32_e32 vcc, 16, v1
	v_cndmask_b32_e32 v11, 0, v11, vcc
	v_cndmask_b32_e32 v10, 7, v10, vcc
	v_cmp_eq_u32_e32 vcc, 0, v1
	v_min_i32_e32 v1, 15, v1
	v_cmp_eq_u64_e64 s[20:21], 0, v[10:11]
	v_lshlrev_b32_e32 v1, 3, v1
	v_and_b32_e32 v1, 0xf8, v1
	v_and_or_b32 v1, v10, 7, v1
	s_and_b64 s[20:21], vcc, s[20:21]
	v_cndmask_b32_e64 v1, v1, 0, s[20:21]
	v_or_b32_e32 v1, v1, v4
.LBB4_8265:                             ;   in Loop: Header=BB4_7295 Depth=2
	s_or_b64 exec, exec, s[88:89]
                                        ; implicit-def: $vgpr4
.LBB4_8266:                             ;   in Loop: Header=BB4_7295 Depth=2
	s_andn2_saveexec_b64 s[20:21], s[78:79]
; %bb.8267:                             ;   in Loop: Header=BB4_7295 Depth=2
	v_or_b32_e32 v1, 0x7e, v4
; %bb.8268:                             ;   in Loop: Header=BB4_7295 Depth=2
	s_or_b64 exec, exec, s[20:21]
                                        ; implicit-def: $vgpr2
.LBB4_8269:                             ;   in Loop: Header=BB4_7295 Depth=2
	s_andn2_saveexec_b64 s[20:21], s[76:77]
; %bb.8270:                             ;   in Loop: Header=BB4_7295 Depth=2
	v_or_b32_sdwa v1, v2, s39 dst_sel:DWORD dst_unused:UNUSED_PAD src0_sel:BYTE_3 src1_sel:DWORD
; %bb.8271:                             ;   in Loop: Header=BB4_7295 Depth=2
	s_or_b64 exec, exec, s[20:21]
	v_mov_b32_e32 v14, v13
	v_cmp_ne_u16_sdwa s[76:77], v13, v15 src0_sel:BYTE_0 src1_sel:DWORD
	v_mov_b32_e32 v2, 0
	s_and_saveexec_b64 s[20:21], s[76:77]
	s_cbranch_execz .LBB4_8277
; %bb.8272:                             ;   in Loop: Header=BB4_7295 Depth=2
	v_cmp_ne_u16_sdwa s[78:79], v13, s48 src0_sel:BYTE_0 src1_sel:DWORD
	v_bfrev_b32_e32 v2, 1
	s_and_saveexec_b64 s[76:77], s[78:79]
	s_cbranch_execz .LBB4_8276
; %bb.8273:                             ;   in Loop: Header=BB4_7295 Depth=2
	v_and_b32_e32 v4, 0x7f, v13
	v_cmp_ne_u32_e32 vcc, s39, v4
	v_mov_b32_e32 v2, 0x7f800001
	s_and_saveexec_b64 s[78:79], vcc
	s_cbranch_execz .LBB4_8275
; %bb.8274:                             ;   in Loop: Header=BB4_7295 Depth=2
	v_and_b32_e32 v2, 7, v13
	v_ffbh_u32_e32 v2, v2
	v_min_u32_e32 v2, 32, v2
	v_lshrrev_b32_e32 v5, 3, v4
	v_cmp_gt_u32_e32 vcc, 8, v4
	v_subrev_u32_e32 v4, 28, v2
	v_sub_u32_e32 v2, 29, v2
	v_cndmask_b32_e32 v4, 0, v4, vcc
	v_cndmask_b32_e32 v2, v5, v2, vcc
	v_lshlrev_b64 v[4:5], v4, v[14:15]
	v_lshlrev_b32_e32 v5, 24, v14
	v_lshlrev_b32_e32 v4, 20, v4
	v_bfrev_b32_e32 v10, 60
	v_and_b32_e32 v4, 0x700000, v4
	v_and_b32_e32 v5, 0x80000000, v5
	v_lshl_add_u32 v2, v2, 23, v10
	v_or3_b32 v2, v5, v2, v4
.LBB4_8275:                             ;   in Loop: Header=BB4_7295 Depth=2
	s_or_b64 exec, exec, s[78:79]
.LBB4_8276:                             ;   in Loop: Header=BB4_7295 Depth=2
	s_or_b64 exec, exec, s[76:77]
.LBB4_8277:                             ;   in Loop: Header=BB4_7295 Depth=2
	s_or_b64 exec, exec, s[20:21]
	v_mul_f32_e32 v2, v61, v2
	v_and_b32_e32 v4, 0x7f800000, v2
	v_mov_b32_e32 v5, v15
	v_cmp_ne_u64_e32 vcc, s[46:47], v[4:5]
                                        ; implicit-def: $vgpr24
	s_and_saveexec_b64 s[20:21], vcc
	s_xor_b64 s[76:77], exec, s[20:21]
	s_cbranch_execz .LBB4_8291
; %bb.8278:                             ;   in Loop: Header=BB4_7295 Depth=2
	v_and_b32_e32 v4, 0x7fffffff, v2
	v_mov_b32_e32 v5, v15
	v_cmp_gt_u64_e32 vcc, s[56:57], v[4:5]
	v_and_b32_sdwa v4, v2, s48 dst_sel:DWORD dst_unused:UNUSED_PAD src0_sel:BYTE_3 src1_sel:DWORD
                                        ; implicit-def: $vgpr24
	s_and_saveexec_b64 s[20:21], vcc
	s_xor_b64 s[78:79], exec, s[20:21]
	s_cbranch_execz .LBB4_8288
; %bb.8279:                             ;   in Loop: Header=BB4_7295 Depth=2
	v_mov_b32_e32 v24, 0
	v_cmp_ne_u32_e32 vcc, 0, v2
	s_and_saveexec_b64 s[88:89], vcc
	s_cbranch_execz .LBB4_8287
; %bb.8280:                             ;   in Loop: Header=BB4_7295 Depth=2
	v_and_b32_e32 v10, 0x7fffff, v2
	v_bfe_u32 v2, v2, 23, 8
	v_cmp_gt_u32_e64 s[20:21], s49, v2
	v_sub_u32_e32 v5, 0x79, v2
	v_cmp_eq_u32_e32 vcc, 0, v2
	v_cndmask_b32_e64 v5, 0, v5, s[20:21]
	v_cndmask_b32_e32 v5, v5, v47, vcc
	v_add_u32_e32 v21, 20, v5
	v_or_b32_e32 v11, 0x800000, v10
	v_lshlrev_b64 v[24:25], v21, -1
	v_cndmask_b32_e32 v10, v11, v10, vcc
	v_mov_b32_e32 v11, v15
	v_add_u32_e32 v21, 19, v5
	v_bfi_b32 v24, v24, 0, v10
	v_lshlrev_b64 v[26:27], v21, 1
	v_lshrrev_b64 v[10:11], v5, v[10:11]
	v_bfi_b32 v25, v25, 0, 0
	v_cmp_eq_u64_e64 s[20:21], v[24:25], v[26:27]
	v_mov_b32_e32 v41, v11
	v_mov_b32_e32 v40, v10
	s_and_saveexec_b64 s[90:91], s[20:21]
; %bb.8281:                             ;   in Loop: Header=BB4_7295 Depth=2
	v_bfe_u32 v11, v10, 20, 1
	v_add_co_u32_e64 v11, s[20:21], v10, v11
	v_add_co_u32_e64 v40, s[20:21], -1, v11
; %bb.8282:                             ;   in Loop: Header=BB4_7295 Depth=2
	s_or_b64 exec, exec, s[90:91]
	v_add_u32_e32 v2, 0xffffff81, v2
	v_cndmask_b32_e32 v2, v2, v44, vcc
	v_lshrrev_b32_e32 v11, 23, v10
	v_add3_u32 v21, v5, v2, v11
	v_add_u32_e32 v5, 6, v21
	v_and_b32_e32 v2, 0xfffff, v40
	v_add_u32_e32 v10, v2, v10
	v_mov_b32_e32 v11, v15
	v_cmp_ne_u32_e32 vcc, 0, v5
                                        ; implicit-def: $vgpr2
	s_and_saveexec_b64 s[20:21], vcc
	s_xor_b64 s[20:21], exec, s[20:21]
; %bb.8283:                             ;   in Loop: Header=BB4_7295 Depth=2
	v_cmp_lt_u64_e32 vcc, s[58:59], v[10:11]
	v_add_u32_e32 v2, 7, v21
	v_cndmask_b32_e32 v2, v5, v2, vcc
	v_cndmask_b32_e64 v5, 0, 1, vcc
	v_lshrrev_b64 v[10:11], v5, v[10:11]
; %bb.8284:                             ;   in Loop: Header=BB4_7295 Depth=2
	s_andn2_saveexec_b64 s[20:21], s[20:21]
; %bb.8285:                             ;   in Loop: Header=BB4_7295 Depth=2
	v_bfe_u32 v2, v10, 23, 1
; %bb.8286:                             ;   in Loop: Header=BB4_7295 Depth=2
	s_or_b64 exec, exec, s[20:21]
	v_lshrrev_b64 v[10:11], 20, v[10:11]
	v_cmp_gt_i32_e32 vcc, 16, v2
	v_cndmask_b32_e32 v11, 0, v11, vcc
	v_cndmask_b32_e32 v10, 7, v10, vcc
	v_cmp_eq_u32_e32 vcc, 0, v2
	v_min_i32_e32 v2, 15, v2
	v_cmp_eq_u64_e64 s[20:21], 0, v[10:11]
	v_lshlrev_b32_e32 v2, 3, v2
	v_and_b32_e32 v2, 0xf8, v2
	v_and_or_b32 v2, v10, 7, v2
	s_and_b64 s[20:21], vcc, s[20:21]
	v_cndmask_b32_e64 v2, v2, 0, s[20:21]
	v_or_b32_e32 v24, v2, v4
.LBB4_8287:                             ;   in Loop: Header=BB4_7295 Depth=2
	s_or_b64 exec, exec, s[88:89]
                                        ; implicit-def: $vgpr4
.LBB4_8288:                             ;   in Loop: Header=BB4_7295 Depth=2
	s_andn2_saveexec_b64 s[20:21], s[78:79]
; %bb.8289:                             ;   in Loop: Header=BB4_7295 Depth=2
	v_or_b32_e32 v24, 0x7e, v4
; %bb.8290:                             ;   in Loop: Header=BB4_7295 Depth=2
	s_or_b64 exec, exec, s[20:21]
                                        ; implicit-def: $vgpr2
.LBB4_8291:                             ;   in Loop: Header=BB4_7295 Depth=2
	s_andn2_saveexec_b64 s[20:21], s[76:77]
; %bb.8292:                             ;   in Loop: Header=BB4_7295 Depth=2
	v_or_b32_sdwa v24, v2, s39 dst_sel:DWORD dst_unused:UNUSED_PAD src0_sel:BYTE_3 src1_sel:DWORD
; %bb.8293:                             ;   in Loop: Header=BB4_7295 Depth=2
	s_or_b64 exec, exec, s[20:21]
	v_lshrrev_b16_e32 v10, 8, v14
	v_cmp_ne_u16_e32 vcc, 0, v10
	v_mov_b32_e32 v2, 0
	s_and_saveexec_b64 s[20:21], vcc
	s_cbranch_execz .LBB4_8299
; %bb.8294:                             ;   in Loop: Header=BB4_7295 Depth=2
	v_cmp_ne_u16_e32 vcc, s48, v10
	v_bfrev_b32_e32 v2, 1
	s_and_saveexec_b64 s[76:77], vcc
	s_cbranch_execz .LBB4_8298
; %bb.8295:                             ;   in Loop: Header=BB4_7295 Depth=2
	v_and_b32_e32 v4, 0x7f, v10
	v_cmp_ne_u32_e32 vcc, s39, v4
	v_mov_b32_e32 v2, 0x7f800001
	s_and_saveexec_b64 s[78:79], vcc
	s_cbranch_execz .LBB4_8297
; %bb.8296:                             ;   in Loop: Header=BB4_7295 Depth=2
	v_and_b32_e32 v2, 7, v10
	v_lshrrev_b32_e32 v11, 3, v4
	v_cmp_gt_u32_e32 vcc, 8, v4
	v_ffbh_u32_e32 v4, v2
	v_min_u32_e32 v21, 32, v4
	v_subrev_u32_e32 v4, 28, v21
	v_lshlrev_b64 v[4:5], v4, v[10:11]
	v_sub_u32_e32 v5, 29, v21
	v_and_b32_e32 v4, 7, v4
	v_cndmask_b32_e32 v5, v11, v5, vcc
	v_cndmask_b32_e32 v2, v2, v4, vcc
	v_lshlrev_b32_e32 v4, 16, v14
	v_bfrev_b32_e32 v10, 60
	v_lshlrev_b32_e32 v2, 20, v2
	v_and_b32_e32 v4, 0x80000000, v4
	v_lshl_add_u32 v5, v5, 23, v10
	v_or3_b32 v2, v4, v5, v2
.LBB4_8297:                             ;   in Loop: Header=BB4_7295 Depth=2
	s_or_b64 exec, exec, s[78:79]
.LBB4_8298:                             ;   in Loop: Header=BB4_7295 Depth=2
	s_or_b64 exec, exec, s[76:77]
.LBB4_8299:                             ;   in Loop: Header=BB4_7295 Depth=2
	s_or_b64 exec, exec, s[20:21]
	v_mul_f32_e32 v2, v61, v2
	v_and_b32_e32 v14, 0x7f800000, v2
	v_cmp_ne_u64_e32 vcc, s[46:47], v[14:15]
                                        ; implicit-def: $vgpr25
	s_and_saveexec_b64 s[20:21], vcc
	s_xor_b64 s[76:77], exec, s[20:21]
	s_cbranch_execz .LBB4_8313
; %bb.8300:                             ;   in Loop: Header=BB4_7295 Depth=2
	v_and_b32_e32 v14, 0x7fffffff, v2
	v_cmp_gt_u64_e32 vcc, s[56:57], v[14:15]
	v_and_b32_sdwa v4, v2, s48 dst_sel:DWORD dst_unused:UNUSED_PAD src0_sel:BYTE_3 src1_sel:DWORD
                                        ; implicit-def: $vgpr25
	s_and_saveexec_b64 s[20:21], vcc
	s_xor_b64 s[78:79], exec, s[20:21]
	s_cbranch_execz .LBB4_8310
; %bb.8301:                             ;   in Loop: Header=BB4_7295 Depth=2
	v_mov_b32_e32 v25, 0
	v_cmp_ne_u32_e32 vcc, 0, v2
	s_and_saveexec_b64 s[88:89], vcc
	s_cbranch_execz .LBB4_8309
; %bb.8302:                             ;   in Loop: Header=BB4_7295 Depth=2
	v_and_b32_e32 v10, 0x7fffff, v2
	v_bfe_u32 v2, v2, 23, 8
	v_cmp_gt_u32_e64 s[20:21], s49, v2
	v_sub_u32_e32 v5, 0x79, v2
	v_cmp_eq_u32_e32 vcc, 0, v2
	v_cndmask_b32_e64 v5, 0, v5, s[20:21]
	v_or_b32_e32 v11, 0x800000, v10
	v_cndmask_b32_e32 v5, v5, v47, vcc
	v_cndmask_b32_e32 v14, v11, v10, vcc
	v_add_u32_e32 v10, 20, v5
	v_lshlrev_b64 v[10:11], v10, -1
	v_add_u32_e32 v21, 19, v5
	v_lshlrev_b64 v[25:26], v21, 1
	v_bfi_b32 v11, v11, 0, 0
	v_bfi_b32 v10, v10, 0, v14
	v_cmp_eq_u64_e64 s[20:21], v[10:11], v[25:26]
	v_lshrrev_b64 v[10:11], v5, v[14:15]
	v_mov_b32_e32 v41, v11
	v_mov_b32_e32 v40, v10
	s_and_saveexec_b64 s[90:91], s[20:21]
; %bb.8303:                             ;   in Loop: Header=BB4_7295 Depth=2
	v_bfe_u32 v11, v10, 20, 1
	v_add_co_u32_e64 v11, s[20:21], v10, v11
	v_add_co_u32_e64 v40, s[20:21], -1, v11
; %bb.8304:                             ;   in Loop: Header=BB4_7295 Depth=2
	s_or_b64 exec, exec, s[90:91]
	v_add_u32_e32 v2, 0xffffff81, v2
	v_cndmask_b32_e32 v2, v2, v44, vcc
	v_lshrrev_b32_e32 v11, 23, v10
	v_add3_u32 v21, v5, v2, v11
	v_add_u32_e32 v5, 6, v21
	v_and_b32_e32 v2, 0xfffff, v40
	v_add_u32_e32 v14, v2, v10
	v_cmp_ne_u32_e32 vcc, 0, v5
                                        ; implicit-def: $vgpr10_vgpr11
                                        ; implicit-def: $vgpr2
	s_and_saveexec_b64 s[20:21], vcc
	s_xor_b64 s[20:21], exec, s[20:21]
; %bb.8305:                             ;   in Loop: Header=BB4_7295 Depth=2
	v_cmp_lt_u64_e32 vcc, s[58:59], v[14:15]
	v_add_u32_e32 v2, 7, v21
	v_cndmask_b32_e32 v2, v5, v2, vcc
	v_cndmask_b32_e64 v5, 0, 1, vcc
	v_lshrrev_b64 v[10:11], v5, v[14:15]
; %bb.8306:                             ;   in Loop: Header=BB4_7295 Depth=2
	s_andn2_saveexec_b64 s[20:21], s[20:21]
; %bb.8307:                             ;   in Loop: Header=BB4_7295 Depth=2
	v_mov_b32_e32 v10, v14
	v_bfe_u32 v2, v14, 23, 1
	v_mov_b32_e32 v11, v15
; %bb.8308:                             ;   in Loop: Header=BB4_7295 Depth=2
	s_or_b64 exec, exec, s[20:21]
	v_lshrrev_b64 v[10:11], 20, v[10:11]
	v_cmp_gt_i32_e32 vcc, 16, v2
	v_cndmask_b32_e32 v11, 0, v11, vcc
	v_cndmask_b32_e32 v10, 7, v10, vcc
	v_cmp_eq_u32_e32 vcc, 0, v2
	v_min_i32_e32 v2, 15, v2
	v_cmp_eq_u64_e64 s[20:21], 0, v[10:11]
	v_lshlrev_b32_e32 v2, 3, v2
	v_and_b32_e32 v2, 0xf8, v2
	v_and_or_b32 v2, v10, 7, v2
	s_and_b64 s[20:21], vcc, s[20:21]
	v_cndmask_b32_e64 v2, v2, 0, s[20:21]
	v_or_b32_e32 v25, v2, v4
.LBB4_8309:                             ;   in Loop: Header=BB4_7295 Depth=2
	s_or_b64 exec, exec, s[88:89]
                                        ; implicit-def: $vgpr4
.LBB4_8310:                             ;   in Loop: Header=BB4_7295 Depth=2
	s_andn2_saveexec_b64 s[20:21], s[78:79]
; %bb.8311:                             ;   in Loop: Header=BB4_7295 Depth=2
	v_or_b32_e32 v25, 0x7e, v4
; %bb.8312:                             ;   in Loop: Header=BB4_7295 Depth=2
	s_or_b64 exec, exec, s[20:21]
                                        ; implicit-def: $vgpr2
.LBB4_8313:                             ;   in Loop: Header=BB4_7295 Depth=2
	s_andn2_saveexec_b64 s[20:21], s[76:77]
; %bb.8314:                             ;   in Loop: Header=BB4_7295 Depth=2
	v_or_b32_sdwa v25, v2, s39 dst_sel:DWORD dst_unused:UNUSED_PAD src0_sel:BYTE_3 src1_sel:DWORD
; %bb.8315:                             ;   in Loop: Header=BB4_7295 Depth=2
	s_or_b64 exec, exec, s[20:21]
	v_lshrrev_b32_e32 v10, 16, v13
	v_cmp_ne_u16_sdwa s[76:77], v10, v15 src0_sel:BYTE_0 src1_sel:DWORD
	v_mov_b32_e32 v2, 0
	s_and_saveexec_b64 s[20:21], s[76:77]
	s_cbranch_execz .LBB4_8321
; %bb.8316:                             ;   in Loop: Header=BB4_7295 Depth=2
	v_cmp_ne_u16_sdwa s[78:79], v10, s48 src0_sel:BYTE_0 src1_sel:DWORD
	v_bfrev_b32_e32 v2, 1
	s_and_saveexec_b64 s[76:77], s[78:79]
	s_cbranch_execz .LBB4_8320
; %bb.8317:                             ;   in Loop: Header=BB4_7295 Depth=2
	v_bfe_u32 v4, v13, 16, 7
	v_cmp_ne_u32_e32 vcc, s39, v4
	v_mov_b32_e32 v2, 0x7f800001
	s_and_saveexec_b64 s[78:79], vcc
	s_cbranch_execz .LBB4_8319
; %bb.8318:                             ;   in Loop: Header=BB4_7295 Depth=2
	v_and_b32_e32 v2, 7, v10
	v_lshrrev_b32_e32 v11, 3, v4
	v_cmp_gt_u32_e32 vcc, 8, v4
	v_ffbh_u32_e32 v4, v2
	v_min_u32_e32 v14, 32, v4
	v_subrev_u32_e32 v4, 28, v14
	v_lshlrev_b64 v[4:5], v4, v[10:11]
	v_sub_u32_e32 v5, 29, v14
	v_and_b32_e32 v4, 7, v4
	v_cndmask_b32_e32 v5, v11, v5, vcc
	v_cndmask_b32_e32 v2, v2, v4, vcc
	v_lshlrev_b32_e32 v4, 24, v10
	v_bfrev_b32_e32 v10, 60
	v_lshlrev_b32_e32 v2, 20, v2
	v_and_b32_e32 v4, 0x80000000, v4
	v_lshl_add_u32 v5, v5, 23, v10
	v_or3_b32 v2, v4, v5, v2
.LBB4_8319:                             ;   in Loop: Header=BB4_7295 Depth=2
	s_or_b64 exec, exec, s[78:79]
.LBB4_8320:                             ;   in Loop: Header=BB4_7295 Depth=2
	s_or_b64 exec, exec, s[76:77]
.LBB4_8321:                             ;   in Loop: Header=BB4_7295 Depth=2
	s_or_b64 exec, exec, s[20:21]
	v_mul_f32_e32 v2, v61, v2
	v_and_b32_e32 v14, 0x7f800000, v2
	v_cmp_ne_u64_e32 vcc, s[46:47], v[14:15]
                                        ; implicit-def: $vgpr43
	s_and_saveexec_b64 s[20:21], vcc
	s_xor_b64 s[76:77], exec, s[20:21]
	s_cbranch_execz .LBB4_8335
; %bb.8322:                             ;   in Loop: Header=BB4_7295 Depth=2
	v_and_b32_e32 v14, 0x7fffffff, v2
	v_cmp_gt_u64_e32 vcc, s[56:57], v[14:15]
	v_and_b32_sdwa v4, v2, s48 dst_sel:DWORD dst_unused:UNUSED_PAD src0_sel:BYTE_3 src1_sel:DWORD
                                        ; implicit-def: $vgpr43
	s_and_saveexec_b64 s[20:21], vcc
	s_xor_b64 s[78:79], exec, s[20:21]
	s_cbranch_execz .LBB4_8332
; %bb.8323:                             ;   in Loop: Header=BB4_7295 Depth=2
	v_mov_b32_e32 v43, 0
	v_cmp_ne_u32_e32 vcc, 0, v2
	s_and_saveexec_b64 s[88:89], vcc
	s_cbranch_execz .LBB4_8331
; %bb.8324:                             ;   in Loop: Header=BB4_7295 Depth=2
	v_and_b32_e32 v10, 0x7fffff, v2
	v_bfe_u32 v2, v2, 23, 8
	v_cmp_gt_u32_e64 s[20:21], s49, v2
	v_sub_u32_e32 v5, 0x79, v2
	v_cmp_eq_u32_e32 vcc, 0, v2
	v_cndmask_b32_e64 v5, 0, v5, s[20:21]
	v_or_b32_e32 v11, 0x800000, v10
	v_cndmask_b32_e32 v5, v5, v47, vcc
	v_cndmask_b32_e32 v14, v11, v10, vcc
	v_add_u32_e32 v10, 20, v5
	v_lshlrev_b64 v[10:11], v10, -1
	v_add_u32_e32 v21, 19, v5
	v_lshlrev_b64 v[26:27], v21, 1
	v_bfi_b32 v11, v11, 0, 0
	v_bfi_b32 v10, v10, 0, v14
	v_cmp_eq_u64_e64 s[20:21], v[10:11], v[26:27]
	v_lshrrev_b64 v[10:11], v5, v[14:15]
	v_mov_b32_e32 v41, v11
	v_mov_b32_e32 v40, v10
	s_and_saveexec_b64 s[90:91], s[20:21]
; %bb.8325:                             ;   in Loop: Header=BB4_7295 Depth=2
	v_bfe_u32 v11, v10, 20, 1
	v_add_co_u32_e64 v11, s[20:21], v10, v11
	v_add_co_u32_e64 v40, s[20:21], -1, v11
; %bb.8326:                             ;   in Loop: Header=BB4_7295 Depth=2
	s_or_b64 exec, exec, s[90:91]
	v_add_u32_e32 v2, 0xffffff81, v2
	v_cndmask_b32_e32 v2, v2, v44, vcc
	v_lshrrev_b32_e32 v11, 23, v10
	v_add3_u32 v21, v5, v2, v11
	v_add_u32_e32 v5, 6, v21
	v_and_b32_e32 v2, 0xfffff, v40
	v_add_u32_e32 v14, v2, v10
	v_cmp_ne_u32_e32 vcc, 0, v5
                                        ; implicit-def: $vgpr10_vgpr11
                                        ; implicit-def: $vgpr2
	s_and_saveexec_b64 s[20:21], vcc
	s_xor_b64 s[20:21], exec, s[20:21]
; %bb.8327:                             ;   in Loop: Header=BB4_7295 Depth=2
	v_cmp_lt_u64_e32 vcc, s[58:59], v[14:15]
	v_add_u32_e32 v2, 7, v21
	v_cndmask_b32_e32 v2, v5, v2, vcc
	v_cndmask_b32_e64 v5, 0, 1, vcc
	v_lshrrev_b64 v[10:11], v5, v[14:15]
; %bb.8328:                             ;   in Loop: Header=BB4_7295 Depth=2
	s_andn2_saveexec_b64 s[20:21], s[20:21]
; %bb.8329:                             ;   in Loop: Header=BB4_7295 Depth=2
	v_mov_b32_e32 v10, v14
	v_bfe_u32 v2, v14, 23, 1
	v_mov_b32_e32 v11, v15
; %bb.8330:                             ;   in Loop: Header=BB4_7295 Depth=2
	s_or_b64 exec, exec, s[20:21]
	v_lshrrev_b64 v[10:11], 20, v[10:11]
	v_cmp_gt_i32_e32 vcc, 16, v2
	v_cndmask_b32_e32 v11, 0, v11, vcc
	v_cndmask_b32_e32 v10, 7, v10, vcc
	v_cmp_eq_u32_e32 vcc, 0, v2
	v_min_i32_e32 v2, 15, v2
	v_cmp_eq_u64_e64 s[20:21], 0, v[10:11]
	v_lshlrev_b32_e32 v2, 3, v2
	v_and_b32_e32 v2, 0xf8, v2
	v_and_or_b32 v2, v10, 7, v2
	s_and_b64 s[20:21], vcc, s[20:21]
	v_cndmask_b32_e64 v2, v2, 0, s[20:21]
	v_or_b32_e32 v43, v2, v4
.LBB4_8331:                             ;   in Loop: Header=BB4_7295 Depth=2
	s_or_b64 exec, exec, s[88:89]
                                        ; implicit-def: $vgpr4
.LBB4_8332:                             ;   in Loop: Header=BB4_7295 Depth=2
	s_andn2_saveexec_b64 s[20:21], s[78:79]
; %bb.8333:                             ;   in Loop: Header=BB4_7295 Depth=2
	v_or_b32_e32 v43, 0x7e, v4
; %bb.8334:                             ;   in Loop: Header=BB4_7295 Depth=2
	s_or_b64 exec, exec, s[20:21]
                                        ; implicit-def: $vgpr2
.LBB4_8335:                             ;   in Loop: Header=BB4_7295 Depth=2
	s_andn2_saveexec_b64 s[20:21], s[76:77]
; %bb.8336:                             ;   in Loop: Header=BB4_7295 Depth=2
	v_or_b32_sdwa v43, v2, s39 dst_sel:DWORD dst_unused:UNUSED_PAD src0_sel:BYTE_3 src1_sel:DWORD
; %bb.8337:                             ;   in Loop: Header=BB4_7295 Depth=2
	s_or_b64 exec, exec, s[20:21]
	v_cmp_lt_u64_e32 vcc, s[60:61], v[12:13]
	v_mov_b32_e32 v2, 0
	s_and_saveexec_b64 s[20:21], vcc
	s_cbranch_execz .LBB4_8343
; %bb.8338:                             ;   in Loop: Header=BB4_7295 Depth=2
	v_lshrrev_b32_e32 v10, 24, v13
	v_cmp_ne_u32_e32 vcc, s48, v10
	v_bfrev_b32_e32 v2, 1
	s_and_saveexec_b64 s[76:77], vcc
	s_cbranch_execz .LBB4_8342
; %bb.8339:                             ;   in Loop: Header=BB4_7295 Depth=2
	v_bfe_u32 v4, v13, 24, 7
	v_cmp_ne_u32_e32 vcc, s39, v4
	v_mov_b32_e32 v2, 0x7f800001
	s_and_saveexec_b64 s[78:79], vcc
	s_cbranch_execz .LBB4_8341
; %bb.8340:                             ;   in Loop: Header=BB4_7295 Depth=2
	v_and_b32_e32 v2, 7, v10
	v_lshrrev_b32_e32 v11, 3, v4
	v_cmp_gt_u32_e32 vcc, 8, v4
	v_ffbh_u32_e32 v4, v2
	v_min_u32_e32 v12, 32, v4
	v_subrev_u32_e32 v4, 28, v12
	v_lshlrev_b64 v[4:5], v4, v[10:11]
	v_sub_u32_e32 v5, 29, v12
	v_and_b32_e32 v4, 7, v4
	v_cndmask_b32_e32 v5, v11, v5, vcc
	v_cndmask_b32_e32 v2, v2, v4, vcc
	v_lshlrev_b32_e32 v4, 24, v10
	v_bfrev_b32_e32 v10, 60
	v_lshlrev_b32_e32 v2, 20, v2
	v_and_b32_e32 v4, 0x80000000, v4
	v_lshl_add_u32 v5, v5, 23, v10
	v_or3_b32 v2, v4, v5, v2
.LBB4_8341:                             ;   in Loop: Header=BB4_7295 Depth=2
	s_or_b64 exec, exec, s[78:79]
.LBB4_8342:                             ;   in Loop: Header=BB4_7295 Depth=2
	s_or_b64 exec, exec, s[76:77]
.LBB4_8343:                             ;   in Loop: Header=BB4_7295 Depth=2
	s_or_b64 exec, exec, s[20:21]
	v_mul_f32_e32 v2, v61, v2
	v_and_b32_e32 v14, 0x7f800000, v2
	v_cmp_ne_u64_e32 vcc, s[46:47], v[14:15]
                                        ; implicit-def: $vgpr35
	s_and_saveexec_b64 s[20:21], vcc
	s_xor_b64 s[76:77], exec, s[20:21]
	s_cbranch_execz .LBB4_8357
; %bb.8344:                             ;   in Loop: Header=BB4_7295 Depth=2
	v_and_b32_e32 v14, 0x7fffffff, v2
	v_cmp_gt_u64_e32 vcc, s[56:57], v[14:15]
	v_and_b32_sdwa v4, v2, s48 dst_sel:DWORD dst_unused:UNUSED_PAD src0_sel:BYTE_3 src1_sel:DWORD
                                        ; implicit-def: $vgpr35
	s_and_saveexec_b64 s[20:21], vcc
	s_xor_b64 s[78:79], exec, s[20:21]
	s_cbranch_execz .LBB4_8354
; %bb.8345:                             ;   in Loop: Header=BB4_7295 Depth=2
	v_mov_b32_e32 v35, 0
	v_cmp_ne_u32_e32 vcc, 0, v2
	s_and_saveexec_b64 s[88:89], vcc
	s_cbranch_execz .LBB4_8353
; %bb.8346:                             ;   in Loop: Header=BB4_7295 Depth=2
	v_and_b32_e32 v10, 0x7fffff, v2
	v_bfe_u32 v2, v2, 23, 8
	v_cmp_gt_u32_e64 s[20:21], s49, v2
	v_sub_u32_e32 v5, 0x79, v2
	v_cmp_eq_u32_e32 vcc, 0, v2
	v_cndmask_b32_e64 v5, 0, v5, s[20:21]
	v_or_b32_e32 v11, 0x800000, v10
	v_cndmask_b32_e32 v5, v5, v47, vcc
	v_cndmask_b32_e32 v14, v11, v10, vcc
	v_add_u32_e32 v10, 20, v5
	v_lshlrev_b64 v[10:11], v10, -1
	v_add_u32_e32 v12, 19, v5
	v_lshlrev_b64 v[12:13], v12, 1
	v_bfi_b32 v11, v11, 0, 0
	v_bfi_b32 v10, v10, 0, v14
	v_cmp_eq_u64_e64 s[20:21], v[10:11], v[12:13]
	v_lshrrev_b64 v[10:11], v5, v[14:15]
	v_mov_b32_e32 v12, v11
	v_mov_b32_e32 v11, v10
	s_and_saveexec_b64 s[90:91], s[20:21]
; %bb.8347:                             ;   in Loop: Header=BB4_7295 Depth=2
	v_bfe_u32 v11, v10, 20, 1
	v_add_co_u32_e64 v11, s[20:21], v10, v11
	v_add_co_u32_e64 v11, s[20:21], -1, v11
; %bb.8348:                             ;   in Loop: Header=BB4_7295 Depth=2
	s_or_b64 exec, exec, s[90:91]
	v_add_u32_e32 v2, 0xffffff81, v2
	v_cndmask_b32_e32 v2, v2, v44, vcc
	v_lshrrev_b32_e32 v12, 23, v10
	v_add3_u32 v12, v5, v2, v12
	v_add_u32_e32 v5, 6, v12
	v_and_b32_e32 v2, 0xfffff, v11
	v_add_u32_e32 v14, v2, v10
	v_cmp_ne_u32_e32 vcc, 0, v5
                                        ; implicit-def: $vgpr10_vgpr11
                                        ; implicit-def: $vgpr2
	s_and_saveexec_b64 s[20:21], vcc
	s_xor_b64 s[20:21], exec, s[20:21]
; %bb.8349:                             ;   in Loop: Header=BB4_7295 Depth=2
	v_cmp_lt_u64_e32 vcc, s[58:59], v[14:15]
	v_add_u32_e32 v2, 7, v12
	v_cndmask_b32_e32 v2, v5, v2, vcc
	v_cndmask_b32_e64 v5, 0, 1, vcc
	v_lshrrev_b64 v[10:11], v5, v[14:15]
; %bb.8350:                             ;   in Loop: Header=BB4_7295 Depth=2
	s_andn2_saveexec_b64 s[20:21], s[20:21]
; %bb.8351:                             ;   in Loop: Header=BB4_7295 Depth=2
	v_mov_b32_e32 v10, v14
	v_bfe_u32 v2, v14, 23, 1
	v_mov_b32_e32 v11, v15
; %bb.8352:                             ;   in Loop: Header=BB4_7295 Depth=2
	s_or_b64 exec, exec, s[20:21]
	v_lshrrev_b64 v[10:11], 20, v[10:11]
	v_cmp_gt_i32_e32 vcc, 16, v2
	v_cndmask_b32_e32 v11, 0, v11, vcc
	v_cndmask_b32_e32 v10, 7, v10, vcc
	v_cmp_eq_u32_e32 vcc, 0, v2
	v_min_i32_e32 v2, 15, v2
	v_cmp_eq_u64_e64 s[20:21], 0, v[10:11]
	v_lshlrev_b32_e32 v2, 3, v2
	v_and_b32_e32 v2, 0xf8, v2
	v_and_or_b32 v2, v10, 7, v2
	s_and_b64 s[20:21], vcc, s[20:21]
	v_cndmask_b32_e64 v2, v2, 0, s[20:21]
	v_or_b32_e32 v35, v2, v4
.LBB4_8353:                             ;   in Loop: Header=BB4_7295 Depth=2
	s_or_b64 exec, exec, s[88:89]
                                        ; implicit-def: $vgpr4
.LBB4_8354:                             ;   in Loop: Header=BB4_7295 Depth=2
	s_andn2_saveexec_b64 s[20:21], s[78:79]
; %bb.8355:                             ;   in Loop: Header=BB4_7295 Depth=2
	v_or_b32_e32 v35, 0x7e, v4
; %bb.8356:                             ;   in Loop: Header=BB4_7295 Depth=2
	s_or_b64 exec, exec, s[20:21]
                                        ; implicit-def: $vgpr2
.LBB4_8357:                             ;   in Loop: Header=BB4_7295 Depth=2
	s_andn2_saveexec_b64 s[20:21], s[76:77]
; %bb.8358:                             ;   in Loop: Header=BB4_7295 Depth=2
	v_or_b32_sdwa v35, v2, s39 dst_sel:DWORD dst_unused:UNUSED_PAD src0_sel:BYTE_3 src1_sel:DWORD
; %bb.8359:                             ;   in Loop: Header=BB4_7295 Depth=2
	s_or_b64 exec, exec, s[20:21]
	global_load_dwordx4 v[10:13], v[54:55], off offset:3072 glc slc
	v_mov_b32_e32 v2, 0
	s_waitcnt vmcnt(0)
	v_cmp_ne_u16_sdwa s[76:77], v10, v15 src0_sel:BYTE_0 src1_sel:DWORD
	s_and_saveexec_b64 s[20:21], s[76:77]
	s_cbranch_execz .LBB4_8365
; %bb.8360:                             ;   in Loop: Header=BB4_7295 Depth=2
	v_cmp_ne_u16_sdwa s[78:79], v10, s48 src0_sel:BYTE_0 src1_sel:DWORD
	v_bfrev_b32_e32 v2, 1
	s_and_saveexec_b64 s[76:77], s[78:79]
	s_cbranch_execz .LBB4_8364
; %bb.8361:                             ;   in Loop: Header=BB4_7295 Depth=2
	v_and_b32_e32 v4, 0x7f, v10
	v_cmp_ne_u32_e32 vcc, s39, v4
	v_mov_b32_e32 v2, 0x7f800001
	s_and_saveexec_b64 s[78:79], vcc
	s_cbranch_execz .LBB4_8363
; %bb.8362:                             ;   in Loop: Header=BB4_7295 Depth=2
	v_and_b32_e32 v2, 7, v10
	v_ffbh_u32_e32 v2, v2
	v_min_u32_e32 v2, 32, v2
	v_lshrrev_b32_e32 v5, 3, v4
	v_cmp_gt_u32_e32 vcc, 8, v4
	v_subrev_u32_e32 v4, 28, v2
	v_sub_u32_e32 v2, 29, v2
	v_cndmask_b32_e32 v4, 0, v4, vcc
	v_cndmask_b32_e32 v2, v5, v2, vcc
	v_lshlrev_b64 v[4:5], v4, v[10:11]
	v_lshlrev_b32_e32 v5, 24, v10
	v_lshlrev_b32_e32 v4, 20, v4
	v_bfrev_b32_e32 v14, 60
	v_and_b32_e32 v4, 0x700000, v4
	v_and_b32_e32 v5, 0x80000000, v5
	v_lshl_add_u32 v2, v2, 23, v14
	v_or3_b32 v2, v5, v2, v4
.LBB4_8363:                             ;   in Loop: Header=BB4_7295 Depth=2
	s_or_b64 exec, exec, s[78:79]
.LBB4_8364:                             ;   in Loop: Header=BB4_7295 Depth=2
	s_or_b64 exec, exec, s[76:77]
.LBB4_8365:                             ;   in Loop: Header=BB4_7295 Depth=2
	s_or_b64 exec, exec, s[20:21]
	v_mul_f32_e32 v2, v61, v2
	v_and_b32_e32 v14, 0x7f800000, v2
	v_cmp_ne_u64_e32 vcc, s[46:47], v[14:15]
                                        ; implicit-def: $vgpr60
	s_and_saveexec_b64 s[20:21], vcc
	s_xor_b64 s[76:77], exec, s[20:21]
	s_cbranch_execz .LBB4_8379
; %bb.8366:                             ;   in Loop: Header=BB4_7295 Depth=2
	v_and_b32_e32 v14, 0x7fffffff, v2
	v_cmp_gt_u64_e32 vcc, s[56:57], v[14:15]
	v_and_b32_sdwa v4, v2, s48 dst_sel:DWORD dst_unused:UNUSED_PAD src0_sel:BYTE_3 src1_sel:DWORD
                                        ; implicit-def: $vgpr60
	s_and_saveexec_b64 s[20:21], vcc
	s_xor_b64 s[78:79], exec, s[20:21]
	s_cbranch_execz .LBB4_8376
; %bb.8367:                             ;   in Loop: Header=BB4_7295 Depth=2
	v_mov_b32_e32 v60, 0
	v_cmp_ne_u32_e32 vcc, 0, v2
	s_and_saveexec_b64 s[88:89], vcc
	s_cbranch_execz .LBB4_8375
; %bb.8368:                             ;   in Loop: Header=BB4_7295 Depth=2
	v_and_b32_e32 v14, 0x7fffff, v2
	v_bfe_u32 v2, v2, 23, 8
	v_cmp_gt_u32_e64 s[20:21], s49, v2
	v_sub_u32_e32 v5, 0x79, v2
	v_cmp_eq_u32_e32 vcc, 0, v2
	v_cndmask_b32_e64 v5, 0, v5, s[20:21]
	v_or_b32_e32 v21, 0x800000, v14
	v_cndmask_b32_e32 v5, v5, v47, vcc
	v_cndmask_b32_e32 v14, v21, v14, vcc
	v_add_u32_e32 v21, 20, v5
	v_lshlrev_b64 v[26:27], v21, -1
	v_add_u32_e32 v21, 19, v5
	v_lshlrev_b64 v[28:29], v21, 1
	v_bfi_b32 v27, v27, 0, 0
	v_bfi_b32 v26, v26, 0, v14
	v_lshrrev_b64 v[54:55], v5, v[14:15]
	v_cmp_eq_u64_e64 s[20:21], v[26:27], v[28:29]
	v_mov_b32_e32 v40, v54
	v_mov_b32_e32 v41, v55
	s_and_saveexec_b64 s[90:91], s[20:21]
; %bb.8369:                             ;   in Loop: Header=BB4_7295 Depth=2
	v_bfe_u32 v14, v54, 20, 1
	v_add_co_u32_e64 v14, s[20:21], v54, v14
	v_add_co_u32_e64 v40, s[20:21], -1, v14
; %bb.8370:                             ;   in Loop: Header=BB4_7295 Depth=2
	s_or_b64 exec, exec, s[90:91]
	v_add_u32_e32 v2, 0xffffff81, v2
	v_cndmask_b32_e32 v2, v2, v44, vcc
	v_lshrrev_b32_e32 v14, 23, v54
	v_add3_u32 v21, v5, v2, v14
	v_add_u32_e32 v5, 6, v21
	v_and_b32_e32 v2, 0xfffff, v40
	v_add_u32_e32 v14, v2, v54
	v_cmp_ne_u32_e32 vcc, 0, v5
                                        ; implicit-def: $vgpr54_vgpr55
                                        ; implicit-def: $vgpr2
	s_and_saveexec_b64 s[20:21], vcc
	s_xor_b64 s[20:21], exec, s[20:21]
; %bb.8371:                             ;   in Loop: Header=BB4_7295 Depth=2
	v_cmp_lt_u64_e32 vcc, s[58:59], v[14:15]
	v_add_u32_e32 v2, 7, v21
	v_cndmask_b32_e32 v2, v5, v2, vcc
	v_cndmask_b32_e64 v5, 0, 1, vcc
	v_lshrrev_b64 v[54:55], v5, v[14:15]
; %bb.8372:                             ;   in Loop: Header=BB4_7295 Depth=2
	s_andn2_saveexec_b64 s[20:21], s[20:21]
; %bb.8373:                             ;   in Loop: Header=BB4_7295 Depth=2
	v_mov_b32_e32 v55, v15
	v_bfe_u32 v2, v14, 23, 1
	v_mov_b32_e32 v54, v14
; %bb.8374:                             ;   in Loop: Header=BB4_7295 Depth=2
	s_or_b64 exec, exec, s[20:21]
	v_lshrrev_b64 v[26:27], 20, v[54:55]
	v_cmp_gt_i32_e32 vcc, 16, v2
	v_cndmask_b32_e32 v27, 0, v27, vcc
	v_cndmask_b32_e32 v26, 7, v26, vcc
	v_cmp_eq_u32_e32 vcc, 0, v2
	v_min_i32_e32 v2, 15, v2
	v_cmp_eq_u64_e64 s[20:21], 0, v[26:27]
	v_lshlrev_b32_e32 v2, 3, v2
	v_and_b32_e32 v2, 0xf8, v2
	v_and_or_b32 v2, v26, 7, v2
	s_and_b64 s[20:21], vcc, s[20:21]
	v_cndmask_b32_e64 v2, v2, 0, s[20:21]
	v_or_b32_e32 v60, v2, v4
.LBB4_8375:                             ;   in Loop: Header=BB4_7295 Depth=2
	s_or_b64 exec, exec, s[88:89]
                                        ; implicit-def: $vgpr4
.LBB4_8376:                             ;   in Loop: Header=BB4_7295 Depth=2
	s_andn2_saveexec_b64 s[20:21], s[78:79]
; %bb.8377:                             ;   in Loop: Header=BB4_7295 Depth=2
	v_or_b32_e32 v60, 0x7e, v4
; %bb.8378:                             ;   in Loop: Header=BB4_7295 Depth=2
	s_or_b64 exec, exec, s[20:21]
                                        ; implicit-def: $vgpr2
.LBB4_8379:                             ;   in Loop: Header=BB4_7295 Depth=2
	s_andn2_saveexec_b64 s[20:21], s[76:77]
; %bb.8380:                             ;   in Loop: Header=BB4_7295 Depth=2
	v_or_b32_sdwa v60, v2, s39 dst_sel:DWORD dst_unused:UNUSED_PAD src0_sel:BYTE_3 src1_sel:DWORD
; %bb.8381:                             ;   in Loop: Header=BB4_7295 Depth=2
	s_or_b64 exec, exec, s[20:21]
	v_lshrrev_b16_e32 v14, 8, v10
	v_cmp_ne_u16_e32 vcc, 0, v14
	v_mov_b32_e32 v2, 0
	s_and_saveexec_b64 s[20:21], vcc
	s_cbranch_execz .LBB4_8387
; %bb.8382:                             ;   in Loop: Header=BB4_7295 Depth=2
	v_cmp_ne_u16_e32 vcc, s48, v14
	v_bfrev_b32_e32 v2, 1
	s_and_saveexec_b64 s[76:77], vcc
	s_cbranch_execz .LBB4_8386
; %bb.8383:                             ;   in Loop: Header=BB4_7295 Depth=2
	v_and_b32_e32 v4, 0x7f, v14
	v_cmp_ne_u32_e32 vcc, s39, v4
	v_mov_b32_e32 v2, 0x7f800001
	s_and_saveexec_b64 s[78:79], vcc
	s_cbranch_execz .LBB4_8385
; %bb.8384:                             ;   in Loop: Header=BB4_7295 Depth=2
	v_and_b32_e32 v2, 7, v14
	v_lshrrev_b32_e32 v21, 3, v4
	v_cmp_gt_u32_e32 vcc, 8, v4
	v_ffbh_u32_e32 v4, v2
	v_min_u32_e32 v26, 32, v4
	v_subrev_u32_e32 v4, 28, v26
	v_lshlrev_b64 v[4:5], v4, v[14:15]
	v_sub_u32_e32 v5, 29, v26
	v_and_b32_e32 v4, 7, v4
	v_cndmask_b32_e32 v5, v21, v5, vcc
	v_cndmask_b32_e32 v2, v2, v4, vcc
	v_lshlrev_b32_e32 v4, 16, v10
	v_bfrev_b32_e32 v14, 60
	v_lshlrev_b32_e32 v2, 20, v2
	v_and_b32_e32 v4, 0x80000000, v4
	v_lshl_add_u32 v5, v5, 23, v14
	v_or3_b32 v2, v4, v5, v2
.LBB4_8385:                             ;   in Loop: Header=BB4_7295 Depth=2
	s_or_b64 exec, exec, s[78:79]
.LBB4_8386:                             ;   in Loop: Header=BB4_7295 Depth=2
	s_or_b64 exec, exec, s[76:77]
.LBB4_8387:                             ;   in Loop: Header=BB4_7295 Depth=2
	s_or_b64 exec, exec, s[20:21]
	v_mul_f32_e32 v2, v61, v2
	v_and_b32_e32 v14, 0x7f800000, v2
	v_cmp_ne_u64_e32 vcc, s[46:47], v[14:15]
                                        ; implicit-def: $vgpr21
	s_and_saveexec_b64 s[20:21], vcc
	s_xor_b64 s[76:77], exec, s[20:21]
	s_cbranch_execz .LBB4_8401
; %bb.8388:                             ;   in Loop: Header=BB4_7295 Depth=2
	v_and_b32_e32 v14, 0x7fffffff, v2
	v_cmp_gt_u64_e32 vcc, s[56:57], v[14:15]
	v_and_b32_sdwa v4, v2, s48 dst_sel:DWORD dst_unused:UNUSED_PAD src0_sel:BYTE_3 src1_sel:DWORD
                                        ; implicit-def: $vgpr21
	s_and_saveexec_b64 s[20:21], vcc
	s_xor_b64 s[78:79], exec, s[20:21]
	s_cbranch_execz .LBB4_8398
; %bb.8389:                             ;   in Loop: Header=BB4_7295 Depth=2
	v_mov_b32_e32 v21, 0
	v_cmp_ne_u32_e32 vcc, 0, v2
	s_and_saveexec_b64 s[88:89], vcc
	s_cbranch_execz .LBB4_8397
; %bb.8390:                             ;   in Loop: Header=BB4_7295 Depth=2
	v_and_b32_e32 v14, 0x7fffff, v2
	v_bfe_u32 v2, v2, 23, 8
	v_cmp_gt_u32_e64 s[20:21], s49, v2
	v_sub_u32_e32 v5, 0x79, v2
	v_cmp_eq_u32_e32 vcc, 0, v2
	v_cndmask_b32_e64 v5, 0, v5, s[20:21]
	v_or_b32_e32 v21, 0x800000, v14
	v_cndmask_b32_e32 v5, v5, v47, vcc
	v_cndmask_b32_e32 v14, v21, v14, vcc
	v_add_u32_e32 v21, 20, v5
	v_lshlrev_b64 v[26:27], v21, -1
	v_add_u32_e32 v21, 19, v5
	v_lshlrev_b64 v[28:29], v21, 1
	v_bfi_b32 v27, v27, 0, 0
	v_bfi_b32 v26, v26, 0, v14
	v_lshrrev_b64 v[54:55], v5, v[14:15]
	v_cmp_eq_u64_e64 s[20:21], v[26:27], v[28:29]
	v_mov_b32_e32 v40, v54
	v_mov_b32_e32 v41, v55
	s_and_saveexec_b64 s[90:91], s[20:21]
; %bb.8391:                             ;   in Loop: Header=BB4_7295 Depth=2
	v_bfe_u32 v14, v54, 20, 1
	v_add_co_u32_e64 v14, s[20:21], v54, v14
	v_add_co_u32_e64 v40, s[20:21], -1, v14
; %bb.8392:                             ;   in Loop: Header=BB4_7295 Depth=2
	s_or_b64 exec, exec, s[90:91]
	v_add_u32_e32 v2, 0xffffff81, v2
	v_cndmask_b32_e32 v2, v2, v44, vcc
	v_lshrrev_b32_e32 v14, 23, v54
	v_add3_u32 v21, v5, v2, v14
	v_add_u32_e32 v5, 6, v21
	v_and_b32_e32 v2, 0xfffff, v40
	v_add_u32_e32 v14, v2, v54
	v_cmp_ne_u32_e32 vcc, 0, v5
                                        ; implicit-def: $vgpr54_vgpr55
                                        ; implicit-def: $vgpr2
	s_and_saveexec_b64 s[20:21], vcc
	s_xor_b64 s[20:21], exec, s[20:21]
; %bb.8393:                             ;   in Loop: Header=BB4_7295 Depth=2
	v_cmp_lt_u64_e32 vcc, s[58:59], v[14:15]
	v_add_u32_e32 v2, 7, v21
	v_cndmask_b32_e32 v2, v5, v2, vcc
	v_cndmask_b32_e64 v5, 0, 1, vcc
	v_lshrrev_b64 v[54:55], v5, v[14:15]
; %bb.8394:                             ;   in Loop: Header=BB4_7295 Depth=2
	s_andn2_saveexec_b64 s[20:21], s[20:21]
; %bb.8395:                             ;   in Loop: Header=BB4_7295 Depth=2
	v_mov_b32_e32 v55, v15
	v_bfe_u32 v2, v14, 23, 1
	v_mov_b32_e32 v54, v14
; %bb.8396:                             ;   in Loop: Header=BB4_7295 Depth=2
	s_or_b64 exec, exec, s[20:21]
	v_lshrrev_b64 v[26:27], 20, v[54:55]
	v_cmp_gt_i32_e32 vcc, 16, v2
	v_cndmask_b32_e32 v27, 0, v27, vcc
	v_cndmask_b32_e32 v26, 7, v26, vcc
	v_cmp_eq_u32_e32 vcc, 0, v2
	v_min_i32_e32 v2, 15, v2
	v_cmp_eq_u64_e64 s[20:21], 0, v[26:27]
	v_lshlrev_b32_e32 v2, 3, v2
	v_and_b32_e32 v2, 0xf8, v2
	v_and_or_b32 v2, v26, 7, v2
	s_and_b64 s[20:21], vcc, s[20:21]
	v_cndmask_b32_e64 v2, v2, 0, s[20:21]
	v_or_b32_e32 v21, v2, v4
.LBB4_8397:                             ;   in Loop: Header=BB4_7295 Depth=2
	s_or_b64 exec, exec, s[88:89]
                                        ; implicit-def: $vgpr4
.LBB4_8398:                             ;   in Loop: Header=BB4_7295 Depth=2
	s_andn2_saveexec_b64 s[20:21], s[78:79]
; %bb.8399:                             ;   in Loop: Header=BB4_7295 Depth=2
	v_or_b32_e32 v21, 0x7e, v4
; %bb.8400:                             ;   in Loop: Header=BB4_7295 Depth=2
	s_or_b64 exec, exec, s[20:21]
                                        ; implicit-def: $vgpr2
.LBB4_8401:                             ;   in Loop: Header=BB4_7295 Depth=2
	s_andn2_saveexec_b64 s[20:21], s[76:77]
; %bb.8402:                             ;   in Loop: Header=BB4_7295 Depth=2
	v_or_b32_sdwa v21, v2, s39 dst_sel:DWORD dst_unused:UNUSED_PAD src0_sel:BYTE_3 src1_sel:DWORD
; %bb.8403:                             ;   in Loop: Header=BB4_7295 Depth=2
	s_or_b64 exec, exec, s[20:21]
	v_lshrrev_b32_e32 v14, 16, v10
	v_cmp_ne_u16_sdwa s[76:77], v14, v15 src0_sel:BYTE_0 src1_sel:DWORD
	v_mov_b32_e32 v2, 0
	s_and_saveexec_b64 s[20:21], s[76:77]
	s_cbranch_execz .LBB4_8409
; %bb.8404:                             ;   in Loop: Header=BB4_7295 Depth=2
	v_cmp_ne_u16_sdwa s[78:79], v14, s48 src0_sel:BYTE_0 src1_sel:DWORD
	v_bfrev_b32_e32 v2, 1
	s_and_saveexec_b64 s[76:77], s[78:79]
	s_cbranch_execz .LBB4_8408
; %bb.8405:                             ;   in Loop: Header=BB4_7295 Depth=2
	v_bfe_u32 v4, v10, 16, 7
	v_cmp_ne_u32_e32 vcc, s39, v4
	v_mov_b32_e32 v2, 0x7f800001
	s_and_saveexec_b64 s[78:79], vcc
	s_cbranch_execz .LBB4_8407
; %bb.8406:                             ;   in Loop: Header=BB4_7295 Depth=2
	v_and_b32_e32 v2, 7, v14
	v_lshrrev_b32_e32 v26, 3, v4
	v_cmp_gt_u32_e32 vcc, 8, v4
	v_ffbh_u32_e32 v4, v2
	v_min_u32_e32 v27, 32, v4
	v_subrev_u32_e32 v4, 28, v27
	v_lshlrev_b64 v[4:5], v4, v[14:15]
	v_sub_u32_e32 v5, 29, v27
	v_and_b32_e32 v4, 7, v4
	v_cndmask_b32_e32 v5, v26, v5, vcc
	v_cndmask_b32_e32 v2, v2, v4, vcc
	v_lshlrev_b32_e32 v4, 24, v14
	v_bfrev_b32_e32 v14, 60
	v_lshlrev_b32_e32 v2, 20, v2
	v_and_b32_e32 v4, 0x80000000, v4
	v_lshl_add_u32 v5, v5, 23, v14
	v_or3_b32 v2, v4, v5, v2
.LBB4_8407:                             ;   in Loop: Header=BB4_7295 Depth=2
	s_or_b64 exec, exec, s[78:79]
.LBB4_8408:                             ;   in Loop: Header=BB4_7295 Depth=2
	s_or_b64 exec, exec, s[76:77]
.LBB4_8409:                             ;   in Loop: Header=BB4_7295 Depth=2
	s_or_b64 exec, exec, s[20:21]
	v_mul_f32_e32 v2, v61, v2
	v_and_b32_e32 v14, 0x7f800000, v2
	v_cmp_ne_u64_e32 vcc, s[46:47], v[14:15]
                                        ; implicit-def: $vgpr32
	s_and_saveexec_b64 s[20:21], vcc
	s_xor_b64 s[76:77], exec, s[20:21]
	s_cbranch_execz .LBB4_8423
; %bb.8410:                             ;   in Loop: Header=BB4_7295 Depth=2
	v_and_b32_e32 v14, 0x7fffffff, v2
	v_cmp_gt_u64_e32 vcc, s[56:57], v[14:15]
	v_and_b32_sdwa v4, v2, s48 dst_sel:DWORD dst_unused:UNUSED_PAD src0_sel:BYTE_3 src1_sel:DWORD
                                        ; implicit-def: $vgpr32
	s_and_saveexec_b64 s[20:21], vcc
	s_xor_b64 s[78:79], exec, s[20:21]
	s_cbranch_execz .LBB4_8420
; %bb.8411:                             ;   in Loop: Header=BB4_7295 Depth=2
	v_mov_b32_e32 v32, 0
	v_cmp_ne_u32_e32 vcc, 0, v2
	s_and_saveexec_b64 s[88:89], vcc
	s_cbranch_execz .LBB4_8419
; %bb.8412:                             ;   in Loop: Header=BB4_7295 Depth=2
	v_and_b32_e32 v14, 0x7fffff, v2
	v_bfe_u32 v2, v2, 23, 8
	v_cmp_gt_u32_e64 s[20:21], s49, v2
	v_sub_u32_e32 v5, 0x79, v2
	v_cmp_eq_u32_e32 vcc, 0, v2
	v_cndmask_b32_e64 v5, 0, v5, s[20:21]
	v_or_b32_e32 v26, 0x800000, v14
	v_cndmask_b32_e32 v5, v5, v47, vcc
	v_cndmask_b32_e32 v14, v26, v14, vcc
	v_add_u32_e32 v26, 20, v5
	v_lshlrev_b64 v[26:27], v26, -1
	v_add_u32_e32 v28, 19, v5
	v_lshlrev_b64 v[28:29], v28, 1
	v_bfi_b32 v27, v27, 0, 0
	v_bfi_b32 v26, v26, 0, v14
	v_lshrrev_b64 v[54:55], v5, v[14:15]
	v_cmp_eq_u64_e64 s[20:21], v[26:27], v[28:29]
	v_mov_b32_e32 v40, v54
	v_mov_b32_e32 v41, v55
	s_and_saveexec_b64 s[90:91], s[20:21]
; %bb.8413:                             ;   in Loop: Header=BB4_7295 Depth=2
	v_bfe_u32 v14, v54, 20, 1
	v_add_co_u32_e64 v14, s[20:21], v54, v14
	v_add_co_u32_e64 v40, s[20:21], -1, v14
; %bb.8414:                             ;   in Loop: Header=BB4_7295 Depth=2
	s_or_b64 exec, exec, s[90:91]
	v_add_u32_e32 v2, 0xffffff81, v2
	v_cndmask_b32_e32 v2, v2, v44, vcc
	v_lshrrev_b32_e32 v14, 23, v54
	v_add3_u32 v26, v5, v2, v14
	v_add_u32_e32 v5, 6, v26
	v_and_b32_e32 v2, 0xfffff, v40
	v_add_u32_e32 v14, v2, v54
	v_cmp_ne_u32_e32 vcc, 0, v5
                                        ; implicit-def: $vgpr54_vgpr55
                                        ; implicit-def: $vgpr2
	s_and_saveexec_b64 s[20:21], vcc
	s_xor_b64 s[20:21], exec, s[20:21]
; %bb.8415:                             ;   in Loop: Header=BB4_7295 Depth=2
	v_cmp_lt_u64_e32 vcc, s[58:59], v[14:15]
	v_add_u32_e32 v2, 7, v26
	v_cndmask_b32_e32 v2, v5, v2, vcc
	v_cndmask_b32_e64 v5, 0, 1, vcc
	v_lshrrev_b64 v[54:55], v5, v[14:15]
; %bb.8416:                             ;   in Loop: Header=BB4_7295 Depth=2
	s_andn2_saveexec_b64 s[20:21], s[20:21]
; %bb.8417:                             ;   in Loop: Header=BB4_7295 Depth=2
	v_mov_b32_e32 v55, v15
	v_bfe_u32 v2, v14, 23, 1
	v_mov_b32_e32 v54, v14
; %bb.8418:                             ;   in Loop: Header=BB4_7295 Depth=2
	s_or_b64 exec, exec, s[20:21]
	v_lshrrev_b64 v[26:27], 20, v[54:55]
	v_cmp_gt_i32_e32 vcc, 16, v2
	v_cndmask_b32_e32 v27, 0, v27, vcc
	v_cndmask_b32_e32 v26, 7, v26, vcc
	v_cmp_eq_u32_e32 vcc, 0, v2
	v_min_i32_e32 v2, 15, v2
	v_cmp_eq_u64_e64 s[20:21], 0, v[26:27]
	v_lshlrev_b32_e32 v2, 3, v2
	v_and_b32_e32 v2, 0xf8, v2
	v_and_or_b32 v2, v26, 7, v2
	s_and_b64 s[20:21], vcc, s[20:21]
	v_cndmask_b32_e64 v2, v2, 0, s[20:21]
	v_or_b32_e32 v32, v2, v4
.LBB4_8419:                             ;   in Loop: Header=BB4_7295 Depth=2
	s_or_b64 exec, exec, s[88:89]
                                        ; implicit-def: $vgpr4
.LBB4_8420:                             ;   in Loop: Header=BB4_7295 Depth=2
	s_andn2_saveexec_b64 s[20:21], s[78:79]
; %bb.8421:                             ;   in Loop: Header=BB4_7295 Depth=2
	v_or_b32_e32 v32, 0x7e, v4
; %bb.8422:                             ;   in Loop: Header=BB4_7295 Depth=2
	s_or_b64 exec, exec, s[20:21]
                                        ; implicit-def: $vgpr2
.LBB4_8423:                             ;   in Loop: Header=BB4_7295 Depth=2
	s_andn2_saveexec_b64 s[20:21], s[76:77]
; %bb.8424:                             ;   in Loop: Header=BB4_7295 Depth=2
	v_or_b32_sdwa v32, v2, s39 dst_sel:DWORD dst_unused:UNUSED_PAD src0_sel:BYTE_3 src1_sel:DWORD
; %bb.8425:                             ;   in Loop: Header=BB4_7295 Depth=2
	s_or_b64 exec, exec, s[20:21]
	v_cmp_lt_u32_e32 vcc, s61, v10
	v_mov_b32_e32 v2, 0
	s_and_saveexec_b64 s[20:21], vcc
	s_cbranch_execz .LBB4_8431
; %bb.8426:                             ;   in Loop: Header=BB4_7295 Depth=2
	v_lshrrev_b32_e32 v14, 24, v10
	v_cmp_ne_u32_e32 vcc, s48, v14
	v_bfrev_b32_e32 v2, 1
	s_and_saveexec_b64 s[76:77], vcc
	s_cbranch_execz .LBB4_8430
; %bb.8427:                             ;   in Loop: Header=BB4_7295 Depth=2
	v_bfe_u32 v4, v10, 24, 7
	v_cmp_ne_u32_e32 vcc, s39, v4
	v_mov_b32_e32 v2, 0x7f800001
	s_and_saveexec_b64 s[78:79], vcc
	s_cbranch_execz .LBB4_8429
; %bb.8428:                             ;   in Loop: Header=BB4_7295 Depth=2
	v_and_b32_e32 v2, 7, v14
	v_lshrrev_b32_e32 v26, 3, v4
	v_cmp_gt_u32_e32 vcc, 8, v4
	v_ffbh_u32_e32 v4, v2
	v_min_u32_e32 v27, 32, v4
	v_subrev_u32_e32 v4, 28, v27
	v_lshlrev_b64 v[4:5], v4, v[14:15]
	v_sub_u32_e32 v5, 29, v27
	v_and_b32_e32 v4, 7, v4
	v_cndmask_b32_e32 v5, v26, v5, vcc
	v_cndmask_b32_e32 v2, v2, v4, vcc
	v_lshlrev_b32_e32 v4, 24, v14
	v_bfrev_b32_e32 v14, 60
	v_lshlrev_b32_e32 v2, 20, v2
	v_and_b32_e32 v4, 0x80000000, v4
	v_lshl_add_u32 v5, v5, 23, v14
	v_or3_b32 v2, v4, v5, v2
.LBB4_8429:                             ;   in Loop: Header=BB4_7295 Depth=2
	s_or_b64 exec, exec, s[78:79]
.LBB4_8430:                             ;   in Loop: Header=BB4_7295 Depth=2
	s_or_b64 exec, exec, s[76:77]
.LBB4_8431:                             ;   in Loop: Header=BB4_7295 Depth=2
	s_or_b64 exec, exec, s[20:21]
	v_mul_f32_e32 v2, v61, v2
	v_and_b32_e32 v14, 0x7f800000, v2
	v_cmp_ne_u64_e32 vcc, s[46:47], v[14:15]
                                        ; implicit-def: $vgpr33
	s_and_saveexec_b64 s[20:21], vcc
	s_xor_b64 s[76:77], exec, s[20:21]
	s_cbranch_execz .LBB4_8445
; %bb.8432:                             ;   in Loop: Header=BB4_7295 Depth=2
	v_and_b32_e32 v14, 0x7fffffff, v2
	v_cmp_gt_u64_e32 vcc, s[56:57], v[14:15]
	v_and_b32_sdwa v4, v2, s48 dst_sel:DWORD dst_unused:UNUSED_PAD src0_sel:BYTE_3 src1_sel:DWORD
                                        ; implicit-def: $vgpr33
	s_and_saveexec_b64 s[20:21], vcc
	s_xor_b64 s[78:79], exec, s[20:21]
	s_cbranch_execz .LBB4_8442
; %bb.8433:                             ;   in Loop: Header=BB4_7295 Depth=2
	v_mov_b32_e32 v33, 0
	v_cmp_ne_u32_e32 vcc, 0, v2
	s_and_saveexec_b64 s[88:89], vcc
	s_cbranch_execz .LBB4_8441
; %bb.8434:                             ;   in Loop: Header=BB4_7295 Depth=2
	v_and_b32_e32 v14, 0x7fffff, v2
	v_bfe_u32 v2, v2, 23, 8
	v_cmp_gt_u32_e64 s[20:21], s49, v2
	v_sub_u32_e32 v5, 0x79, v2
	v_cmp_eq_u32_e32 vcc, 0, v2
	v_cndmask_b32_e64 v5, 0, v5, s[20:21]
	v_or_b32_e32 v26, 0x800000, v14
	v_cndmask_b32_e32 v5, v5, v47, vcc
	v_cndmask_b32_e32 v14, v26, v14, vcc
	v_add_u32_e32 v26, 20, v5
	v_lshlrev_b64 v[26:27], v26, -1
	v_add_u32_e32 v28, 19, v5
	v_lshlrev_b64 v[28:29], v28, 1
	v_bfi_b32 v27, v27, 0, 0
	v_bfi_b32 v26, v26, 0, v14
	v_lshrrev_b64 v[54:55], v5, v[14:15]
	v_cmp_eq_u64_e64 s[20:21], v[26:27], v[28:29]
	v_mov_b32_e32 v40, v54
	v_mov_b32_e32 v41, v55
	s_and_saveexec_b64 s[90:91], s[20:21]
; %bb.8435:                             ;   in Loop: Header=BB4_7295 Depth=2
	v_bfe_u32 v14, v54, 20, 1
	v_add_co_u32_e64 v14, s[20:21], v54, v14
	v_add_co_u32_e64 v40, s[20:21], -1, v14
; %bb.8436:                             ;   in Loop: Header=BB4_7295 Depth=2
	s_or_b64 exec, exec, s[90:91]
	v_add_u32_e32 v2, 0xffffff81, v2
	v_cndmask_b32_e32 v2, v2, v44, vcc
	v_lshrrev_b32_e32 v14, 23, v54
	v_add3_u32 v26, v5, v2, v14
	v_add_u32_e32 v5, 6, v26
	v_and_b32_e32 v2, 0xfffff, v40
	v_add_u32_e32 v14, v2, v54
	v_cmp_ne_u32_e32 vcc, 0, v5
                                        ; implicit-def: $vgpr54_vgpr55
                                        ; implicit-def: $vgpr2
	s_and_saveexec_b64 s[20:21], vcc
	s_xor_b64 s[20:21], exec, s[20:21]
; %bb.8437:                             ;   in Loop: Header=BB4_7295 Depth=2
	v_cmp_lt_u64_e32 vcc, s[58:59], v[14:15]
	v_add_u32_e32 v2, 7, v26
	v_cndmask_b32_e32 v2, v5, v2, vcc
	v_cndmask_b32_e64 v5, 0, 1, vcc
	v_lshrrev_b64 v[54:55], v5, v[14:15]
; %bb.8438:                             ;   in Loop: Header=BB4_7295 Depth=2
	s_andn2_saveexec_b64 s[20:21], s[20:21]
; %bb.8439:                             ;   in Loop: Header=BB4_7295 Depth=2
	v_mov_b32_e32 v55, v15
	v_bfe_u32 v2, v14, 23, 1
	v_mov_b32_e32 v54, v14
; %bb.8440:                             ;   in Loop: Header=BB4_7295 Depth=2
	s_or_b64 exec, exec, s[20:21]
	v_lshrrev_b64 v[26:27], 20, v[54:55]
	v_cmp_gt_i32_e32 vcc, 16, v2
	v_cndmask_b32_e32 v27, 0, v27, vcc
	v_cndmask_b32_e32 v26, 7, v26, vcc
	v_cmp_eq_u32_e32 vcc, 0, v2
	v_min_i32_e32 v2, 15, v2
	v_cmp_eq_u64_e64 s[20:21], 0, v[26:27]
	v_lshlrev_b32_e32 v2, 3, v2
	v_and_b32_e32 v2, 0xf8, v2
	v_and_or_b32 v2, v26, 7, v2
	s_and_b64 s[20:21], vcc, s[20:21]
	v_cndmask_b32_e64 v2, v2, 0, s[20:21]
	v_or_b32_e32 v33, v2, v4
.LBB4_8441:                             ;   in Loop: Header=BB4_7295 Depth=2
	s_or_b64 exec, exec, s[88:89]
                                        ; implicit-def: $vgpr4
.LBB4_8442:                             ;   in Loop: Header=BB4_7295 Depth=2
	s_andn2_saveexec_b64 s[20:21], s[78:79]
; %bb.8443:                             ;   in Loop: Header=BB4_7295 Depth=2
	v_or_b32_e32 v33, 0x7e, v4
; %bb.8444:                             ;   in Loop: Header=BB4_7295 Depth=2
	s_or_b64 exec, exec, s[20:21]
                                        ; implicit-def: $vgpr2
.LBB4_8445:                             ;   in Loop: Header=BB4_7295 Depth=2
	s_andn2_saveexec_b64 s[20:21], s[76:77]
; %bb.8446:                             ;   in Loop: Header=BB4_7295 Depth=2
	v_or_b32_sdwa v33, v2, s39 dst_sel:DWORD dst_unused:UNUSED_PAD src0_sel:BYTE_3 src1_sel:DWORD
; %bb.8447:                             ;   in Loop: Header=BB4_7295 Depth=2
	s_or_b64 exec, exec, s[20:21]
	v_mov_b32_e32 v14, v11
	v_cmp_ne_u16_sdwa s[76:77], v11, v15 src0_sel:BYTE_0 src1_sel:DWORD
	v_mov_b32_e32 v2, 0
	s_and_saveexec_b64 s[20:21], s[76:77]
	s_cbranch_execz .LBB4_8453
; %bb.8448:                             ;   in Loop: Header=BB4_7295 Depth=2
	v_cmp_ne_u16_sdwa s[78:79], v11, s48 src0_sel:BYTE_0 src1_sel:DWORD
	v_bfrev_b32_e32 v2, 1
	s_and_saveexec_b64 s[76:77], s[78:79]
	s_cbranch_execz .LBB4_8452
; %bb.8449:                             ;   in Loop: Header=BB4_7295 Depth=2
	v_and_b32_e32 v4, 0x7f, v11
	v_cmp_ne_u32_e32 vcc, s39, v4
	v_mov_b32_e32 v2, 0x7f800001
	s_and_saveexec_b64 s[78:79], vcc
	s_cbranch_execz .LBB4_8451
; %bb.8450:                             ;   in Loop: Header=BB4_7295 Depth=2
	v_and_b32_e32 v2, 7, v11
	v_ffbh_u32_e32 v2, v2
	v_min_u32_e32 v2, 32, v2
	v_lshrrev_b32_e32 v5, 3, v4
	v_cmp_gt_u32_e32 vcc, 8, v4
	v_subrev_u32_e32 v4, 28, v2
	v_sub_u32_e32 v2, 29, v2
	v_cndmask_b32_e32 v4, 0, v4, vcc
	v_cndmask_b32_e32 v2, v5, v2, vcc
	v_lshlrev_b64 v[4:5], v4, v[14:15]
	v_lshlrev_b32_e32 v5, 24, v14
	v_lshlrev_b32_e32 v4, 20, v4
	v_bfrev_b32_e32 v26, 60
	v_and_b32_e32 v4, 0x700000, v4
	v_and_b32_e32 v5, 0x80000000, v5
	v_lshl_add_u32 v2, v2, 23, v26
	v_or3_b32 v2, v5, v2, v4
.LBB4_8451:                             ;   in Loop: Header=BB4_7295 Depth=2
	s_or_b64 exec, exec, s[78:79]
.LBB4_8452:                             ;   in Loop: Header=BB4_7295 Depth=2
	s_or_b64 exec, exec, s[76:77]
.LBB4_8453:                             ;   in Loop: Header=BB4_7295 Depth=2
	s_or_b64 exec, exec, s[20:21]
	v_mul_f32_e32 v2, v61, v2
	v_and_b32_e32 v4, 0x7f800000, v2
	v_mov_b32_e32 v5, v15
	v_cmp_ne_u64_e32 vcc, s[46:47], v[4:5]
                                        ; implicit-def: $vgpr4
	s_and_saveexec_b64 s[20:21], vcc
	s_xor_b64 s[76:77], exec, s[20:21]
	s_cbranch_execz .LBB4_8467
; %bb.8454:                             ;   in Loop: Header=BB4_7295 Depth=2
	v_and_b32_e32 v4, 0x7fffffff, v2
	v_mov_b32_e32 v5, v15
	v_cmp_gt_u64_e32 vcc, s[56:57], v[4:5]
	v_and_b32_sdwa v5, v2, s48 dst_sel:DWORD dst_unused:UNUSED_PAD src0_sel:BYTE_3 src1_sel:DWORD
                                        ; implicit-def: $vgpr4
	s_and_saveexec_b64 s[20:21], vcc
	s_xor_b64 s[78:79], exec, s[20:21]
	s_cbranch_execz .LBB4_8464
; %bb.8455:                             ;   in Loop: Header=BB4_7295 Depth=2
	v_mov_b32_e32 v4, 0
	v_cmp_ne_u32_e32 vcc, 0, v2
	s_and_saveexec_b64 s[88:89], vcc
	s_cbranch_execz .LBB4_8463
; %bb.8456:                             ;   in Loop: Header=BB4_7295 Depth=2
	v_and_b32_e32 v26, 0x7fffff, v2
	v_bfe_u32 v2, v2, 23, 8
	v_cmp_gt_u32_e64 s[20:21], s49, v2
	v_sub_u32_e32 v4, 0x79, v2
	v_cmp_eq_u32_e32 vcc, 0, v2
	v_cndmask_b32_e64 v4, 0, v4, s[20:21]
	v_cndmask_b32_e32 v4, v4, v47, vcc
	v_add_u32_e32 v28, 20, v4
	v_or_b32_e32 v27, 0x800000, v26
	v_lshlrev_b64 v[28:29], v28, -1
	v_add_u32_e32 v30, 19, v4
	v_cndmask_b32_e32 v26, v27, v26, vcc
	v_mov_b32_e32 v27, v15
	v_lshlrev_b64 v[30:31], v30, 1
	v_bfi_b32 v29, v29, 0, 0
	v_bfi_b32 v28, v28, 0, v26
	v_lshrrev_b64 v[54:55], v4, v[26:27]
	v_cmp_eq_u64_e64 s[20:21], v[28:29], v[30:31]
	v_mov_b32_e32 v40, v54
	v_mov_b32_e32 v41, v55
	s_and_saveexec_b64 s[90:91], s[20:21]
; %bb.8457:                             ;   in Loop: Header=BB4_7295 Depth=2
	v_bfe_u32 v26, v54, 20, 1
	v_add_co_u32_e64 v26, s[20:21], v54, v26
	v_add_co_u32_e64 v40, s[20:21], -1, v26
; %bb.8458:                             ;   in Loop: Header=BB4_7295 Depth=2
	s_or_b64 exec, exec, s[90:91]
	v_add_u32_e32 v2, 0xffffff81, v2
	v_cndmask_b32_e32 v2, v2, v44, vcc
	v_lshrrev_b32_e32 v26, 23, v54
	v_add3_u32 v26, v4, v2, v26
	v_add_u32_e32 v4, 6, v26
	v_and_b32_e32 v2, 0xfffff, v40
	v_add_u32_e32 v54, v2, v54
	v_mov_b32_e32 v55, v15
	v_cmp_ne_u32_e32 vcc, 0, v4
                                        ; implicit-def: $vgpr2
	s_and_saveexec_b64 s[20:21], vcc
	s_xor_b64 s[20:21], exec, s[20:21]
; %bb.8459:                             ;   in Loop: Header=BB4_7295 Depth=2
	v_cmp_lt_u64_e32 vcc, s[58:59], v[54:55]
	v_add_u32_e32 v2, 7, v26
	v_cndmask_b32_e32 v2, v4, v2, vcc
	v_cndmask_b32_e64 v4, 0, 1, vcc
	v_lshrrev_b64 v[54:55], v4, v[54:55]
; %bb.8460:                             ;   in Loop: Header=BB4_7295 Depth=2
	s_andn2_saveexec_b64 s[20:21], s[20:21]
; %bb.8461:                             ;   in Loop: Header=BB4_7295 Depth=2
	v_bfe_u32 v2, v54, 23, 1
; %bb.8462:                             ;   in Loop: Header=BB4_7295 Depth=2
	s_or_b64 exec, exec, s[20:21]
	v_lshrrev_b64 v[26:27], 20, v[54:55]
	v_cmp_gt_i32_e32 vcc, 16, v2
	v_cndmask_b32_e32 v27, 0, v27, vcc
	v_cndmask_b32_e32 v26, 7, v26, vcc
	v_cmp_eq_u32_e32 vcc, 0, v2
	v_min_i32_e32 v2, 15, v2
	v_cmp_eq_u64_e64 s[20:21], 0, v[26:27]
	v_lshlrev_b32_e32 v2, 3, v2
	v_and_b32_e32 v2, 0xf8, v2
	v_and_or_b32 v2, v26, 7, v2
	s_and_b64 s[20:21], vcc, s[20:21]
	v_cndmask_b32_e64 v2, v2, 0, s[20:21]
	v_or_b32_e32 v4, v2, v5
.LBB4_8463:                             ;   in Loop: Header=BB4_7295 Depth=2
	s_or_b64 exec, exec, s[88:89]
                                        ; implicit-def: $vgpr5
.LBB4_8464:                             ;   in Loop: Header=BB4_7295 Depth=2
	s_andn2_saveexec_b64 s[20:21], s[78:79]
; %bb.8465:                             ;   in Loop: Header=BB4_7295 Depth=2
	v_or_b32_e32 v4, 0x7e, v5
; %bb.8466:                             ;   in Loop: Header=BB4_7295 Depth=2
	s_or_b64 exec, exec, s[20:21]
                                        ; implicit-def: $vgpr2
.LBB4_8467:                             ;   in Loop: Header=BB4_7295 Depth=2
	s_andn2_saveexec_b64 s[20:21], s[76:77]
; %bb.8468:                             ;   in Loop: Header=BB4_7295 Depth=2
	v_or_b32_sdwa v4, v2, s39 dst_sel:DWORD dst_unused:UNUSED_PAD src0_sel:BYTE_3 src1_sel:DWORD
; %bb.8469:                             ;   in Loop: Header=BB4_7295 Depth=2
	s_or_b64 exec, exec, s[20:21]
	v_lshrrev_b16_e32 v30, 8, v14
	v_cmp_ne_u16_e32 vcc, 0, v30
	v_mov_b32_e32 v2, 0
	s_and_saveexec_b64 s[20:21], vcc
	s_cbranch_execz .LBB4_8475
; %bb.8470:                             ;   in Loop: Header=BB4_7295 Depth=2
	v_cmp_ne_u16_e32 vcc, s48, v30
	v_bfrev_b32_e32 v2, 1
	s_and_saveexec_b64 s[76:77], vcc
	s_cbranch_execz .LBB4_8474
; %bb.8471:                             ;   in Loop: Header=BB4_7295 Depth=2
	v_and_b32_e32 v5, 0x7f, v30
	v_cmp_ne_u32_e32 vcc, s39, v5
	v_mov_b32_e32 v2, 0x7f800001
	s_and_saveexec_b64 s[78:79], vcc
	s_cbranch_execz .LBB4_8473
; %bb.8472:                             ;   in Loop: Header=BB4_7295 Depth=2
	v_and_b32_e32 v2, 7, v30
	v_lshrrev_b32_e32 v28, 3, v5
	v_cmp_gt_u32_e32 vcc, 8, v5
	v_ffbh_u32_e32 v5, v2
	v_min_u32_e32 v5, 32, v5
	v_subrev_u32_e32 v26, 28, v5
	v_lshlrev_b64 v[26:27], v26, v[30:31]
	v_sub_u32_e32 v5, 29, v5
	v_and_b32_e32 v26, 7, v26
	v_cndmask_b32_e32 v5, v28, v5, vcc
	v_cndmask_b32_e32 v2, v2, v26, vcc
	v_lshlrev_b32_e32 v14, 16, v14
	v_bfrev_b32_e32 v26, 60
	v_lshlrev_b32_e32 v2, 20, v2
	v_and_b32_e32 v14, 0x80000000, v14
	v_lshl_add_u32 v5, v5, 23, v26
	v_or3_b32 v2, v14, v5, v2
.LBB4_8473:                             ;   in Loop: Header=BB4_7295 Depth=2
	s_or_b64 exec, exec, s[78:79]
.LBB4_8474:                             ;   in Loop: Header=BB4_7295 Depth=2
	s_or_b64 exec, exec, s[76:77]
.LBB4_8475:                             ;   in Loop: Header=BB4_7295 Depth=2
	s_or_b64 exec, exec, s[20:21]
	v_mul_f32_e32 v2, v61, v2
	v_and_b32_e32 v14, 0x7f800000, v2
	v_cmp_ne_u64_e32 vcc, s[46:47], v[14:15]
                                        ; implicit-def: $vgpr30
	s_and_saveexec_b64 s[20:21], vcc
	s_xor_b64 s[76:77], exec, s[20:21]
	s_cbranch_execz .LBB4_8489
; %bb.8476:                             ;   in Loop: Header=BB4_7295 Depth=2
	v_and_b32_e32 v14, 0x7fffffff, v2
	v_cmp_gt_u64_e32 vcc, s[56:57], v[14:15]
	v_and_b32_sdwa v5, v2, s48 dst_sel:DWORD dst_unused:UNUSED_PAD src0_sel:BYTE_3 src1_sel:DWORD
                                        ; implicit-def: $vgpr30
	s_and_saveexec_b64 s[20:21], vcc
	s_xor_b64 s[78:79], exec, s[20:21]
	s_cbranch_execz .LBB4_8486
; %bb.8477:                             ;   in Loop: Header=BB4_7295 Depth=2
	v_mov_b32_e32 v30, 0
	v_cmp_ne_u32_e32 vcc, 0, v2
	s_and_saveexec_b64 s[88:89], vcc
	s_cbranch_execz .LBB4_8485
; %bb.8478:                             ;   in Loop: Header=BB4_7295 Depth=2
	v_and_b32_e32 v14, 0x7fffff, v2
	v_bfe_u32 v2, v2, 23, 8
	v_cmp_gt_u32_e64 s[20:21], s49, v2
	v_sub_u32_e32 v26, 0x79, v2
	v_cmp_eq_u32_e32 vcc, 0, v2
	v_cndmask_b32_e64 v26, 0, v26, s[20:21]
	v_or_b32_e32 v27, 0x800000, v14
	v_cndmask_b32_e32 v26, v26, v47, vcc
	v_cndmask_b32_e32 v14, v27, v14, vcc
	v_add_u32_e32 v27, 20, v26
	v_lshlrev_b64 v[27:28], v27, -1
	v_add_u32_e32 v29, 19, v26
	v_lshlrev_b64 v[29:30], v29, 1
	v_bfi_b32 v28, v28, 0, 0
	v_bfi_b32 v27, v27, 0, v14
	v_lshrrev_b64 v[54:55], v26, v[14:15]
	v_cmp_eq_u64_e64 s[20:21], v[27:28], v[29:30]
	v_mov_b32_e32 v40, v54
	v_mov_b32_e32 v41, v55
	s_and_saveexec_b64 s[90:91], s[20:21]
; %bb.8479:                             ;   in Loop: Header=BB4_7295 Depth=2
	v_bfe_u32 v14, v54, 20, 1
	v_add_co_u32_e64 v14, s[20:21], v54, v14
	v_add_co_u32_e64 v40, s[20:21], -1, v14
; %bb.8480:                             ;   in Loop: Header=BB4_7295 Depth=2
	s_or_b64 exec, exec, s[90:91]
	v_add_u32_e32 v2, 0xffffff81, v2
	v_cndmask_b32_e32 v2, v2, v44, vcc
	v_lshrrev_b32_e32 v14, 23, v54
	v_add3_u32 v27, v26, v2, v14
	v_add_u32_e32 v26, 6, v27
	v_and_b32_e32 v2, 0xfffff, v40
	v_add_u32_e32 v14, v2, v54
	v_cmp_ne_u32_e32 vcc, 0, v26
                                        ; implicit-def: $vgpr54_vgpr55
                                        ; implicit-def: $vgpr2
	s_and_saveexec_b64 s[20:21], vcc
	s_xor_b64 s[20:21], exec, s[20:21]
; %bb.8481:                             ;   in Loop: Header=BB4_7295 Depth=2
	v_cmp_lt_u64_e32 vcc, s[58:59], v[14:15]
	v_add_u32_e32 v2, 7, v27
	v_cndmask_b32_e32 v2, v26, v2, vcc
	v_cndmask_b32_e64 v26, 0, 1, vcc
	v_lshrrev_b64 v[54:55], v26, v[14:15]
; %bb.8482:                             ;   in Loop: Header=BB4_7295 Depth=2
	s_andn2_saveexec_b64 s[20:21], s[20:21]
; %bb.8483:                             ;   in Loop: Header=BB4_7295 Depth=2
	v_mov_b32_e32 v55, v15
	v_bfe_u32 v2, v14, 23, 1
	v_mov_b32_e32 v54, v14
; %bb.8484:                             ;   in Loop: Header=BB4_7295 Depth=2
	s_or_b64 exec, exec, s[20:21]
	v_lshrrev_b64 v[26:27], 20, v[54:55]
	v_cmp_gt_i32_e32 vcc, 16, v2
	v_cndmask_b32_e32 v27, 0, v27, vcc
	v_cndmask_b32_e32 v26, 7, v26, vcc
	v_cmp_eq_u32_e32 vcc, 0, v2
	v_min_i32_e32 v2, 15, v2
	v_cmp_eq_u64_e64 s[20:21], 0, v[26:27]
	v_lshlrev_b32_e32 v2, 3, v2
	v_and_b32_e32 v2, 0xf8, v2
	v_and_or_b32 v2, v26, 7, v2
	s_and_b64 s[20:21], vcc, s[20:21]
	v_cndmask_b32_e64 v2, v2, 0, s[20:21]
	v_or_b32_e32 v30, v2, v5
.LBB4_8485:                             ;   in Loop: Header=BB4_7295 Depth=2
	s_or_b64 exec, exec, s[88:89]
                                        ; implicit-def: $vgpr5
.LBB4_8486:                             ;   in Loop: Header=BB4_7295 Depth=2
	s_andn2_saveexec_b64 s[20:21], s[78:79]
; %bb.8487:                             ;   in Loop: Header=BB4_7295 Depth=2
	v_or_b32_e32 v30, 0x7e, v5
; %bb.8488:                             ;   in Loop: Header=BB4_7295 Depth=2
	s_or_b64 exec, exec, s[20:21]
                                        ; implicit-def: $vgpr2
.LBB4_8489:                             ;   in Loop: Header=BB4_7295 Depth=2
	s_andn2_saveexec_b64 s[20:21], s[76:77]
; %bb.8490:                             ;   in Loop: Header=BB4_7295 Depth=2
	v_or_b32_sdwa v30, v2, s39 dst_sel:DWORD dst_unused:UNUSED_PAD src0_sel:BYTE_3 src1_sel:DWORD
; %bb.8491:                             ;   in Loop: Header=BB4_7295 Depth=2
	s_or_b64 exec, exec, s[20:21]
	v_lshrrev_b32_e32 v14, 16, v11
	v_cmp_ne_u16_sdwa s[76:77], v14, v15 src0_sel:BYTE_0 src1_sel:DWORD
	v_mov_b32_e32 v2, 0
	s_and_saveexec_b64 s[20:21], s[76:77]
	s_cbranch_execz .LBB4_8497
; %bb.8492:                             ;   in Loop: Header=BB4_7295 Depth=2
	v_cmp_ne_u16_sdwa s[78:79], v14, s48 src0_sel:BYTE_0 src1_sel:DWORD
	v_bfrev_b32_e32 v2, 1
	s_and_saveexec_b64 s[76:77], s[78:79]
	s_cbranch_execz .LBB4_8496
; %bb.8493:                             ;   in Loop: Header=BB4_7295 Depth=2
	v_bfe_u32 v5, v11, 16, 7
	v_cmp_ne_u32_e32 vcc, s39, v5
	v_mov_b32_e32 v2, 0x7f800001
	s_and_saveexec_b64 s[78:79], vcc
	s_cbranch_execz .LBB4_8495
; %bb.8494:                             ;   in Loop: Header=BB4_7295 Depth=2
	v_and_b32_e32 v2, 7, v14
	v_lshrrev_b32_e32 v28, 3, v5
	v_cmp_gt_u32_e32 vcc, 8, v5
	v_ffbh_u32_e32 v5, v2
	v_min_u32_e32 v5, 32, v5
	v_subrev_u32_e32 v26, 28, v5
	v_lshlrev_b64 v[26:27], v26, v[14:15]
	v_sub_u32_e32 v5, 29, v5
	v_and_b32_e32 v26, 7, v26
	v_cndmask_b32_e32 v5, v28, v5, vcc
	v_cndmask_b32_e32 v2, v2, v26, vcc
	v_lshlrev_b32_e32 v14, 24, v14
	v_bfrev_b32_e32 v26, 60
	v_lshlrev_b32_e32 v2, 20, v2
	v_and_b32_e32 v14, 0x80000000, v14
	v_lshl_add_u32 v5, v5, 23, v26
	v_or3_b32 v2, v14, v5, v2
.LBB4_8495:                             ;   in Loop: Header=BB4_7295 Depth=2
	s_or_b64 exec, exec, s[78:79]
.LBB4_8496:                             ;   in Loop: Header=BB4_7295 Depth=2
	s_or_b64 exec, exec, s[76:77]
.LBB4_8497:                             ;   in Loop: Header=BB4_7295 Depth=2
	s_or_b64 exec, exec, s[20:21]
	v_mul_f32_e32 v2, v61, v2
	v_and_b32_e32 v14, 0x7f800000, v2
	v_cmp_ne_u64_e32 vcc, s[46:47], v[14:15]
                                        ; implicit-def: $vgpr40
	s_and_saveexec_b64 s[20:21], vcc
	s_xor_b64 s[76:77], exec, s[20:21]
	s_cbranch_execz .LBB4_8511
; %bb.8498:                             ;   in Loop: Header=BB4_7295 Depth=2
	v_and_b32_e32 v14, 0x7fffffff, v2
	v_cmp_gt_u64_e32 vcc, s[56:57], v[14:15]
	v_and_b32_sdwa v5, v2, s48 dst_sel:DWORD dst_unused:UNUSED_PAD src0_sel:BYTE_3 src1_sel:DWORD
                                        ; implicit-def: $vgpr40
	s_and_saveexec_b64 s[20:21], vcc
	s_xor_b64 s[78:79], exec, s[20:21]
	s_cbranch_execz .LBB4_8508
; %bb.8499:                             ;   in Loop: Header=BB4_7295 Depth=2
	v_mov_b32_e32 v40, 0
	v_cmp_ne_u32_e32 vcc, 0, v2
	s_and_saveexec_b64 s[88:89], vcc
	s_cbranch_execz .LBB4_8507
; %bb.8500:                             ;   in Loop: Header=BB4_7295 Depth=2
	v_and_b32_e32 v14, 0x7fffff, v2
	v_bfe_u32 v2, v2, 23, 8
	v_cmp_gt_u32_e64 s[20:21], s49, v2
	v_sub_u32_e32 v26, 0x79, v2
	v_cmp_eq_u32_e32 vcc, 0, v2
	v_cndmask_b32_e64 v26, 0, v26, s[20:21]
	v_or_b32_e32 v27, 0x800000, v14
	v_cndmask_b32_e32 v26, v26, v47, vcc
	v_cndmask_b32_e32 v14, v27, v14, vcc
	v_add_u32_e32 v27, 20, v26
	v_lshlrev_b64 v[27:28], v27, -1
	v_add_u32_e32 v29, 19, v26
	v_lshlrev_b64 v[54:55], v29, 1
	v_bfi_b32 v28, v28, 0, 0
	v_bfi_b32 v27, v27, 0, v14
	v_cmp_eq_u64_e64 s[20:21], v[27:28], v[54:55]
	v_lshrrev_b64 v[54:55], v26, v[14:15]
	v_mov_b32_e32 v40, v54
	v_mov_b32_e32 v41, v55
	s_and_saveexec_b64 s[90:91], s[20:21]
; %bb.8501:                             ;   in Loop: Header=BB4_7295 Depth=2
	v_bfe_u32 v14, v54, 20, 1
	v_add_co_u32_e64 v14, s[20:21], v54, v14
	v_add_co_u32_e64 v40, s[20:21], -1, v14
; %bb.8502:                             ;   in Loop: Header=BB4_7295 Depth=2
	s_or_b64 exec, exec, s[90:91]
	v_add_u32_e32 v2, 0xffffff81, v2
	v_cndmask_b32_e32 v2, v2, v44, vcc
	v_lshrrev_b32_e32 v14, 23, v54
	v_add3_u32 v27, v26, v2, v14
	v_add_u32_e32 v26, 6, v27
	v_and_b32_e32 v2, 0xfffff, v40
	v_add_u32_e32 v14, v2, v54
	v_cmp_ne_u32_e32 vcc, 0, v26
                                        ; implicit-def: $vgpr54_vgpr55
                                        ; implicit-def: $vgpr2
	s_and_saveexec_b64 s[20:21], vcc
	s_xor_b64 s[20:21], exec, s[20:21]
; %bb.8503:                             ;   in Loop: Header=BB4_7295 Depth=2
	v_cmp_lt_u64_e32 vcc, s[58:59], v[14:15]
	v_add_u32_e32 v2, 7, v27
	v_cndmask_b32_e32 v2, v26, v2, vcc
	v_cndmask_b32_e64 v26, 0, 1, vcc
	v_lshrrev_b64 v[54:55], v26, v[14:15]
; %bb.8504:                             ;   in Loop: Header=BB4_7295 Depth=2
	s_andn2_saveexec_b64 s[20:21], s[20:21]
; %bb.8505:                             ;   in Loop: Header=BB4_7295 Depth=2
	v_mov_b32_e32 v55, v15
	v_bfe_u32 v2, v14, 23, 1
	v_mov_b32_e32 v54, v14
; %bb.8506:                             ;   in Loop: Header=BB4_7295 Depth=2
	s_or_b64 exec, exec, s[20:21]
	v_lshrrev_b64 v[26:27], 20, v[54:55]
	v_cmp_gt_i32_e32 vcc, 16, v2
	v_cndmask_b32_e32 v27, 0, v27, vcc
	v_cndmask_b32_e32 v26, 7, v26, vcc
	v_cmp_eq_u32_e32 vcc, 0, v2
	v_min_i32_e32 v2, 15, v2
	v_cmp_eq_u64_e64 s[20:21], 0, v[26:27]
	v_lshlrev_b32_e32 v2, 3, v2
	v_and_b32_e32 v2, 0xf8, v2
	v_and_or_b32 v2, v26, 7, v2
	s_and_b64 s[20:21], vcc, s[20:21]
	v_cndmask_b32_e64 v2, v2, 0, s[20:21]
	v_or_b32_e32 v40, v2, v5
.LBB4_8507:                             ;   in Loop: Header=BB4_7295 Depth=2
	s_or_b64 exec, exec, s[88:89]
                                        ; implicit-def: $vgpr5
.LBB4_8508:                             ;   in Loop: Header=BB4_7295 Depth=2
	s_andn2_saveexec_b64 s[20:21], s[78:79]
; %bb.8509:                             ;   in Loop: Header=BB4_7295 Depth=2
	v_or_b32_e32 v40, 0x7e, v5
; %bb.8510:                             ;   in Loop: Header=BB4_7295 Depth=2
	s_or_b64 exec, exec, s[20:21]
                                        ; implicit-def: $vgpr2
.LBB4_8511:                             ;   in Loop: Header=BB4_7295 Depth=2
	s_andn2_saveexec_b64 s[20:21], s[76:77]
; %bb.8512:                             ;   in Loop: Header=BB4_7295 Depth=2
	v_or_b32_sdwa v40, v2, s39 dst_sel:DWORD dst_unused:UNUSED_PAD src0_sel:BYTE_3 src1_sel:DWORD
; %bb.8513:                             ;   in Loop: Header=BB4_7295 Depth=2
	s_or_b64 exec, exec, s[20:21]
	v_cmp_lt_u64_e32 vcc, s[60:61], v[10:11]
	v_mov_b32_e32 v2, 0
	s_and_saveexec_b64 s[20:21], vcc
	s_cbranch_execz .LBB4_8519
; %bb.8514:                             ;   in Loop: Header=BB4_7295 Depth=2
	v_lshrrev_b32_e32 v10, 24, v11
	v_cmp_ne_u32_e32 vcc, s48, v10
	v_bfrev_b32_e32 v2, 1
	s_and_saveexec_b64 s[76:77], vcc
	s_cbranch_execz .LBB4_8518
; %bb.8515:                             ;   in Loop: Header=BB4_7295 Depth=2
	v_bfe_u32 v5, v11, 24, 7
	v_cmp_ne_u32_e32 vcc, s39, v5
	v_mov_b32_e32 v2, 0x7f800001
	s_and_saveexec_b64 s[78:79], vcc
	s_cbranch_execz .LBB4_8517
; %bb.8516:                             ;   in Loop: Header=BB4_7295 Depth=2
	v_and_b32_e32 v2, 7, v10
	v_lshrrev_b32_e32 v11, 3, v5
	v_cmp_gt_u32_e32 vcc, 8, v5
	v_ffbh_u32_e32 v5, v2
	v_min_u32_e32 v5, 32, v5
	v_subrev_u32_e32 v14, 28, v5
	v_lshlrev_b64 v[26:27], v14, v[10:11]
	v_sub_u32_e32 v5, 29, v5
	v_and_b32_e32 v14, 7, v26
	v_cndmask_b32_e32 v5, v11, v5, vcc
	v_cndmask_b32_e32 v2, v2, v14, vcc
	v_lshlrev_b32_e32 v10, 24, v10
	v_bfrev_b32_e32 v11, 60
	v_lshlrev_b32_e32 v2, 20, v2
	v_and_b32_e32 v10, 0x80000000, v10
	v_lshl_add_u32 v5, v5, 23, v11
	v_or3_b32 v2, v10, v5, v2
.LBB4_8517:                             ;   in Loop: Header=BB4_7295 Depth=2
	s_or_b64 exec, exec, s[78:79]
.LBB4_8518:                             ;   in Loop: Header=BB4_7295 Depth=2
	s_or_b64 exec, exec, s[76:77]
.LBB4_8519:                             ;   in Loop: Header=BB4_7295 Depth=2
	s_or_b64 exec, exec, s[20:21]
	v_mul_f32_e32 v2, v61, v2
	v_and_b32_e32 v14, 0x7f800000, v2
	v_cmp_ne_u64_e32 vcc, s[46:47], v[14:15]
                                        ; implicit-def: $vgpr41
	s_and_saveexec_b64 s[20:21], vcc
	s_xor_b64 s[76:77], exec, s[20:21]
	s_cbranch_execz .LBB4_8533
; %bb.8520:                             ;   in Loop: Header=BB4_7295 Depth=2
	v_and_b32_e32 v14, 0x7fffffff, v2
	v_cmp_gt_u64_e32 vcc, s[56:57], v[14:15]
	v_and_b32_sdwa v5, v2, s48 dst_sel:DWORD dst_unused:UNUSED_PAD src0_sel:BYTE_3 src1_sel:DWORD
                                        ; implicit-def: $vgpr41
	s_and_saveexec_b64 s[20:21], vcc
	s_xor_b64 s[78:79], exec, s[20:21]
	s_cbranch_execz .LBB4_8530
; %bb.8521:                             ;   in Loop: Header=BB4_7295 Depth=2
	v_mov_b32_e32 v41, 0
	v_cmp_ne_u32_e32 vcc, 0, v2
	s_and_saveexec_b64 s[88:89], vcc
	s_cbranch_execz .LBB4_8529
; %bb.8522:                             ;   in Loop: Header=BB4_7295 Depth=2
	v_and_b32_e32 v10, 0x7fffff, v2
	v_bfe_u32 v2, v2, 23, 8
	v_cmp_gt_u32_e64 s[20:21], s49, v2
	v_sub_u32_e32 v11, 0x79, v2
	v_cmp_eq_u32_e32 vcc, 0, v2
	v_cndmask_b32_e64 v11, 0, v11, s[20:21]
	v_or_b32_e32 v14, 0x800000, v10
	v_cndmask_b32_e32 v26, v11, v47, vcc
	v_cndmask_b32_e32 v14, v14, v10, vcc
	v_add_u32_e32 v10, 20, v26
	v_lshlrev_b64 v[10:11], v10, -1
	v_add_u32_e32 v27, 19, v26
	v_lshlrev_b64 v[27:28], v27, 1
	v_bfi_b32 v11, v11, 0, 0
	v_bfi_b32 v10, v10, 0, v14
	v_cmp_eq_u64_e64 s[20:21], v[10:11], v[27:28]
	v_lshrrev_b64 v[10:11], v26, v[14:15]
	v_mov_b32_e32 v55, v11
	v_mov_b32_e32 v54, v10
	s_and_saveexec_b64 s[90:91], s[20:21]
; %bb.8523:                             ;   in Loop: Header=BB4_7295 Depth=2
	v_bfe_u32 v11, v10, 20, 1
	v_add_co_u32_e64 v11, s[20:21], v10, v11
	v_add_co_u32_e64 v54, s[20:21], -1, v11
; %bb.8524:                             ;   in Loop: Header=BB4_7295 Depth=2
	s_or_b64 exec, exec, s[90:91]
	v_add_u32_e32 v2, 0xffffff81, v2
	v_cndmask_b32_e32 v2, v2, v44, vcc
	v_lshrrev_b32_e32 v11, 23, v10
	v_add3_u32 v27, v26, v2, v11
	v_add_u32_e32 v26, 6, v27
	v_and_b32_e32 v2, 0xfffff, v54
	v_add_u32_e32 v14, v2, v10
	v_cmp_ne_u32_e32 vcc, 0, v26
                                        ; implicit-def: $vgpr10_vgpr11
                                        ; implicit-def: $vgpr2
	s_and_saveexec_b64 s[20:21], vcc
	s_xor_b64 s[20:21], exec, s[20:21]
; %bb.8525:                             ;   in Loop: Header=BB4_7295 Depth=2
	v_cmp_lt_u64_e32 vcc, s[58:59], v[14:15]
	v_add_u32_e32 v2, 7, v27
	v_cndmask_b32_e64 v10, 0, 1, vcc
	v_lshrrev_b64 v[10:11], v10, v[14:15]
	v_cndmask_b32_e32 v2, v26, v2, vcc
; %bb.8526:                             ;   in Loop: Header=BB4_7295 Depth=2
	s_andn2_saveexec_b64 s[20:21], s[20:21]
; %bb.8527:                             ;   in Loop: Header=BB4_7295 Depth=2
	v_mov_b32_e32 v10, v14
	v_bfe_u32 v2, v14, 23, 1
	v_mov_b32_e32 v11, v15
; %bb.8528:                             ;   in Loop: Header=BB4_7295 Depth=2
	s_or_b64 exec, exec, s[20:21]
	v_lshrrev_b64 v[10:11], 20, v[10:11]
	v_cmp_gt_i32_e32 vcc, 16, v2
	v_cndmask_b32_e32 v11, 0, v11, vcc
	v_cndmask_b32_e32 v10, 7, v10, vcc
	v_cmp_eq_u32_e32 vcc, 0, v2
	v_min_i32_e32 v2, 15, v2
	v_cmp_eq_u64_e64 s[20:21], 0, v[10:11]
	v_lshlrev_b32_e32 v2, 3, v2
	v_and_b32_e32 v2, 0xf8, v2
	v_and_or_b32 v2, v10, 7, v2
	s_and_b64 s[20:21], vcc, s[20:21]
	v_cndmask_b32_e64 v2, v2, 0, s[20:21]
	v_or_b32_e32 v41, v2, v5
.LBB4_8529:                             ;   in Loop: Header=BB4_7295 Depth=2
	s_or_b64 exec, exec, s[88:89]
                                        ; implicit-def: $vgpr5
.LBB4_8530:                             ;   in Loop: Header=BB4_7295 Depth=2
	s_andn2_saveexec_b64 s[20:21], s[78:79]
; %bb.8531:                             ;   in Loop: Header=BB4_7295 Depth=2
	v_or_b32_e32 v41, 0x7e, v5
; %bb.8532:                             ;   in Loop: Header=BB4_7295 Depth=2
	s_or_b64 exec, exec, s[20:21]
                                        ; implicit-def: $vgpr2
.LBB4_8533:                             ;   in Loop: Header=BB4_7295 Depth=2
	s_andn2_saveexec_b64 s[20:21], s[76:77]
; %bb.8534:                             ;   in Loop: Header=BB4_7295 Depth=2
	v_or_b32_sdwa v41, v2, s39 dst_sel:DWORD dst_unused:UNUSED_PAD src0_sel:BYTE_3 src1_sel:DWORD
; %bb.8535:                             ;   in Loop: Header=BB4_7295 Depth=2
	s_or_b64 exec, exec, s[20:21]
	v_cmp_ne_u16_sdwa s[76:77], v12, v15 src0_sel:BYTE_0 src1_sel:DWORD
	v_mov_b32_e32 v2, 0
	s_and_saveexec_b64 s[20:21], s[76:77]
	s_cbranch_execz .LBB4_8541
; %bb.8536:                             ;   in Loop: Header=BB4_7295 Depth=2
	v_cmp_ne_u16_sdwa s[78:79], v12, s48 src0_sel:BYTE_0 src1_sel:DWORD
	v_bfrev_b32_e32 v2, 1
	s_and_saveexec_b64 s[76:77], s[78:79]
	s_cbranch_execz .LBB4_8540
; %bb.8537:                             ;   in Loop: Header=BB4_7295 Depth=2
	v_and_b32_e32 v5, 0x7f, v12
	v_cmp_ne_u32_e32 vcc, s39, v5
	v_mov_b32_e32 v2, 0x7f800001
	s_and_saveexec_b64 s[78:79], vcc
	s_cbranch_execz .LBB4_8539
; %bb.8538:                             ;   in Loop: Header=BB4_7295 Depth=2
	v_and_b32_e32 v2, 7, v12
	v_ffbh_u32_e32 v2, v2
	v_min_u32_e32 v2, 32, v2
	v_lshrrev_b32_e32 v10, 3, v5
	v_cmp_gt_u32_e32 vcc, 8, v5
	v_subrev_u32_e32 v5, 28, v2
	v_sub_u32_e32 v2, 29, v2
	v_cndmask_b32_e32 v5, 0, v5, vcc
	v_cndmask_b32_e32 v2, v10, v2, vcc
	v_lshlrev_b64 v[10:11], v5, v[12:13]
	v_bfrev_b32_e32 v11, 60
	v_lshlrev_b32_e32 v5, 20, v10
	v_lshlrev_b32_e32 v10, 24, v12
	v_and_b32_e32 v5, 0x700000, v5
	v_and_b32_e32 v10, 0x80000000, v10
	v_lshl_add_u32 v2, v2, 23, v11
	v_or3_b32 v2, v10, v2, v5
.LBB4_8539:                             ;   in Loop: Header=BB4_7295 Depth=2
	s_or_b64 exec, exec, s[78:79]
.LBB4_8540:                             ;   in Loop: Header=BB4_7295 Depth=2
	s_or_b64 exec, exec, s[76:77]
.LBB4_8541:                             ;   in Loop: Header=BB4_7295 Depth=2
	s_or_b64 exec, exec, s[20:21]
	v_mul_f32_e32 v2, v61, v2
	v_and_b32_e32 v14, 0x7f800000, v2
	v_cmp_ne_u64_e32 vcc, s[46:47], v[14:15]
                                        ; implicit-def: $vgpr5
	s_and_saveexec_b64 s[20:21], vcc
	s_xor_b64 s[76:77], exec, s[20:21]
	s_cbranch_execz .LBB4_8555
; %bb.8542:                             ;   in Loop: Header=BB4_7295 Depth=2
	v_and_b32_e32 v14, 0x7fffffff, v2
	v_cmp_gt_u64_e32 vcc, s[56:57], v[14:15]
	v_and_b32_sdwa v26, v2, s48 dst_sel:DWORD dst_unused:UNUSED_PAD src0_sel:BYTE_3 src1_sel:DWORD
                                        ; implicit-def: $vgpr5
	s_and_saveexec_b64 s[20:21], vcc
	s_xor_b64 s[78:79], exec, s[20:21]
	s_cbranch_execz .LBB4_8552
; %bb.8543:                             ;   in Loop: Header=BB4_7295 Depth=2
	v_mov_b32_e32 v5, 0
	v_cmp_ne_u32_e32 vcc, 0, v2
	s_and_saveexec_b64 s[88:89], vcc
	s_cbranch_execz .LBB4_8551
; %bb.8544:                             ;   in Loop: Header=BB4_7295 Depth=2
	v_and_b32_e32 v10, 0x7fffff, v2
	v_bfe_u32 v2, v2, 23, 8
	v_cmp_gt_u32_e64 s[20:21], s49, v2
	v_sub_u32_e32 v5, 0x79, v2
	v_cmp_eq_u32_e32 vcc, 0, v2
	v_cndmask_b32_e64 v5, 0, v5, s[20:21]
	v_or_b32_e32 v11, 0x800000, v10
	v_cndmask_b32_e32 v5, v5, v47, vcc
	v_cndmask_b32_e32 v14, v11, v10, vcc
	v_add_u32_e32 v10, 20, v5
	v_lshlrev_b64 v[10:11], v10, -1
	v_add_u32_e32 v27, 19, v5
	v_lshlrev_b64 v[27:28], v27, 1
	v_bfi_b32 v11, v11, 0, 0
	v_bfi_b32 v10, v10, 0, v14
	v_cmp_eq_u64_e64 s[20:21], v[10:11], v[27:28]
	v_lshrrev_b64 v[10:11], v5, v[14:15]
	v_mov_b32_e32 v55, v11
	v_mov_b32_e32 v54, v10
	s_and_saveexec_b64 s[90:91], s[20:21]
; %bb.8545:                             ;   in Loop: Header=BB4_7295 Depth=2
	v_bfe_u32 v11, v10, 20, 1
	v_add_co_u32_e64 v11, s[20:21], v10, v11
	v_add_co_u32_e64 v54, s[20:21], -1, v11
; %bb.8546:                             ;   in Loop: Header=BB4_7295 Depth=2
	s_or_b64 exec, exec, s[90:91]
	v_add_u32_e32 v2, 0xffffff81, v2
	v_cndmask_b32_e32 v2, v2, v44, vcc
	v_lshrrev_b32_e32 v11, 23, v10
	v_add3_u32 v27, v5, v2, v11
	v_add_u32_e32 v5, 6, v27
	v_and_b32_e32 v2, 0xfffff, v54
	v_add_u32_e32 v14, v2, v10
	v_cmp_ne_u32_e32 vcc, 0, v5
                                        ; implicit-def: $vgpr10_vgpr11
                                        ; implicit-def: $vgpr2
	s_and_saveexec_b64 s[20:21], vcc
	s_xor_b64 s[20:21], exec, s[20:21]
; %bb.8547:                             ;   in Loop: Header=BB4_7295 Depth=2
	v_cmp_lt_u64_e32 vcc, s[58:59], v[14:15]
	v_add_u32_e32 v2, 7, v27
	v_cndmask_b32_e32 v2, v5, v2, vcc
	v_cndmask_b32_e64 v5, 0, 1, vcc
	v_lshrrev_b64 v[10:11], v5, v[14:15]
; %bb.8548:                             ;   in Loop: Header=BB4_7295 Depth=2
	s_andn2_saveexec_b64 s[20:21], s[20:21]
; %bb.8549:                             ;   in Loop: Header=BB4_7295 Depth=2
	v_mov_b32_e32 v10, v14
	v_bfe_u32 v2, v14, 23, 1
	v_mov_b32_e32 v11, v15
; %bb.8550:                             ;   in Loop: Header=BB4_7295 Depth=2
	s_or_b64 exec, exec, s[20:21]
	v_lshrrev_b64 v[10:11], 20, v[10:11]
	v_cmp_gt_i32_e32 vcc, 16, v2
	v_cndmask_b32_e32 v11, 0, v11, vcc
	v_cndmask_b32_e32 v10, 7, v10, vcc
	v_cmp_eq_u32_e32 vcc, 0, v2
	v_min_i32_e32 v2, 15, v2
	v_cmp_eq_u64_e64 s[20:21], 0, v[10:11]
	v_lshlrev_b32_e32 v2, 3, v2
	v_and_b32_e32 v2, 0xf8, v2
	v_and_or_b32 v2, v10, 7, v2
	s_and_b64 s[20:21], vcc, s[20:21]
	v_cndmask_b32_e64 v2, v2, 0, s[20:21]
	v_or_b32_e32 v5, v2, v26
.LBB4_8551:                             ;   in Loop: Header=BB4_7295 Depth=2
	s_or_b64 exec, exec, s[88:89]
                                        ; implicit-def: $vgpr26
.LBB4_8552:                             ;   in Loop: Header=BB4_7295 Depth=2
	s_andn2_saveexec_b64 s[20:21], s[78:79]
; %bb.8553:                             ;   in Loop: Header=BB4_7295 Depth=2
	v_or_b32_e32 v5, 0x7e, v26
; %bb.8554:                             ;   in Loop: Header=BB4_7295 Depth=2
	s_or_b64 exec, exec, s[20:21]
                                        ; implicit-def: $vgpr2
.LBB4_8555:                             ;   in Loop: Header=BB4_7295 Depth=2
	s_andn2_saveexec_b64 s[20:21], s[76:77]
; %bb.8556:                             ;   in Loop: Header=BB4_7295 Depth=2
	v_or_b32_sdwa v5, v2, s39 dst_sel:DWORD dst_unused:UNUSED_PAD src0_sel:BYTE_3 src1_sel:DWORD
; %bb.8557:                             ;   in Loop: Header=BB4_7295 Depth=2
	s_or_b64 exec, exec, s[20:21]
	v_lshrrev_b16_e32 v10, 8, v12
	v_cmp_ne_u16_e32 vcc, 0, v10
	v_mov_b32_e32 v2, 0
	s_and_saveexec_b64 s[20:21], vcc
	s_cbranch_execz .LBB4_8563
; %bb.8558:                             ;   in Loop: Header=BB4_7295 Depth=2
	v_cmp_ne_u16_e32 vcc, s48, v10
	v_bfrev_b32_e32 v2, 1
	s_and_saveexec_b64 s[76:77], vcc
	s_cbranch_execz .LBB4_8562
; %bb.8559:                             ;   in Loop: Header=BB4_7295 Depth=2
	v_and_b32_e32 v11, 0x7f, v10
	v_cmp_ne_u32_e32 vcc, s39, v11
	v_mov_b32_e32 v2, 0x7f800001
	s_and_saveexec_b64 s[78:79], vcc
	s_cbranch_execz .LBB4_8561
; %bb.8560:                             ;   in Loop: Header=BB4_7295 Depth=2
	v_and_b32_e32 v2, 7, v10
	v_lshrrev_b32_e32 v14, 3, v11
	v_cmp_gt_u32_e32 vcc, 8, v11
	v_ffbh_u32_e32 v11, v2
	v_min_u32_e32 v26, 32, v11
	v_subrev_u32_e32 v11, 28, v26
	v_lshlrev_b64 v[10:11], v11, v[10:11]
	v_sub_u32_e32 v11, 29, v26
	v_and_b32_e32 v10, 7, v10
	v_cndmask_b32_e32 v11, v14, v11, vcc
	v_cndmask_b32_e32 v2, v2, v10, vcc
	v_lshlrev_b32_e32 v10, 16, v12
	v_bfrev_b32_e32 v14, 60
	v_lshlrev_b32_e32 v2, 20, v2
	v_and_b32_e32 v10, 0x80000000, v10
	v_lshl_add_u32 v11, v11, 23, v14
	v_or3_b32 v2, v10, v11, v2
.LBB4_8561:                             ;   in Loop: Header=BB4_7295 Depth=2
	s_or_b64 exec, exec, s[78:79]
.LBB4_8562:                             ;   in Loop: Header=BB4_7295 Depth=2
	s_or_b64 exec, exec, s[76:77]
.LBB4_8563:                             ;   in Loop: Header=BB4_7295 Depth=2
	s_or_b64 exec, exec, s[20:21]
	v_mul_f32_e32 v2, v61, v2
	v_and_b32_e32 v14, 0x7f800000, v2
	v_cmp_ne_u64_e32 vcc, s[46:47], v[14:15]
                                        ; implicit-def: $vgpr36
	s_and_saveexec_b64 s[20:21], vcc
	s_xor_b64 s[76:77], exec, s[20:21]
	s_cbranch_execz .LBB4_8577
; %bb.8564:                             ;   in Loop: Header=BB4_7295 Depth=2
	v_and_b32_e32 v14, 0x7fffffff, v2
	v_cmp_gt_u64_e32 vcc, s[56:57], v[14:15]
	v_and_b32_sdwa v26, v2, s48 dst_sel:DWORD dst_unused:UNUSED_PAD src0_sel:BYTE_3 src1_sel:DWORD
                                        ; implicit-def: $vgpr36
	s_and_saveexec_b64 s[20:21], vcc
	s_xor_b64 s[78:79], exec, s[20:21]
	s_cbranch_execz .LBB4_8574
; %bb.8565:                             ;   in Loop: Header=BB4_7295 Depth=2
	v_mov_b32_e32 v36, 0
	v_cmp_ne_u32_e32 vcc, 0, v2
	s_and_saveexec_b64 s[88:89], vcc
	s_cbranch_execz .LBB4_8573
; %bb.8566:                             ;   in Loop: Header=BB4_7295 Depth=2
	v_and_b32_e32 v10, 0x7fffff, v2
	v_bfe_u32 v2, v2, 23, 8
	v_cmp_gt_u32_e64 s[20:21], s49, v2
	v_sub_u32_e32 v11, 0x79, v2
	v_cmp_eq_u32_e32 vcc, 0, v2
	v_cndmask_b32_e64 v11, 0, v11, s[20:21]
	v_or_b32_e32 v14, 0x800000, v10
	v_cndmask_b32_e32 v27, v11, v47, vcc
	v_cndmask_b32_e32 v14, v14, v10, vcc
	v_add_u32_e32 v10, 20, v27
	v_lshlrev_b64 v[10:11], v10, -1
	v_add_u32_e32 v28, 19, v27
	v_lshlrev_b64 v[28:29], v28, 1
	v_bfi_b32 v11, v11, 0, 0
	v_bfi_b32 v10, v10, 0, v14
	v_cmp_eq_u64_e64 s[20:21], v[10:11], v[28:29]
	v_lshrrev_b64 v[10:11], v27, v[14:15]
	v_mov_b32_e32 v55, v11
	v_mov_b32_e32 v54, v10
	s_and_saveexec_b64 s[90:91], s[20:21]
; %bb.8567:                             ;   in Loop: Header=BB4_7295 Depth=2
	v_bfe_u32 v11, v10, 20, 1
	v_add_co_u32_e64 v11, s[20:21], v10, v11
	v_add_co_u32_e64 v54, s[20:21], -1, v11
; %bb.8568:                             ;   in Loop: Header=BB4_7295 Depth=2
	s_or_b64 exec, exec, s[90:91]
	v_add_u32_e32 v2, 0xffffff81, v2
	v_cndmask_b32_e32 v2, v2, v44, vcc
	v_lshrrev_b32_e32 v11, 23, v10
	v_add3_u32 v28, v27, v2, v11
	v_add_u32_e32 v27, 6, v28
	v_and_b32_e32 v2, 0xfffff, v54
	v_add_u32_e32 v14, v2, v10
	v_cmp_ne_u32_e32 vcc, 0, v27
                                        ; implicit-def: $vgpr10_vgpr11
                                        ; implicit-def: $vgpr2
	s_and_saveexec_b64 s[20:21], vcc
	s_xor_b64 s[20:21], exec, s[20:21]
; %bb.8569:                             ;   in Loop: Header=BB4_7295 Depth=2
	v_cmp_lt_u64_e32 vcc, s[58:59], v[14:15]
	v_add_u32_e32 v2, 7, v28
	v_cndmask_b32_e64 v10, 0, 1, vcc
	v_lshrrev_b64 v[10:11], v10, v[14:15]
	v_cndmask_b32_e32 v2, v27, v2, vcc
; %bb.8570:                             ;   in Loop: Header=BB4_7295 Depth=2
	s_andn2_saveexec_b64 s[20:21], s[20:21]
; %bb.8571:                             ;   in Loop: Header=BB4_7295 Depth=2
	v_mov_b32_e32 v10, v14
	v_bfe_u32 v2, v14, 23, 1
	v_mov_b32_e32 v11, v15
; %bb.8572:                             ;   in Loop: Header=BB4_7295 Depth=2
	s_or_b64 exec, exec, s[20:21]
	v_lshrrev_b64 v[10:11], 20, v[10:11]
	v_cmp_gt_i32_e32 vcc, 16, v2
	v_cndmask_b32_e32 v11, 0, v11, vcc
	v_cndmask_b32_e32 v10, 7, v10, vcc
	v_cmp_eq_u32_e32 vcc, 0, v2
	v_min_i32_e32 v2, 15, v2
	v_cmp_eq_u64_e64 s[20:21], 0, v[10:11]
	v_lshlrev_b32_e32 v2, 3, v2
	v_and_b32_e32 v2, 0xf8, v2
	v_and_or_b32 v2, v10, 7, v2
	s_and_b64 s[20:21], vcc, s[20:21]
	v_cndmask_b32_e64 v2, v2, 0, s[20:21]
	v_or_b32_e32 v36, v2, v26
.LBB4_8573:                             ;   in Loop: Header=BB4_7295 Depth=2
	s_or_b64 exec, exec, s[88:89]
                                        ; implicit-def: $vgpr26
.LBB4_8574:                             ;   in Loop: Header=BB4_7295 Depth=2
	s_andn2_saveexec_b64 s[20:21], s[78:79]
; %bb.8575:                             ;   in Loop: Header=BB4_7295 Depth=2
	v_or_b32_e32 v36, 0x7e, v26
; %bb.8576:                             ;   in Loop: Header=BB4_7295 Depth=2
	s_or_b64 exec, exec, s[20:21]
                                        ; implicit-def: $vgpr2
.LBB4_8577:                             ;   in Loop: Header=BB4_7295 Depth=2
	s_andn2_saveexec_b64 s[20:21], s[76:77]
; %bb.8578:                             ;   in Loop: Header=BB4_7295 Depth=2
	v_or_b32_sdwa v36, v2, s39 dst_sel:DWORD dst_unused:UNUSED_PAD src0_sel:BYTE_3 src1_sel:DWORD
; %bb.8579:                             ;   in Loop: Header=BB4_7295 Depth=2
	s_or_b64 exec, exec, s[20:21]
	v_lshrrev_b32_e32 v10, 16, v12
	v_cmp_ne_u16_sdwa s[76:77], v10, v15 src0_sel:BYTE_0 src1_sel:DWORD
	v_mov_b32_e32 v2, 0
	s_and_saveexec_b64 s[20:21], s[76:77]
	s_cbranch_execz .LBB4_8585
; %bb.8580:                             ;   in Loop: Header=BB4_7295 Depth=2
	v_cmp_ne_u16_sdwa s[78:79], v10, s48 src0_sel:BYTE_0 src1_sel:DWORD
	v_bfrev_b32_e32 v2, 1
	s_and_saveexec_b64 s[76:77], s[78:79]
	s_cbranch_execz .LBB4_8584
; %bb.8581:                             ;   in Loop: Header=BB4_7295 Depth=2
	v_bfe_u32 v11, v12, 16, 7
	v_cmp_ne_u32_e32 vcc, s39, v11
	v_mov_b32_e32 v2, 0x7f800001
	s_and_saveexec_b64 s[78:79], vcc
	s_cbranch_execz .LBB4_8583
; %bb.8582:                             ;   in Loop: Header=BB4_7295 Depth=2
	v_and_b32_e32 v2, 7, v10
	v_lshrrev_b32_e32 v14, 3, v11
	v_cmp_gt_u32_e32 vcc, 8, v11
	v_ffbh_u32_e32 v11, v2
	v_min_u32_e32 v11, 32, v11
	v_subrev_u32_e32 v26, 28, v11
	v_lshlrev_b64 v[26:27], v26, v[10:11]
	v_sub_u32_e32 v11, 29, v11
	v_and_b32_e32 v26, 7, v26
	v_cndmask_b32_e32 v11, v14, v11, vcc
	v_cndmask_b32_e32 v2, v2, v26, vcc
	v_lshlrev_b32_e32 v10, 24, v10
	v_bfrev_b32_e32 v14, 60
	v_lshlrev_b32_e32 v2, 20, v2
	v_and_b32_e32 v10, 0x80000000, v10
	v_lshl_add_u32 v11, v11, 23, v14
	v_or3_b32 v2, v10, v11, v2
.LBB4_8583:                             ;   in Loop: Header=BB4_7295 Depth=2
	s_or_b64 exec, exec, s[78:79]
.LBB4_8584:                             ;   in Loop: Header=BB4_7295 Depth=2
	s_or_b64 exec, exec, s[76:77]
.LBB4_8585:                             ;   in Loop: Header=BB4_7295 Depth=2
	s_or_b64 exec, exec, s[20:21]
	v_mul_f32_e32 v2, v61, v2
	v_and_b32_e32 v14, 0x7f800000, v2
	v_cmp_ne_u64_e32 vcc, s[46:47], v[14:15]
                                        ; implicit-def: $vgpr26
	s_and_saveexec_b64 s[20:21], vcc
	s_xor_b64 s[76:77], exec, s[20:21]
	s_cbranch_execz .LBB4_8599
; %bb.8586:                             ;   in Loop: Header=BB4_7295 Depth=2
	v_and_b32_e32 v14, 0x7fffffff, v2
	v_cmp_gt_u64_e32 vcc, s[56:57], v[14:15]
	v_and_b32_sdwa v27, v2, s48 dst_sel:DWORD dst_unused:UNUSED_PAD src0_sel:BYTE_3 src1_sel:DWORD
                                        ; implicit-def: $vgpr26
	s_and_saveexec_b64 s[20:21], vcc
	s_xor_b64 s[78:79], exec, s[20:21]
	s_cbranch_execz .LBB4_8596
; %bb.8587:                             ;   in Loop: Header=BB4_7295 Depth=2
	v_mov_b32_e32 v26, 0
	v_cmp_ne_u32_e32 vcc, 0, v2
	s_and_saveexec_b64 s[88:89], vcc
	s_cbranch_execz .LBB4_8595
; %bb.8588:                             ;   in Loop: Header=BB4_7295 Depth=2
	v_and_b32_e32 v10, 0x7fffff, v2
	v_bfe_u32 v2, v2, 23, 8
	v_cmp_gt_u32_e64 s[20:21], s49, v2
	v_sub_u32_e32 v11, 0x79, v2
	v_cmp_eq_u32_e32 vcc, 0, v2
	v_cndmask_b32_e64 v11, 0, v11, s[20:21]
	v_or_b32_e32 v14, 0x800000, v10
	v_cndmask_b32_e32 v26, v11, v47, vcc
	v_cndmask_b32_e32 v14, v14, v10, vcc
	v_add_u32_e32 v10, 20, v26
	v_lshlrev_b64 v[10:11], v10, -1
	v_add_u32_e32 v28, 19, v26
	v_lshlrev_b64 v[28:29], v28, 1
	v_bfi_b32 v11, v11, 0, 0
	v_bfi_b32 v10, v10, 0, v14
	v_cmp_eq_u64_e64 s[20:21], v[10:11], v[28:29]
	v_lshrrev_b64 v[10:11], v26, v[14:15]
	v_mov_b32_e32 v55, v11
	v_mov_b32_e32 v54, v10
	s_and_saveexec_b64 s[90:91], s[20:21]
; %bb.8589:                             ;   in Loop: Header=BB4_7295 Depth=2
	v_bfe_u32 v11, v10, 20, 1
	v_add_co_u32_e64 v11, s[20:21], v10, v11
	v_add_co_u32_e64 v54, s[20:21], -1, v11
; %bb.8590:                             ;   in Loop: Header=BB4_7295 Depth=2
	s_or_b64 exec, exec, s[90:91]
	v_add_u32_e32 v2, 0xffffff81, v2
	v_cndmask_b32_e32 v2, v2, v44, vcc
	v_lshrrev_b32_e32 v11, 23, v10
	v_add3_u32 v28, v26, v2, v11
	v_add_u32_e32 v26, 6, v28
	v_and_b32_e32 v2, 0xfffff, v54
	v_add_u32_e32 v14, v2, v10
	v_cmp_ne_u32_e32 vcc, 0, v26
                                        ; implicit-def: $vgpr10_vgpr11
                                        ; implicit-def: $vgpr2
	s_and_saveexec_b64 s[20:21], vcc
	s_xor_b64 s[20:21], exec, s[20:21]
; %bb.8591:                             ;   in Loop: Header=BB4_7295 Depth=2
	v_cmp_lt_u64_e32 vcc, s[58:59], v[14:15]
	v_add_u32_e32 v2, 7, v28
	v_cndmask_b32_e64 v10, 0, 1, vcc
	v_lshrrev_b64 v[10:11], v10, v[14:15]
	v_cndmask_b32_e32 v2, v26, v2, vcc
; %bb.8592:                             ;   in Loop: Header=BB4_7295 Depth=2
	s_andn2_saveexec_b64 s[20:21], s[20:21]
; %bb.8593:                             ;   in Loop: Header=BB4_7295 Depth=2
	v_mov_b32_e32 v10, v14
	v_bfe_u32 v2, v14, 23, 1
	v_mov_b32_e32 v11, v15
; %bb.8594:                             ;   in Loop: Header=BB4_7295 Depth=2
	s_or_b64 exec, exec, s[20:21]
	v_lshrrev_b64 v[10:11], 20, v[10:11]
	v_cmp_gt_i32_e32 vcc, 16, v2
	v_cndmask_b32_e32 v11, 0, v11, vcc
	v_cndmask_b32_e32 v10, 7, v10, vcc
	v_cmp_eq_u32_e32 vcc, 0, v2
	v_min_i32_e32 v2, 15, v2
	v_cmp_eq_u64_e64 s[20:21], 0, v[10:11]
	v_lshlrev_b32_e32 v2, 3, v2
	v_and_b32_e32 v2, 0xf8, v2
	v_and_or_b32 v2, v10, 7, v2
	s_and_b64 s[20:21], vcc, s[20:21]
	v_cndmask_b32_e64 v2, v2, 0, s[20:21]
	v_or_b32_e32 v26, v2, v27
.LBB4_8595:                             ;   in Loop: Header=BB4_7295 Depth=2
	s_or_b64 exec, exec, s[88:89]
                                        ; implicit-def: $vgpr27
.LBB4_8596:                             ;   in Loop: Header=BB4_7295 Depth=2
	s_andn2_saveexec_b64 s[20:21], s[78:79]
; %bb.8597:                             ;   in Loop: Header=BB4_7295 Depth=2
	v_or_b32_e32 v26, 0x7e, v27
; %bb.8598:                             ;   in Loop: Header=BB4_7295 Depth=2
	s_or_b64 exec, exec, s[20:21]
                                        ; implicit-def: $vgpr2
.LBB4_8599:                             ;   in Loop: Header=BB4_7295 Depth=2
	s_andn2_saveexec_b64 s[20:21], s[76:77]
; %bb.8600:                             ;   in Loop: Header=BB4_7295 Depth=2
	v_or_b32_sdwa v26, v2, s39 dst_sel:DWORD dst_unused:UNUSED_PAD src0_sel:BYTE_3 src1_sel:DWORD
; %bb.8601:                             ;   in Loop: Header=BB4_7295 Depth=2
	s_or_b64 exec, exec, s[20:21]
	v_cmp_lt_u32_e32 vcc, s61, v12
	v_mov_b32_e32 v2, 0
	s_and_saveexec_b64 s[20:21], vcc
	s_cbranch_execz .LBB4_8607
; %bb.8602:                             ;   in Loop: Header=BB4_7295 Depth=2
	v_lshrrev_b32_e32 v10, 24, v12
	v_cmp_ne_u32_e32 vcc, s48, v10
	v_bfrev_b32_e32 v2, 1
	s_and_saveexec_b64 s[76:77], vcc
	s_cbranch_execz .LBB4_8606
; %bb.8603:                             ;   in Loop: Header=BB4_7295 Depth=2
	v_bfe_u32 v11, v12, 24, 7
	v_cmp_ne_u32_e32 vcc, s39, v11
	v_mov_b32_e32 v2, 0x7f800001
	s_and_saveexec_b64 s[78:79], vcc
	s_cbranch_execz .LBB4_8605
; %bb.8604:                             ;   in Loop: Header=BB4_7295 Depth=2
	v_and_b32_e32 v2, 7, v10
	v_lshrrev_b32_e32 v14, 3, v11
	v_cmp_gt_u32_e32 vcc, 8, v11
	v_ffbh_u32_e32 v11, v2
	v_min_u32_e32 v11, 32, v11
	v_subrev_u32_e32 v27, 28, v11
	v_lshlrev_b64 v[27:28], v27, v[10:11]
	v_sub_u32_e32 v11, 29, v11
	v_and_b32_e32 v27, 7, v27
	v_cndmask_b32_e32 v11, v14, v11, vcc
	v_cndmask_b32_e32 v2, v2, v27, vcc
	v_lshlrev_b32_e32 v10, 24, v10
	v_bfrev_b32_e32 v14, 60
	v_lshlrev_b32_e32 v2, 20, v2
	v_and_b32_e32 v10, 0x80000000, v10
	v_lshl_add_u32 v11, v11, 23, v14
	v_or3_b32 v2, v10, v11, v2
.LBB4_8605:                             ;   in Loop: Header=BB4_7295 Depth=2
	s_or_b64 exec, exec, s[78:79]
.LBB4_8606:                             ;   in Loop: Header=BB4_7295 Depth=2
	s_or_b64 exec, exec, s[76:77]
.LBB4_8607:                             ;   in Loop: Header=BB4_7295 Depth=2
	s_or_b64 exec, exec, s[20:21]
	v_mul_f32_e32 v2, v61, v2
	v_and_b32_e32 v14, 0x7f800000, v2
	v_cmp_ne_u64_e32 vcc, s[46:47], v[14:15]
                                        ; implicit-def: $vgpr28
	s_and_saveexec_b64 s[20:21], vcc
	s_xor_b64 s[76:77], exec, s[20:21]
	s_cbranch_execz .LBB4_8621
; %bb.8608:                             ;   in Loop: Header=BB4_7295 Depth=2
	v_and_b32_e32 v14, 0x7fffffff, v2
	v_cmp_gt_u64_e32 vcc, s[56:57], v[14:15]
	v_and_b32_sdwa v27, v2, s48 dst_sel:DWORD dst_unused:UNUSED_PAD src0_sel:BYTE_3 src1_sel:DWORD
                                        ; implicit-def: $vgpr28
	s_and_saveexec_b64 s[20:21], vcc
	s_xor_b64 s[78:79], exec, s[20:21]
	s_cbranch_execz .LBB4_8618
; %bb.8609:                             ;   in Loop: Header=BB4_7295 Depth=2
	v_mov_b32_e32 v28, 0
	v_cmp_ne_u32_e32 vcc, 0, v2
	s_and_saveexec_b64 s[88:89], vcc
	s_cbranch_execz .LBB4_8617
; %bb.8610:                             ;   in Loop: Header=BB4_7295 Depth=2
	v_and_b32_e32 v10, 0x7fffff, v2
	v_bfe_u32 v2, v2, 23, 8
	v_cmp_gt_u32_e64 s[20:21], s49, v2
	v_sub_u32_e32 v11, 0x79, v2
	v_cmp_eq_u32_e32 vcc, 0, v2
	v_cndmask_b32_e64 v11, 0, v11, s[20:21]
	v_or_b32_e32 v14, 0x800000, v10
	v_cndmask_b32_e32 v28, v11, v47, vcc
	v_cndmask_b32_e32 v14, v14, v10, vcc
	v_add_u32_e32 v10, 20, v28
	v_lshlrev_b64 v[10:11], v10, -1
	v_add_u32_e32 v29, 19, v28
	v_lshlrev_b64 v[54:55], v29, 1
	v_bfi_b32 v11, v11, 0, 0
	v_bfi_b32 v10, v10, 0, v14
	v_cmp_eq_u64_e64 s[20:21], v[10:11], v[54:55]
	v_lshrrev_b64 v[10:11], v28, v[14:15]
	v_mov_b32_e32 v55, v11
	v_mov_b32_e32 v54, v10
	s_and_saveexec_b64 s[90:91], s[20:21]
; %bb.8611:                             ;   in Loop: Header=BB4_7295 Depth=2
	v_bfe_u32 v11, v10, 20, 1
	v_add_co_u32_e64 v11, s[20:21], v10, v11
	v_add_co_u32_e64 v54, s[20:21], -1, v11
; %bb.8612:                             ;   in Loop: Header=BB4_7295 Depth=2
	s_or_b64 exec, exec, s[90:91]
	v_add_u32_e32 v2, 0xffffff81, v2
	v_cndmask_b32_e32 v2, v2, v44, vcc
	v_lshrrev_b32_e32 v11, 23, v10
	v_add3_u32 v29, v28, v2, v11
	v_add_u32_e32 v28, 6, v29
	v_and_b32_e32 v2, 0xfffff, v54
	v_add_u32_e32 v14, v2, v10
	v_cmp_ne_u32_e32 vcc, 0, v28
                                        ; implicit-def: $vgpr10_vgpr11
                                        ; implicit-def: $vgpr2
	s_and_saveexec_b64 s[20:21], vcc
	s_xor_b64 s[20:21], exec, s[20:21]
; %bb.8613:                             ;   in Loop: Header=BB4_7295 Depth=2
	v_cmp_lt_u64_e32 vcc, s[58:59], v[14:15]
	v_add_u32_e32 v2, 7, v29
	v_cndmask_b32_e64 v10, 0, 1, vcc
	v_lshrrev_b64 v[10:11], v10, v[14:15]
	v_cndmask_b32_e32 v2, v28, v2, vcc
; %bb.8614:                             ;   in Loop: Header=BB4_7295 Depth=2
	s_andn2_saveexec_b64 s[20:21], s[20:21]
; %bb.8615:                             ;   in Loop: Header=BB4_7295 Depth=2
	v_mov_b32_e32 v10, v14
	v_bfe_u32 v2, v14, 23, 1
	v_mov_b32_e32 v11, v15
; %bb.8616:                             ;   in Loop: Header=BB4_7295 Depth=2
	s_or_b64 exec, exec, s[20:21]
	v_lshrrev_b64 v[10:11], 20, v[10:11]
	v_cmp_gt_i32_e32 vcc, 16, v2
	v_cndmask_b32_e32 v11, 0, v11, vcc
	v_cndmask_b32_e32 v10, 7, v10, vcc
	v_cmp_eq_u32_e32 vcc, 0, v2
	v_min_i32_e32 v2, 15, v2
	v_cmp_eq_u64_e64 s[20:21], 0, v[10:11]
	v_lshlrev_b32_e32 v2, 3, v2
	v_and_b32_e32 v2, 0xf8, v2
	v_and_or_b32 v2, v10, 7, v2
	s_and_b64 s[20:21], vcc, s[20:21]
	v_cndmask_b32_e64 v2, v2, 0, s[20:21]
	v_or_b32_e32 v28, v2, v27
.LBB4_8617:                             ;   in Loop: Header=BB4_7295 Depth=2
	s_or_b64 exec, exec, s[88:89]
                                        ; implicit-def: $vgpr27
.LBB4_8618:                             ;   in Loop: Header=BB4_7295 Depth=2
	s_andn2_saveexec_b64 s[20:21], s[78:79]
; %bb.8619:                             ;   in Loop: Header=BB4_7295 Depth=2
	v_or_b32_e32 v28, 0x7e, v27
; %bb.8620:                             ;   in Loop: Header=BB4_7295 Depth=2
	s_or_b64 exec, exec, s[20:21]
                                        ; implicit-def: $vgpr2
.LBB4_8621:                             ;   in Loop: Header=BB4_7295 Depth=2
	s_andn2_saveexec_b64 s[20:21], s[76:77]
; %bb.8622:                             ;   in Loop: Header=BB4_7295 Depth=2
	v_or_b32_sdwa v28, v2, s39 dst_sel:DWORD dst_unused:UNUSED_PAD src0_sel:BYTE_3 src1_sel:DWORD
; %bb.8623:                             ;   in Loop: Header=BB4_7295 Depth=2
	s_or_b64 exec, exec, s[20:21]
	v_mov_b32_e32 v14, v13
	v_cmp_ne_u16_sdwa s[76:77], v13, v15 src0_sel:BYTE_0 src1_sel:DWORD
	v_mov_b32_e32 v2, 0
	s_and_saveexec_b64 s[20:21], s[76:77]
	s_cbranch_execz .LBB4_8629
; %bb.8624:                             ;   in Loop: Header=BB4_7295 Depth=2
	v_cmp_ne_u16_sdwa s[78:79], v13, s48 src0_sel:BYTE_0 src1_sel:DWORD
	v_bfrev_b32_e32 v2, 1
	s_and_saveexec_b64 s[76:77], s[78:79]
	s_cbranch_execz .LBB4_8628
; %bb.8625:                             ;   in Loop: Header=BB4_7295 Depth=2
	v_and_b32_e32 v10, 0x7f, v13
	v_cmp_ne_u32_e32 vcc, s39, v10
	v_mov_b32_e32 v2, 0x7f800001
	s_and_saveexec_b64 s[78:79], vcc
	s_cbranch_execz .LBB4_8627
; %bb.8626:                             ;   in Loop: Header=BB4_7295 Depth=2
	v_and_b32_e32 v2, 7, v13
	v_ffbh_u32_e32 v2, v2
	v_min_u32_e32 v2, 32, v2
	v_lshrrev_b32_e32 v11, 3, v10
	v_cmp_gt_u32_e32 vcc, 8, v10
	v_subrev_u32_e32 v10, 28, v2
	v_sub_u32_e32 v2, 29, v2
	v_cndmask_b32_e32 v10, 0, v10, vcc
	v_cndmask_b32_e32 v2, v11, v2, vcc
	v_lshlrev_b64 v[10:11], v10, v[14:15]
	v_lshlrev_b32_e32 v11, 24, v14
	v_lshlrev_b32_e32 v10, 20, v10
	v_bfrev_b32_e32 v27, 60
	v_and_b32_e32 v10, 0x700000, v10
	v_and_b32_e32 v11, 0x80000000, v11
	v_lshl_add_u32 v2, v2, 23, v27
	v_or3_b32 v2, v11, v2, v10
.LBB4_8627:                             ;   in Loop: Header=BB4_7295 Depth=2
	s_or_b64 exec, exec, s[78:79]
.LBB4_8628:                             ;   in Loop: Header=BB4_7295 Depth=2
	s_or_b64 exec, exec, s[76:77]
.LBB4_8629:                             ;   in Loop: Header=BB4_7295 Depth=2
	s_or_b64 exec, exec, s[20:21]
	v_mul_f32_e32 v2, v61, v2
	v_and_b32_e32 v10, 0x7f800000, v2
	v_mov_b32_e32 v11, v15
	v_cmp_ne_u64_e32 vcc, s[46:47], v[10:11]
                                        ; implicit-def: $vgpr29
	s_and_saveexec_b64 s[20:21], vcc
	s_xor_b64 s[76:77], exec, s[20:21]
	s_cbranch_execz .LBB4_8643
; %bb.8630:                             ;   in Loop: Header=BB4_7295 Depth=2
	v_and_b32_e32 v10, 0x7fffffff, v2
	v_mov_b32_e32 v11, v15
	v_cmp_gt_u64_e32 vcc, s[56:57], v[10:11]
	v_and_b32_sdwa v27, v2, s48 dst_sel:DWORD dst_unused:UNUSED_PAD src0_sel:BYTE_3 src1_sel:DWORD
                                        ; implicit-def: $vgpr29
	s_and_saveexec_b64 s[20:21], vcc
	s_xor_b64 s[78:79], exec, s[20:21]
	s_cbranch_execz .LBB4_8640
; %bb.8631:                             ;   in Loop: Header=BB4_7295 Depth=2
	v_mov_b32_e32 v29, 0
	v_cmp_ne_u32_e32 vcc, 0, v2
	s_and_saveexec_b64 s[88:89], vcc
	s_cbranch_execz .LBB4_8639
; %bb.8632:                             ;   in Loop: Header=BB4_7295 Depth=2
	v_and_b32_e32 v10, 0x7fffff, v2
	v_bfe_u32 v2, v2, 23, 8
	v_cmp_gt_u32_e64 s[20:21], s49, v2
	v_sub_u32_e32 v11, 0x79, v2
	v_cmp_eq_u32_e32 vcc, 0, v2
	v_cndmask_b32_e64 v11, 0, v11, s[20:21]
	v_or_b32_e32 v31, 0x800000, v10
	v_cndmask_b32_e32 v29, v11, v47, vcc
	v_cndmask_b32_e32 v10, v31, v10, vcc
	v_add_u32_e32 v31, 20, v29
	v_lshlrev_b64 v[54:55], v31, -1
	v_mov_b32_e32 v11, v15
	v_add_u32_e32 v31, 19, v29
	v_bfi_b32 v54, v54, 0, v10
	v_lshlrev_b64 v[58:59], v31, 1
	v_lshrrev_b64 v[10:11], v29, v[10:11]
	v_bfi_b32 v55, v55, 0, 0
	v_cmp_eq_u64_e64 s[20:21], v[54:55], v[58:59]
	v_mov_b32_e32 v55, v11
	v_mov_b32_e32 v54, v10
	s_and_saveexec_b64 s[90:91], s[20:21]
; %bb.8633:                             ;   in Loop: Header=BB4_7295 Depth=2
	v_bfe_u32 v11, v10, 20, 1
	v_add_co_u32_e64 v11, s[20:21], v10, v11
	v_add_co_u32_e64 v54, s[20:21], -1, v11
; %bb.8634:                             ;   in Loop: Header=BB4_7295 Depth=2
	s_or_b64 exec, exec, s[90:91]
	v_add_u32_e32 v2, 0xffffff81, v2
	v_cndmask_b32_e32 v2, v2, v44, vcc
	v_lshrrev_b32_e32 v11, 23, v10
	v_add3_u32 v31, v29, v2, v11
	v_add_u32_e32 v29, 6, v31
	v_and_b32_e32 v2, 0xfffff, v54
	v_add_u32_e32 v10, v2, v10
	v_mov_b32_e32 v11, v15
	v_cmp_ne_u32_e32 vcc, 0, v29
                                        ; implicit-def: $vgpr2
	s_and_saveexec_b64 s[20:21], vcc
	s_xor_b64 s[20:21], exec, s[20:21]
; %bb.8635:                             ;   in Loop: Header=BB4_7295 Depth=2
	v_cmp_lt_u64_e32 vcc, s[58:59], v[10:11]
	v_add_u32_e32 v2, 7, v31
	v_cndmask_b32_e32 v2, v29, v2, vcc
	v_cndmask_b32_e64 v29, 0, 1, vcc
	v_lshrrev_b64 v[10:11], v29, v[10:11]
; %bb.8636:                             ;   in Loop: Header=BB4_7295 Depth=2
	s_or_saveexec_b64 s[20:21], s[20:21]
	buffer_load_dword v59, off, s[0:3], s33 offset:328 ; 4-byte Folded Reload
	s_xor_b64 exec, exec, s[20:21]
; %bb.8637:                             ;   in Loop: Header=BB4_7295 Depth=2
	v_bfe_u32 v2, v10, 23, 1
; %bb.8638:                             ;   in Loop: Header=BB4_7295 Depth=2
	s_or_b64 exec, exec, s[20:21]
	v_lshrrev_b64 v[10:11], 20, v[10:11]
	v_cmp_gt_i32_e32 vcc, 16, v2
	v_cndmask_b32_e32 v11, 0, v11, vcc
	v_cndmask_b32_e32 v10, 7, v10, vcc
	v_cmp_eq_u32_e32 vcc, 0, v2
	v_min_i32_e32 v2, 15, v2
	v_cmp_eq_u64_e64 s[20:21], 0, v[10:11]
	v_lshlrev_b32_e32 v2, 3, v2
	v_and_b32_e32 v2, 0xf8, v2
	v_and_or_b32 v2, v10, 7, v2
	s_and_b64 s[20:21], vcc, s[20:21]
	v_cndmask_b32_e64 v2, v2, 0, s[20:21]
	v_or_b32_e32 v29, v2, v27
.LBB4_8639:                             ;   in Loop: Header=BB4_7295 Depth=2
	s_or_b64 exec, exec, s[88:89]
                                        ; implicit-def: $vgpr27
.LBB4_8640:                             ;   in Loop: Header=BB4_7295 Depth=2
	s_andn2_saveexec_b64 s[20:21], s[78:79]
; %bb.8641:                             ;   in Loop: Header=BB4_7295 Depth=2
	v_or_b32_e32 v29, 0x7e, v27
; %bb.8642:                             ;   in Loop: Header=BB4_7295 Depth=2
	s_or_b64 exec, exec, s[20:21]
                                        ; implicit-def: $vgpr2
.LBB4_8643:                             ;   in Loop: Header=BB4_7295 Depth=2
	s_andn2_saveexec_b64 s[20:21], s[76:77]
; %bb.8644:                             ;   in Loop: Header=BB4_7295 Depth=2
	v_or_b32_sdwa v29, v2, s39 dst_sel:DWORD dst_unused:UNUSED_PAD src0_sel:BYTE_3 src1_sel:DWORD
; %bb.8645:                             ;   in Loop: Header=BB4_7295 Depth=2
	s_or_b64 exec, exec, s[20:21]
	v_lshrrev_b16_e32 v10, 8, v14
	v_cmp_ne_u16_e32 vcc, 0, v10
	v_mov_b32_e32 v2, 0
	s_and_saveexec_b64 s[20:21], vcc
	s_cbranch_execz .LBB4_8651
; %bb.8646:                             ;   in Loop: Header=BB4_7295 Depth=2
	v_cmp_ne_u16_e32 vcc, s48, v10
	v_bfrev_b32_e32 v2, 1
	s_and_saveexec_b64 s[76:77], vcc
	s_cbranch_execz .LBB4_8650
; %bb.8647:                             ;   in Loop: Header=BB4_7295 Depth=2
	v_and_b32_e32 v11, 0x7f, v10
	v_cmp_ne_u32_e32 vcc, s39, v11
	v_mov_b32_e32 v2, 0x7f800001
	s_and_saveexec_b64 s[78:79], vcc
	s_cbranch_execz .LBB4_8649
; %bb.8648:                             ;   in Loop: Header=BB4_7295 Depth=2
	v_and_b32_e32 v2, 7, v10
	v_lshrrev_b32_e32 v27, 3, v11
	v_cmp_gt_u32_e32 vcc, 8, v11
	v_ffbh_u32_e32 v11, v2
	v_min_u32_e32 v31, 32, v11
	v_subrev_u32_e32 v11, 28, v31
	v_lshlrev_b64 v[10:11], v11, v[10:11]
	v_sub_u32_e32 v11, 29, v31
	v_and_b32_e32 v10, 7, v10
	v_cndmask_b32_e32 v11, v27, v11, vcc
	v_cndmask_b32_e32 v2, v2, v10, vcc
	v_lshlrev_b32_e32 v10, 16, v14
	v_bfrev_b32_e32 v14, 60
	v_lshlrev_b32_e32 v2, 20, v2
	v_and_b32_e32 v10, 0x80000000, v10
	v_lshl_add_u32 v11, v11, 23, v14
	v_or3_b32 v2, v10, v11, v2
.LBB4_8649:                             ;   in Loop: Header=BB4_7295 Depth=2
	s_or_b64 exec, exec, s[78:79]
.LBB4_8650:                             ;   in Loop: Header=BB4_7295 Depth=2
	s_or_b64 exec, exec, s[76:77]
.LBB4_8651:                             ;   in Loop: Header=BB4_7295 Depth=2
	s_or_b64 exec, exec, s[20:21]
	v_mul_f32_e32 v10, v61, v2
	v_and_b32_e32 v14, 0x7f800000, v10
	v_cmp_ne_u64_e32 vcc, s[46:47], v[14:15]
                                        ; implicit-def: $vgpr27
	s_and_saveexec_b64 s[20:21], vcc
	s_xor_b64 s[76:77], exec, s[20:21]
	s_cbranch_execz .LBB4_8665
; %bb.8652:                             ;   in Loop: Header=BB4_7295 Depth=2
	v_and_b32_e32 v14, 0x7fffffff, v10
	v_cmp_gt_u64_e32 vcc, s[56:57], v[14:15]
	v_and_b32_sdwa v2, v10, s48 dst_sel:DWORD dst_unused:UNUSED_PAD src0_sel:BYTE_3 src1_sel:DWORD
                                        ; implicit-def: $vgpr27
	s_and_saveexec_b64 s[20:21], vcc
	s_xor_b64 s[78:79], exec, s[20:21]
	s_cbranch_execz .LBB4_8662
; %bb.8653:                             ;   in Loop: Header=BB4_7295 Depth=2
	v_mov_b32_e32 v27, 0
	v_cmp_ne_u32_e32 vcc, 0, v10
	s_and_saveexec_b64 s[88:89], vcc
	s_cbranch_execz .LBB4_8661
; %bb.8654:                             ;   in Loop: Header=BB4_7295 Depth=2
	v_bfe_u32 v27, v10, 23, 8
	v_and_b32_e32 v11, 0x7fffff, v10
	v_cmp_gt_u32_e64 s[20:21], s49, v27
	v_sub_u32_e32 v10, 0x79, v27
	v_cmp_eq_u32_e32 vcc, 0, v27
	v_cndmask_b32_e64 v10, 0, v10, s[20:21]
	v_cndmask_b32_e32 v31, v10, v47, vcc
	v_or_b32_e32 v14, 0x800000, v11
	v_add_u32_e32 v10, 20, v31
	v_cndmask_b32_e32 v14, v14, v11, vcc
	v_lshlrev_b64 v[10:11], v10, -1
	v_add_u32_e32 v54, 19, v31
	v_lshlrev_b64 v[54:55], v54, 1
	v_bfi_b32 v11, v11, 0, 0
	v_bfi_b32 v10, v10, 0, v14
	v_cmp_eq_u64_e64 s[20:21], v[10:11], v[54:55]
	v_lshrrev_b64 v[10:11], v31, v[14:15]
	v_mov_b32_e32 v55, v11
	v_mov_b32_e32 v54, v10
	s_and_saveexec_b64 s[90:91], s[20:21]
; %bb.8655:                             ;   in Loop: Header=BB4_7295 Depth=2
	v_bfe_u32 v11, v10, 20, 1
	v_add_co_u32_e64 v11, s[20:21], v10, v11
	v_add_co_u32_e64 v54, s[20:21], -1, v11
; %bb.8656:                             ;   in Loop: Header=BB4_7295 Depth=2
	s_or_b64 exec, exec, s[90:91]
	v_add_u32_e32 v11, 0xffffff81, v27
	v_cndmask_b32_e32 v11, v11, v44, vcc
	v_lshrrev_b32_e32 v14, 23, v10
	v_add3_u32 v55, v31, v11, v14
	v_add_u32_e32 v31, 6, v55
	v_and_b32_e32 v11, 0xfffff, v54
	v_add_u32_e32 v14, v11, v10
	v_cmp_ne_u32_e32 vcc, 0, v31
                                        ; implicit-def: $vgpr10_vgpr11
                                        ; implicit-def: $vgpr27
	s_and_saveexec_b64 s[20:21], vcc
	s_xor_b64 s[20:21], exec, s[20:21]
; %bb.8657:                             ;   in Loop: Header=BB4_7295 Depth=2
	v_cmp_lt_u64_e32 vcc, s[58:59], v[14:15]
	v_add_u32_e32 v10, 7, v55
	v_cndmask_b32_e32 v27, v31, v10, vcc
	v_cndmask_b32_e64 v10, 0, 1, vcc
	v_lshrrev_b64 v[10:11], v10, v[14:15]
; %bb.8658:                             ;   in Loop: Header=BB4_7295 Depth=2
	s_andn2_saveexec_b64 s[20:21], s[20:21]
; %bb.8659:                             ;   in Loop: Header=BB4_7295 Depth=2
	v_mov_b32_e32 v10, v14
	v_bfe_u32 v27, v14, 23, 1
	v_mov_b32_e32 v11, v15
; %bb.8660:                             ;   in Loop: Header=BB4_7295 Depth=2
	s_or_b64 exec, exec, s[20:21]
	v_lshrrev_b64 v[10:11], 20, v[10:11]
	v_cmp_gt_i32_e32 vcc, 16, v27
	v_cndmask_b32_e32 v11, 0, v11, vcc
	v_cndmask_b32_e32 v10, 7, v10, vcc
	v_cmp_eq_u64_e64 s[20:21], 0, v[10:11]
	v_min_i32_e32 v11, 15, v27
	v_lshlrev_b32_e32 v11, 3, v11
	v_cmp_eq_u32_e32 vcc, 0, v27
	v_and_b32_e32 v11, 0xf8, v11
	v_and_or_b32 v10, v10, 7, v11
	s_and_b64 s[20:21], vcc, s[20:21]
	v_cndmask_b32_e64 v10, v10, 0, s[20:21]
	v_or_b32_e32 v27, v10, v2
.LBB4_8661:                             ;   in Loop: Header=BB4_7295 Depth=2
	s_or_b64 exec, exec, s[88:89]
                                        ; implicit-def: $vgpr2
.LBB4_8662:                             ;   in Loop: Header=BB4_7295 Depth=2
	s_andn2_saveexec_b64 s[20:21], s[78:79]
; %bb.8663:                             ;   in Loop: Header=BB4_7295 Depth=2
	v_or_b32_e32 v27, 0x7e, v2
; %bb.8664:                             ;   in Loop: Header=BB4_7295 Depth=2
	s_or_b64 exec, exec, s[20:21]
                                        ; implicit-def: $vgpr10
.LBB4_8665:                             ;   in Loop: Header=BB4_7295 Depth=2
	s_andn2_saveexec_b64 s[20:21], s[76:77]
; %bb.8666:                             ;   in Loop: Header=BB4_7295 Depth=2
	v_or_b32_sdwa v27, v10, s39 dst_sel:DWORD dst_unused:UNUSED_PAD src0_sel:BYTE_3 src1_sel:DWORD
; %bb.8667:                             ;   in Loop: Header=BB4_7295 Depth=2
	s_or_b64 exec, exec, s[20:21]
	v_lshrrev_b32_e32 v10, 16, v13
	v_cmp_ne_u16_sdwa s[76:77], v10, v15 src0_sel:BYTE_0 src1_sel:DWORD
	v_mov_b32_e32 v2, 0
	s_and_saveexec_b64 s[20:21], s[76:77]
	s_cbranch_execz .LBB4_8673
; %bb.8668:                             ;   in Loop: Header=BB4_7295 Depth=2
	v_cmp_ne_u16_sdwa s[78:79], v10, s48 src0_sel:BYTE_0 src1_sel:DWORD
	v_bfrev_b32_e32 v2, 1
	s_and_saveexec_b64 s[76:77], s[78:79]
	s_cbranch_execz .LBB4_8672
; %bb.8669:                             ;   in Loop: Header=BB4_7295 Depth=2
	v_bfe_u32 v11, v13, 16, 7
	v_cmp_ne_u32_e32 vcc, s39, v11
	v_mov_b32_e32 v2, 0x7f800001
	s_and_saveexec_b64 s[78:79], vcc
	s_cbranch_execz .LBB4_8671
; %bb.8670:                             ;   in Loop: Header=BB4_7295 Depth=2
	v_and_b32_e32 v2, 7, v10
	v_lshrrev_b32_e32 v14, 3, v11
	v_cmp_gt_u32_e32 vcc, 8, v11
	v_ffbh_u32_e32 v11, v2
	v_min_u32_e32 v11, 32, v11
	v_subrev_u32_e32 v31, 28, v11
	v_lshlrev_b64 v[54:55], v31, v[10:11]
	v_sub_u32_e32 v11, 29, v11
	v_and_b32_e32 v31, 7, v54
	v_cndmask_b32_e32 v11, v14, v11, vcc
	v_cndmask_b32_e32 v2, v2, v31, vcc
	v_lshlrev_b32_e32 v10, 24, v10
	v_bfrev_b32_e32 v14, 60
	v_lshlrev_b32_e32 v2, 20, v2
	v_and_b32_e32 v10, 0x80000000, v10
	v_lshl_add_u32 v11, v11, 23, v14
	v_or3_b32 v2, v10, v11, v2
.LBB4_8671:                             ;   in Loop: Header=BB4_7295 Depth=2
	s_or_b64 exec, exec, s[78:79]
.LBB4_8672:                             ;   in Loop: Header=BB4_7295 Depth=2
	s_or_b64 exec, exec, s[76:77]
.LBB4_8673:                             ;   in Loop: Header=BB4_7295 Depth=2
	s_or_b64 exec, exec, s[20:21]
	v_mul_f32_e32 v10, v61, v2
	v_and_b32_e32 v14, 0x7f800000, v10
	v_cmp_ne_u64_e32 vcc, s[46:47], v[14:15]
                                        ; implicit-def: $vgpr54
	s_and_saveexec_b64 s[20:21], vcc
	s_xor_b64 s[76:77], exec, s[20:21]
	s_cbranch_execz .LBB4_8687
; %bb.8674:                             ;   in Loop: Header=BB4_7295 Depth=2
	v_and_b32_e32 v14, 0x7fffffff, v10
	v_cmp_gt_u64_e32 vcc, s[56:57], v[14:15]
	v_and_b32_sdwa v2, v10, s48 dst_sel:DWORD dst_unused:UNUSED_PAD src0_sel:BYTE_3 src1_sel:DWORD
                                        ; implicit-def: $vgpr54
	s_and_saveexec_b64 s[20:21], vcc
	s_xor_b64 s[78:79], exec, s[20:21]
	s_cbranch_execz .LBB4_8684
; %bb.8675:                             ;   in Loop: Header=BB4_7295 Depth=2
	v_mov_b32_e32 v54, 0
	v_cmp_ne_u32_e32 vcc, 0, v10
	s_and_saveexec_b64 s[88:89], vcc
	s_cbranch_execz .LBB4_8683
; %bb.8676:                             ;   in Loop: Header=BB4_7295 Depth=2
	v_bfe_u32 v31, v10, 23, 8
	v_and_b32_e32 v11, 0x7fffff, v10
	v_cmp_gt_u32_e64 s[20:21], s49, v31
	v_sub_u32_e32 v10, 0x79, v31
	v_cmp_eq_u32_e32 vcc, 0, v31
	v_cndmask_b32_e64 v10, 0, v10, s[20:21]
	v_cndmask_b32_e32 v44, v10, v47, vcc
	v_or_b32_e32 v14, 0x800000, v11
	v_add_u32_e32 v10, 20, v44
	v_cndmask_b32_e32 v14, v14, v11, vcc
	v_lshlrev_b64 v[10:11], v10, -1
	v_add_u32_e32 v54, 19, v44
	v_lshlrev_b64 v[54:55], v54, 1
	v_bfi_b32 v11, v11, 0, 0
	v_bfi_b32 v10, v10, 0, v14
	v_cmp_eq_u64_e64 s[20:21], v[10:11], v[54:55]
	v_lshrrev_b64 v[10:11], v44, v[14:15]
	v_mov_b32_e32 v58, 0xffffff82
	v_mov_b32_e32 v55, v11
	;; [unrolled: 1-line block ×3, first 2 shown]
	s_and_saveexec_b64 s[90:91], s[20:21]
; %bb.8677:                             ;   in Loop: Header=BB4_7295 Depth=2
	v_bfe_u32 v11, v10, 20, 1
	v_add_co_u32_e64 v11, s[20:21], v10, v11
	v_add_co_u32_e64 v54, s[20:21], -1, v11
; %bb.8678:                             ;   in Loop: Header=BB4_7295 Depth=2
	s_or_b64 exec, exec, s[90:91]
	v_add_u32_e32 v11, 0xffffff81, v31
	v_cndmask_b32_e32 v11, v11, v58, vcc
	v_lshrrev_b32_e32 v14, 23, v10
	v_add3_u32 v44, v44, v11, v14
	v_add_u32_e32 v55, 6, v44
	v_and_b32_e32 v11, 0xfffff, v54
	v_add_u32_e32 v14, v11, v10
	v_cmp_ne_u32_e32 vcc, 0, v55
                                        ; implicit-def: $vgpr10_vgpr11
                                        ; implicit-def: $vgpr31
	s_and_saveexec_b64 s[20:21], vcc
	s_xor_b64 s[20:21], exec, s[20:21]
; %bb.8679:                             ;   in Loop: Header=BB4_7295 Depth=2
	v_cmp_lt_u64_e32 vcc, s[58:59], v[14:15]
	v_add_u32_e32 v10, 7, v44
	v_cndmask_b32_e32 v31, v55, v10, vcc
	v_cndmask_b32_e64 v10, 0, 1, vcc
	v_lshrrev_b64 v[10:11], v10, v[14:15]
; %bb.8680:                             ;   in Loop: Header=BB4_7295 Depth=2
	s_andn2_saveexec_b64 s[20:21], s[20:21]
; %bb.8681:                             ;   in Loop: Header=BB4_7295 Depth=2
	v_mov_b32_e32 v10, v14
	v_bfe_u32 v31, v14, 23, 1
	v_mov_b32_e32 v11, v15
; %bb.8682:                             ;   in Loop: Header=BB4_7295 Depth=2
	s_or_b64 exec, exec, s[20:21]
	v_lshrrev_b64 v[10:11], 20, v[10:11]
	v_cmp_gt_i32_e32 vcc, 16, v31
	v_cndmask_b32_e32 v11, 0, v11, vcc
	v_cndmask_b32_e32 v10, 7, v10, vcc
	v_cmp_eq_u64_e64 s[20:21], 0, v[10:11]
	v_min_i32_e32 v11, 15, v31
	v_lshlrev_b32_e32 v11, 3, v11
	v_cmp_eq_u32_e32 vcc, 0, v31
	v_and_b32_e32 v11, 0xf8, v11
	v_and_or_b32 v10, v10, 7, v11
	s_and_b64 s[20:21], vcc, s[20:21]
	v_cndmask_b32_e64 v10, v10, 0, s[20:21]
	v_or_b32_e32 v54, v10, v2
	v_mov_b32_e32 v44, 0xffffff82
.LBB4_8683:                             ;   in Loop: Header=BB4_7295 Depth=2
	s_or_b64 exec, exec, s[88:89]
                                        ; implicit-def: $vgpr2
.LBB4_8684:                             ;   in Loop: Header=BB4_7295 Depth=2
	s_andn2_saveexec_b64 s[20:21], s[78:79]
; %bb.8685:                             ;   in Loop: Header=BB4_7295 Depth=2
	v_or_b32_e32 v54, 0x7e, v2
; %bb.8686:                             ;   in Loop: Header=BB4_7295 Depth=2
	s_or_b64 exec, exec, s[20:21]
                                        ; implicit-def: $vgpr10
.LBB4_8687:                             ;   in Loop: Header=BB4_7295 Depth=2
	s_andn2_saveexec_b64 s[20:21], s[76:77]
; %bb.8688:                             ;   in Loop: Header=BB4_7295 Depth=2
	v_or_b32_sdwa v54, v10, s39 dst_sel:DWORD dst_unused:UNUSED_PAD src0_sel:BYTE_3 src1_sel:DWORD
; %bb.8689:                             ;   in Loop: Header=BB4_7295 Depth=2
	s_or_b64 exec, exec, s[20:21]
	v_cmp_lt_u64_e32 vcc, s[60:61], v[12:13]
	v_mov_b32_e32 v2, 0
	s_and_saveexec_b64 s[20:21], vcc
	s_cbranch_execz .LBB4_8695
; %bb.8690:                             ;   in Loop: Header=BB4_7295 Depth=2
	v_lshrrev_b32_e32 v10, 24, v13
	v_cmp_ne_u32_e32 vcc, s48, v10
	v_bfrev_b32_e32 v2, 1
	s_and_saveexec_b64 s[76:77], vcc
	s_cbranch_execz .LBB4_8694
; %bb.8691:                             ;   in Loop: Header=BB4_7295 Depth=2
	v_bfe_u32 v11, v13, 24, 7
	v_cmp_ne_u32_e32 vcc, s39, v11
	v_mov_b32_e32 v2, 0x7f800001
	s_and_saveexec_b64 s[78:79], vcc
	s_cbranch_execz .LBB4_8693
; %bb.8692:                             ;   in Loop: Header=BB4_7295 Depth=2
	v_and_b32_e32 v2, 7, v10
	v_lshrrev_b32_e32 v13, 3, v11
	v_cmp_gt_u32_e32 vcc, 8, v11
	v_ffbh_u32_e32 v11, v2
	v_min_u32_e32 v14, 32, v11
	v_subrev_u32_e32 v11, 28, v14
	v_lshlrev_b64 v[11:12], v11, v[10:11]
	v_sub_u32_e32 v12, 29, v14
	v_and_b32_e32 v11, 7, v11
	v_cndmask_b32_e32 v12, v13, v12, vcc
	v_cndmask_b32_e32 v2, v2, v11, vcc
	v_lshlrev_b32_e32 v10, 24, v10
	v_bfrev_b32_e32 v11, 60
	v_lshlrev_b32_e32 v2, 20, v2
	v_and_b32_e32 v10, 0x80000000, v10
	v_lshl_add_u32 v11, v12, 23, v11
	v_or3_b32 v2, v10, v11, v2
.LBB4_8693:                             ;   in Loop: Header=BB4_7295 Depth=2
	s_or_b64 exec, exec, s[78:79]
.LBB4_8694:                             ;   in Loop: Header=BB4_7295 Depth=2
	s_or_b64 exec, exec, s[76:77]
.LBB4_8695:                             ;   in Loop: Header=BB4_7295 Depth=2
	s_or_b64 exec, exec, s[20:21]
	v_mul_f32_e32 v11, v61, v2
	v_and_b32_e32 v14, 0x7f800000, v11
	v_cmp_ne_u64_e32 vcc, s[46:47], v[14:15]
                                        ; implicit-def: $vgpr10
	s_and_saveexec_b64 s[20:21], vcc
	s_xor_b64 s[76:77], exec, s[20:21]
	s_cbranch_execz .LBB4_8709
; %bb.8696:                             ;   in Loop: Header=BB4_7295 Depth=2
	v_and_b32_e32 v14, 0x7fffffff, v11
	v_cmp_gt_u64_e32 vcc, s[56:57], v[14:15]
	v_and_b32_sdwa v2, v11, s48 dst_sel:DWORD dst_unused:UNUSED_PAD src0_sel:BYTE_3 src1_sel:DWORD
                                        ; implicit-def: $vgpr10
	s_and_saveexec_b64 s[20:21], vcc
	s_xor_b64 s[78:79], exec, s[20:21]
	s_cbranch_execz .LBB4_8706
; %bb.8697:                             ;   in Loop: Header=BB4_7295 Depth=2
	v_mov_b32_e32 v10, 0
	v_cmp_ne_u32_e32 vcc, 0, v11
	s_and_saveexec_b64 s[88:89], vcc
	s_cbranch_execz .LBB4_8705
; %bb.8698:                             ;   in Loop: Header=BB4_7295 Depth=2
	v_bfe_u32 v13, v11, 23, 8
	v_and_b32_e32 v10, 0x7fffff, v11
	v_cmp_gt_u32_e64 s[20:21], s49, v13
	v_sub_u32_e32 v11, 0x79, v13
	v_cmp_eq_u32_e32 vcc, 0, v13
	v_cndmask_b32_e64 v11, 0, v11, s[20:21]
	v_or_b32_e32 v12, 0x800000, v10
	v_cndmask_b32_e32 v31, v11, v47, vcc
	v_cndmask_b32_e32 v14, v12, v10, vcc
	v_add_u32_e32 v10, 20, v31
	v_lshlrev_b64 v[10:11], v10, -1
	v_add_u32_e32 v12, 19, v31
	s_waitcnt vmcnt(0)
	v_lshlrev_b64 v[58:59], v12, 1
	v_bfi_b32 v11, v11, 0, 0
	v_bfi_b32 v10, v10, 0, v14
	v_cmp_eq_u64_e64 s[20:21], v[10:11], v[58:59]
	v_lshrrev_b64 v[10:11], v31, v[14:15]
	v_mov_b32_e32 v12, v11
	v_mov_b32_e32 v11, v10
	s_and_saveexec_b64 s[90:91], s[20:21]
; %bb.8699:                             ;   in Loop: Header=BB4_7295 Depth=2
	v_bfe_u32 v11, v10, 20, 1
	v_add_co_u32_e64 v11, s[20:21], v10, v11
	v_add_co_u32_e64 v11, s[20:21], -1, v11
; %bb.8700:                             ;   in Loop: Header=BB4_7295 Depth=2
	s_or_b64 exec, exec, s[90:91]
	v_add_u32_e32 v12, 0xffffff81, v13
	v_cndmask_b32_e32 v12, v12, v44, vcc
	v_lshrrev_b32_e32 v13, 23, v10
	v_add3_u32 v31, v31, v12, v13
	v_add_u32_e32 v13, 6, v31
	v_and_b32_e32 v11, 0xfffff, v11
	v_add_u32_e32 v14, v11, v10
	v_cmp_ne_u32_e32 vcc, 0, v13
                                        ; implicit-def: $vgpr10_vgpr11
                                        ; implicit-def: $vgpr12
	s_and_saveexec_b64 s[20:21], vcc
	s_xor_b64 s[20:21], exec, s[20:21]
; %bb.8701:                             ;   in Loop: Header=BB4_7295 Depth=2
	v_cmp_lt_u64_e32 vcc, s[58:59], v[14:15]
	v_add_u32_e32 v10, 7, v31
	v_cndmask_b32_e32 v12, v13, v10, vcc
	v_cndmask_b32_e64 v10, 0, 1, vcc
	v_lshrrev_b64 v[10:11], v10, v[14:15]
; %bb.8702:                             ;   in Loop: Header=BB4_7295 Depth=2
	s_or_saveexec_b64 s[20:21], s[20:21]
	buffer_load_dword v59, off, s[0:3], s33 offset:328 ; 4-byte Folded Reload
	s_xor_b64 exec, exec, s[20:21]
; %bb.8703:                             ;   in Loop: Header=BB4_7295 Depth=2
	v_mov_b32_e32 v10, v14
	v_bfe_u32 v12, v14, 23, 1
	v_mov_b32_e32 v11, v15
; %bb.8704:                             ;   in Loop: Header=BB4_7295 Depth=2
	s_or_b64 exec, exec, s[20:21]
	v_lshrrev_b64 v[10:11], 20, v[10:11]
	v_cmp_gt_i32_e32 vcc, 16, v12
	v_cndmask_b32_e32 v11, 0, v11, vcc
	v_cndmask_b32_e32 v10, 7, v10, vcc
	v_cmp_eq_u64_e64 s[20:21], 0, v[10:11]
	v_min_i32_e32 v11, 15, v12
	v_lshlrev_b32_e32 v11, 3, v11
	v_cmp_eq_u32_e32 vcc, 0, v12
	v_and_b32_e32 v11, 0xf8, v11
	v_and_or_b32 v10, v10, 7, v11
	s_and_b64 s[20:21], vcc, s[20:21]
	v_cndmask_b32_e64 v10, v10, 0, s[20:21]
	v_or_b32_e32 v10, v10, v2
.LBB4_8705:                             ;   in Loop: Header=BB4_7295 Depth=2
	s_or_b64 exec, exec, s[88:89]
                                        ; implicit-def: $vgpr2
.LBB4_8706:                             ;   in Loop: Header=BB4_7295 Depth=2
	s_andn2_saveexec_b64 s[20:21], s[78:79]
; %bb.8707:                             ;   in Loop: Header=BB4_7295 Depth=2
	v_or_b32_e32 v10, 0x7e, v2
; %bb.8708:                             ;   in Loop: Header=BB4_7295 Depth=2
	s_or_b64 exec, exec, s[20:21]
                                        ; implicit-def: $vgpr11
.LBB4_8709:                             ;   in Loop: Header=BB4_7295 Depth=2
	s_andn2_saveexec_b64 s[20:21], s[76:77]
	s_cbranch_execz .LBB4_7294
; %bb.8710:                             ;   in Loop: Header=BB4_7295 Depth=2
	v_or_b32_sdwa v10, v11, s39 dst_sel:DWORD dst_unused:UNUSED_PAD src0_sel:BYTE_3 src1_sel:DWORD
	s_branch .LBB4_7294
.LBB4_8711:                             ;   in Loop: Header=BB4_7219 Depth=1
	s_or_b64 exec, exec, s[74:75]
	buffer_load_dword v53, off, s[0:3], s33 offset:352 ; 4-byte Folded Reload
	buffer_load_dword v52, off, s[0:3], s33 offset:308 ; 4-byte Folded Reload
.LBB4_8712:                             ;   in Loop: Header=BB4_7219 Depth=1
	s_or_b64 exec, exec, s[22:23]
	buffer_load_dword v0, off, s[0:3], s33 offset:304 ; 4-byte Folded Reload
	s_mov_b64 s[20:21], 0
                                        ; implicit-def: $vgpr1
                                        ; implicit-def: $vgpr2
	s_waitcnt vmcnt(0)
	v_and_b32_e32 v4, 0x3ffff000, v0
	v_cmp_ne_u32_e32 vcc, v0, v4
	v_mov_b32_e32 v0, 0
	s_and_saveexec_b64 s[74:75], vcc
	s_cbranch_execz .LBB4_9078
; %bb.8713:                             ;   in Loop: Header=BB4_7219 Depth=1
	buffer_load_dword v7, off, s[0:3], s33 offset:304 ; 4-byte Folded Reload
	buffer_load_dword v2, off, s[0:3], s33 offset:348 ; 4-byte Folded Reload
	v_lshlrev_b32_e32 v1, 6, v34
	s_waitcnt vmcnt(1)
	v_and_b32_e32 v0, 0xfff, v7
	s_waitcnt vmcnt(0)
	v_sub_u32_e32 v1, v2, v1
	v_ashrrev_i32_e32 v2, 31, v1
	v_lshrrev_b32_e32 v2, 26, v2
	v_add_u32_e32 v2, v1, v2
	v_ashrrev_i32_e32 v3, 6, v2
	v_and_b32_e32 v2, 0xffffffc0, v2
	v_sub_u32_e32 v2, v1, v2
	v_lshlrev_b32_e32 v1, 4, v2
	v_lshl_add_u32 v5, v3, 10, v1
	v_and_b32_e32 v1, 0x3ff, v7
	v_bfe_u32 v6, v7, 10, 2
	v_cmp_lt_u32_e64 s[20:21], 15, v1
	v_sub_u32_e32 v0, v0, v5
	v_addc_co_u32_e64 v6, vcc, 0, v6, s[20:21]
	v_sub_u32_e32 v3, v6, v3
	v_cmp_lt_i32_e32 vcc, 15, v0
	s_and_saveexec_b64 s[76:77], vcc
	s_cbranch_execz .LBB4_9077
; %bb.8714:                             ;   in Loop: Header=BB4_7219 Depth=1
	s_trap 2
	ds_read_b64 v[6:7], v0
	v_add_u32_e32 v4, v5, v4
	v_ashrrev_i32_e32 v5, 31, v4
	s_waitcnt lgkmcnt(0)
	v_readfirstlane_b32 s22, v6
	s_and_b32 s23, s22, 7
	s_flbit_i32_b32 s23, s23
	s_min_u32 s23, s23, 32
	s_and_b32 s78, s22, 0x7f
	s_bfe_u32 s79, s22, 0x40003
	s_sub_i32 s88, s23, 28
	s_sub_i32 s23, 29, s23
	s_cmp_lt_u32 s78, 8
	s_cselect_b32 s88, s88, 0
	s_cselect_b32 s23, s23, s79
	v_lshlrev_b64 v[6:7], s88, v[6:7]
	s_lshl_b32 s79, s22, 24
	s_lshl_b32 s23, s23, 23
	s_and_b32 s79, s79, 0x80000000
	s_add_i32 s23, s23, 0x3c000000
	v_lshlrev_b32_e32 v6, 20, v6
	s_or_b32 s23, s79, s23
	v_and_b32_e32 v6, 0x700000, v6
	s_cmpk_lg_i32 s78, 0x7f
	v_or_b32_e32 v6, s23, v6
	s_cselect_b64 vcc, -1, 0
	v_mov_b32_e32 v7, 0x7f800001
	v_cndmask_b32_e32 v6, v7, v6, vcc
	s_mov_b64 s[78:79], 0
	s_and_b32 s30, s22, 0xff
	s_branch .LBB4_8716
.LBB4_8715:                             ;   in Loop: Header=BB4_8716 Depth=2
	s_or_b64 exec, exec, s[22:23]
	v_add_co_u32_e32 v31, vcc, v48, v4
	v_lshl_or_b32 v7, v21, 8, v20
	v_lshlrev_b32_e32 v11, 16, v22
	v_lshlrev_b32_e32 v12, 24, v23
	v_addc_co_u32_e32 v32, vcc, v49, v5, vcc
	v_or3_b32 v12, v7, v11, v12
	v_lshl_or_b32 v7, v9, 8, v8
	v_lshlrev_b32_e32 v8, 16, v18
	v_lshlrev_b32_e32 v9, 24, v19
	s_waitcnt vmcnt(0)
	v_sub_u32_e32 v0, v0, v52
	v_or3_b32 v11, v7, v8, v9
	v_lshl_or_b32 v7, v25, 8, v24
	v_lshlrev_b32_e32 v8, 16, v26
	v_lshlrev_b32_e32 v9, 24, v27
	v_cmp_gt_i32_e32 vcc, 16, v0
	v_or3_b32 v13, v7, v8, v9
	v_lshlrev_b32_e32 v7, 24, v10
	v_lshlrev_b32_e32 v8, 16, v30
	v_lshl_or_b32 v9, v29, 8, v28
	s_or_b64 s[78:79], vcc, s[78:79]
	v_add_co_u32_e32 v4, vcc, v4, v52
	v_or3_b32 v14, v9, v8, v7
	v_sub_u32_e32 v3, v3, v59
	v_addc_co_u32_e32 v5, vcc, 0, v5, vcc
	global_store_dwordx4 v[31:32], v[11:14], off glc slc
	s_andn2_b64 exec, exec, s[78:79]
	s_cbranch_execz .LBB4_9076
.LBB4_8716:                             ;   Parent Loop BB4_7219 Depth=1
                                        ; =>  This Inner Loop Header: Depth=2
	s_cmpk_lt_i32 s30, 0x80
	s_cbranch_scc1 .LBB4_8720
; %bb.8717:                             ;   in Loop: Header=BB4_8716 Depth=2
	s_and_b32 s22, 0xffff, s30
	s_cmpk_eq_i32 s22, 0x80
	s_mov_b64 s[22:23], -1
	s_cbranch_scc0 .LBB4_8719
; %bb.8718:                             ;   in Loop: Header=BB4_8716 Depth=2
	s_mov_b64 s[22:23], 0
.LBB4_8719:                             ;   in Loop: Header=BB4_8716 Depth=2
	s_brev_b32 s90, 1
	s_branch .LBB4_8722
.LBB4_8720:                             ;   in Loop: Header=BB4_8716 Depth=2
	s_mov_b64 s[22:23], 0
	s_brev_b32 s90, 1
	s_cbranch_execz .LBB4_8722
; %bb.8721:                             ;   in Loop: Header=BB4_8716 Depth=2
	s_and_b32 s22, 0xffff, s30
	s_cmp_lg_u32 s22, 0
	s_mov_b32 s90, 0
	s_cselect_b64 s[22:23], -1, 0
.LBB4_8722:                             ;   in Loop: Header=BB4_8716 Depth=2
	s_andn2_b64 vcc, exec, s[22:23]
	v_mov_b32_e32 v7, s90
	s_cbranch_vccnz .LBB4_8724
; %bb.8723:                             ;   in Loop: Header=BB4_8716 Depth=2
	v_mov_b32_e32 v7, v6
.LBB4_8724:                             ;   in Loop: Header=BB4_8716 Depth=2
	v_add_co_u32_e32 v8, vcc, v38, v4
	v_addc_co_u32_e32 v9, vcc, v39, v5, vcc
	global_load_dwordx4 v[10:13], v[8:9], off glc slc
	v_mov_b32_e32 v8, 0
	s_waitcnt vmcnt(0)
	v_cmp_ne_u16_sdwa s[88:89], v10, v15 src0_sel:BYTE_0 src1_sel:DWORD
	s_and_saveexec_b64 s[22:23], s[88:89]
	s_cbranch_execz .LBB4_8730
; %bb.8725:                             ;   in Loop: Header=BB4_8716 Depth=2
	v_cmp_ne_u16_sdwa s[90:91], v10, s48 src0_sel:BYTE_0 src1_sel:DWORD
	v_bfrev_b32_e32 v8, 1
	s_and_saveexec_b64 s[88:89], s[90:91]
	s_cbranch_execz .LBB4_8729
; %bb.8726:                             ;   in Loop: Header=BB4_8716 Depth=2
	v_and_b32_e32 v9, 0x7f, v10
	v_cmp_ne_u32_e32 vcc, s39, v9
	v_mov_b32_e32 v8, 0x7f800001
	s_and_saveexec_b64 s[90:91], vcc
	s_cbranch_execz .LBB4_8728
; %bb.8727:                             ;   in Loop: Header=BB4_8716 Depth=2
	v_and_b32_e32 v8, 7, v10
	v_ffbh_u32_e32 v8, v8
	v_min_u32_e32 v8, 32, v8
	v_lshrrev_b32_e32 v14, 3, v9
	v_cmp_gt_u32_e32 vcc, 8, v9
	v_subrev_u32_e32 v9, 28, v8
	v_sub_u32_e32 v8, 29, v8
	v_cndmask_b32_e32 v14, v14, v8, vcc
	v_cndmask_b32_e32 v8, 0, v9, vcc
	v_lshlrev_b64 v[8:9], v8, v[10:11]
	v_lshlrev_b32_e32 v9, 24, v10
	v_lshlrev_b32_e32 v8, 20, v8
	v_bfrev_b32_e32 v18, 60
	v_and_b32_e32 v8, 0x700000, v8
	v_and_b32_e32 v9, 0x80000000, v9
	v_lshl_add_u32 v14, v14, 23, v18
	v_or3_b32 v8, v9, v14, v8
.LBB4_8728:                             ;   in Loop: Header=BB4_8716 Depth=2
	s_or_b64 exec, exec, s[90:91]
.LBB4_8729:                             ;   in Loop: Header=BB4_8716 Depth=2
	s_or_b64 exec, exec, s[88:89]
.LBB4_8730:                             ;   in Loop: Header=BB4_8716 Depth=2
	s_or_b64 exec, exec, s[22:23]
	v_mul_f32_e32 v18, v7, v8
	v_and_b32_e32 v14, 0x7f800000, v18
	v_cmp_ne_u64_e32 vcc, s[46:47], v[14:15]
                                        ; implicit-def: $vgpr8
	s_and_saveexec_b64 s[22:23], vcc
	s_xor_b64 s[88:89], exec, s[22:23]
	s_cbranch_execz .LBB4_8744
; %bb.8731:                             ;   in Loop: Header=BB4_8716 Depth=2
	v_and_b32_e32 v14, 0x7fffffff, v18
	v_cmp_gt_u64_e32 vcc, s[56:57], v[14:15]
	v_and_b32_sdwa v9, v18, s48 dst_sel:DWORD dst_unused:UNUSED_PAD src0_sel:BYTE_3 src1_sel:DWORD
                                        ; implicit-def: $vgpr8
	s_and_saveexec_b64 s[22:23], vcc
	s_xor_b64 s[90:91], exec, s[22:23]
	s_cbranch_execz .LBB4_8741
; %bb.8732:                             ;   in Loop: Header=BB4_8716 Depth=2
	v_mov_b32_e32 v8, 0
	v_cmp_ne_u32_e32 vcc, 0, v18
	s_and_saveexec_b64 s[92:93], vcc
	s_cbranch_execz .LBB4_8740
; %bb.8733:                             ;   in Loop: Header=BB4_8716 Depth=2
	v_bfe_u32 v8, v18, 23, 8
	v_and_b32_e32 v14, 0x7fffff, v18
	v_cmp_gt_u32_e64 s[22:23], s49, v8
	v_sub_u32_e32 v18, 0x79, v8
	v_cmp_eq_u32_e32 vcc, 0, v8
	v_cndmask_b32_e64 v18, 0, v18, s[22:23]
	v_or_b32_e32 v19, 0x800000, v14
	v_cndmask_b32_e32 v18, v18, v47, vcc
	v_cndmask_b32_e32 v14, v19, v14, vcc
	v_add_u32_e32 v19, 20, v18
	v_lshlrev_b64 v[19:20], v19, -1
	v_add_u32_e32 v21, 19, v18
	v_lshlrev_b64 v[21:22], v21, 1
	v_lshrrev_b64 v[50:51], v18, v[14:15]
	v_bfi_b32 v20, v20, 0, 0
	v_bfi_b32 v19, v19, 0, v14
	v_cmp_eq_u64_e64 s[22:23], v[19:20], v[21:22]
	v_mov_b32_e32 v52, v51
	v_mov_b32_e32 v51, v50
	s_and_saveexec_b64 s[94:95], s[22:23]
; %bb.8734:                             ;   in Loop: Header=BB4_8716 Depth=2
	v_bfe_u32 v14, v50, 20, 1
	v_add_co_u32_e64 v14, s[22:23], v50, v14
	v_add_co_u32_e64 v51, s[22:23], -1, v14
; %bb.8735:                             ;   in Loop: Header=BB4_8716 Depth=2
	s_or_b64 exec, exec, s[94:95]
	v_add_u32_e32 v8, 0xffffff81, v8
	v_cndmask_b32_e32 v8, v8, v44, vcc
	v_lshrrev_b32_e32 v14, 23, v50
	v_add3_u32 v19, v18, v8, v14
	v_add_u32_e32 v18, 6, v19
	v_and_b32_e32 v8, 0xfffff, v51
	v_add_u32_e32 v14, v8, v50
	v_cmp_ne_u32_e32 vcc, 0, v18
                                        ; implicit-def: $vgpr50_vgpr51
                                        ; implicit-def: $vgpr8
	s_and_saveexec_b64 s[22:23], vcc
	s_xor_b64 s[22:23], exec, s[22:23]
; %bb.8736:                             ;   in Loop: Header=BB4_8716 Depth=2
	v_cmp_lt_u64_e32 vcc, s[58:59], v[14:15]
	v_add_u32_e32 v8, 7, v19
	v_cndmask_b32_e32 v8, v18, v8, vcc
	v_cndmask_b32_e64 v18, 0, 1, vcc
	v_lshrrev_b64 v[50:51], v18, v[14:15]
; %bb.8737:                             ;   in Loop: Header=BB4_8716 Depth=2
	s_or_saveexec_b64 s[22:23], s[22:23]
	buffer_load_dword v52, off, s[0:3], s33 offset:308 ; 4-byte Folded Reload
	s_xor_b64 exec, exec, s[22:23]
; %bb.8738:                             ;   in Loop: Header=BB4_8716 Depth=2
	v_mov_b32_e32 v51, v15
	v_bfe_u32 v8, v14, 23, 1
	v_mov_b32_e32 v50, v14
; %bb.8739:                             ;   in Loop: Header=BB4_8716 Depth=2
	s_or_b64 exec, exec, s[22:23]
	v_lshrrev_b64 v[18:19], 20, v[50:51]
	v_cmp_gt_i32_e32 vcc, 16, v8
	v_cndmask_b32_e32 v19, 0, v19, vcc
	v_cndmask_b32_e32 v18, 7, v18, vcc
	v_cmp_eq_u32_e32 vcc, 0, v8
	v_min_i32_e32 v8, 15, v8
	v_cmp_eq_u64_e64 s[22:23], 0, v[18:19]
	v_lshlrev_b32_e32 v8, 3, v8
	v_and_b32_e32 v8, 0xf8, v8
	v_and_or_b32 v8, v18, 7, v8
	s_and_b64 s[22:23], vcc, s[22:23]
	v_cndmask_b32_e64 v8, v8, 0, s[22:23]
	v_or_b32_e32 v8, v8, v9
.LBB4_8740:                             ;   in Loop: Header=BB4_8716 Depth=2
	s_or_b64 exec, exec, s[92:93]
                                        ; implicit-def: $vgpr9
.LBB4_8741:                             ;   in Loop: Header=BB4_8716 Depth=2
	s_andn2_saveexec_b64 s[22:23], s[90:91]
; %bb.8742:                             ;   in Loop: Header=BB4_8716 Depth=2
	v_or_b32_e32 v8, 0x7e, v9
; %bb.8743:                             ;   in Loop: Header=BB4_8716 Depth=2
	s_or_b64 exec, exec, s[22:23]
                                        ; implicit-def: $vgpr18
.LBB4_8744:                             ;   in Loop: Header=BB4_8716 Depth=2
	s_andn2_saveexec_b64 s[22:23], s[88:89]
; %bb.8745:                             ;   in Loop: Header=BB4_8716 Depth=2
	v_or_b32_sdwa v8, v18, s39 dst_sel:DWORD dst_unused:UNUSED_PAD src0_sel:BYTE_3 src1_sel:DWORD
; %bb.8746:                             ;   in Loop: Header=BB4_8716 Depth=2
	s_or_b64 exec, exec, s[22:23]
	v_lshrrev_b16_e32 v14, 8, v10
	v_cmp_ne_u16_e32 vcc, 0, v14
	v_mov_b32_e32 v9, 0
	s_and_saveexec_b64 s[22:23], vcc
	s_cbranch_execz .LBB4_8752
; %bb.8747:                             ;   in Loop: Header=BB4_8716 Depth=2
	v_cmp_ne_u16_e32 vcc, s48, v14
	v_bfrev_b32_e32 v9, 1
	s_and_saveexec_b64 s[88:89], vcc
	s_cbranch_execz .LBB4_8751
; %bb.8748:                             ;   in Loop: Header=BB4_8716 Depth=2
	v_and_b32_e32 v18, 0x7f, v14
	v_cmp_ne_u32_e32 vcc, s39, v18
	v_mov_b32_e32 v9, 0x7f800001
	s_and_saveexec_b64 s[90:91], vcc
	s_cbranch_execz .LBB4_8750
; %bb.8749:                             ;   in Loop: Header=BB4_8716 Depth=2
	v_and_b32_e32 v9, 7, v14
	v_lshrrev_b32_e32 v20, 3, v18
	v_cmp_gt_u32_e32 vcc, 8, v18
	v_ffbh_u32_e32 v18, v9
	v_min_u32_e32 v21, 32, v18
	v_subrev_u32_e32 v18, 28, v21
	v_lshlrev_b64 v[18:19], v18, v[14:15]
	v_sub_u32_e32 v14, 29, v21
	v_and_b32_e32 v18, 7, v18
	v_cndmask_b32_e32 v14, v20, v14, vcc
	v_cndmask_b32_e32 v9, v9, v18, vcc
	v_lshlrev_b32_e32 v18, 16, v10
	v_bfrev_b32_e32 v19, 60
	v_lshlrev_b32_e32 v9, 20, v9
	v_and_b32_e32 v18, 0x80000000, v18
	v_lshl_add_u32 v14, v14, 23, v19
	v_or3_b32 v9, v18, v14, v9
.LBB4_8750:                             ;   in Loop: Header=BB4_8716 Depth=2
	s_or_b64 exec, exec, s[90:91]
.LBB4_8751:                             ;   in Loop: Header=BB4_8716 Depth=2
	s_or_b64 exec, exec, s[88:89]
.LBB4_8752:                             ;   in Loop: Header=BB4_8716 Depth=2
	s_or_b64 exec, exec, s[22:23]
	v_mul_f32_e32 v19, v7, v9
	v_and_b32_e32 v14, 0x7f800000, v19
	v_cmp_ne_u64_e32 vcc, s[46:47], v[14:15]
                                        ; implicit-def: $vgpr9
	s_and_saveexec_b64 s[22:23], vcc
	s_xor_b64 s[88:89], exec, s[22:23]
	s_cbranch_execz .LBB4_8766
; %bb.8753:                             ;   in Loop: Header=BB4_8716 Depth=2
	v_and_b32_e32 v14, 0x7fffffff, v19
	v_cmp_gt_u64_e32 vcc, s[56:57], v[14:15]
	v_and_b32_sdwa v18, v19, s48 dst_sel:DWORD dst_unused:UNUSED_PAD src0_sel:BYTE_3 src1_sel:DWORD
                                        ; implicit-def: $vgpr9
	s_and_saveexec_b64 s[22:23], vcc
	s_xor_b64 s[90:91], exec, s[22:23]
	s_cbranch_execz .LBB4_8763
; %bb.8754:                             ;   in Loop: Header=BB4_8716 Depth=2
	v_mov_b32_e32 v9, 0
	v_cmp_ne_u32_e32 vcc, 0, v19
	s_and_saveexec_b64 s[92:93], vcc
	s_cbranch_execz .LBB4_8762
; %bb.8755:                             ;   in Loop: Header=BB4_8716 Depth=2
	v_bfe_u32 v9, v19, 23, 8
	v_and_b32_e32 v14, 0x7fffff, v19
	v_cmp_gt_u32_e64 s[22:23], s49, v9
	v_sub_u32_e32 v19, 0x79, v9
	v_cmp_eq_u32_e32 vcc, 0, v9
	v_cndmask_b32_e64 v19, 0, v19, s[22:23]
	v_or_b32_e32 v20, 0x800000, v14
	v_cndmask_b32_e32 v19, v19, v47, vcc
	v_cndmask_b32_e32 v14, v20, v14, vcc
	v_add_u32_e32 v20, 20, v19
	v_lshlrev_b64 v[20:21], v20, -1
	v_add_u32_e32 v22, 19, v19
	v_lshlrev_b64 v[22:23], v22, 1
	v_lshrrev_b64 v[50:51], v19, v[14:15]
	v_bfi_b32 v21, v21, 0, 0
	v_bfi_b32 v20, v20, 0, v14
	v_cmp_eq_u64_e64 s[22:23], v[20:21], v[22:23]
	s_waitcnt vmcnt(0)
	v_mov_b32_e32 v52, v51
	v_mov_b32_e32 v51, v50
	s_and_saveexec_b64 s[94:95], s[22:23]
; %bb.8756:                             ;   in Loop: Header=BB4_8716 Depth=2
	v_bfe_u32 v14, v50, 20, 1
	v_add_co_u32_e64 v14, s[22:23], v50, v14
	v_add_co_u32_e64 v51, s[22:23], -1, v14
; %bb.8757:                             ;   in Loop: Header=BB4_8716 Depth=2
	s_or_b64 exec, exec, s[94:95]
	v_add_u32_e32 v9, 0xffffff81, v9
	v_cndmask_b32_e32 v9, v9, v44, vcc
	v_lshrrev_b32_e32 v14, 23, v50
	v_add3_u32 v20, v19, v9, v14
	v_add_u32_e32 v19, 6, v20
	v_and_b32_e32 v9, 0xfffff, v51
	v_add_u32_e32 v14, v9, v50
	v_cmp_ne_u32_e32 vcc, 0, v19
                                        ; implicit-def: $vgpr50_vgpr51
                                        ; implicit-def: $vgpr9
	s_and_saveexec_b64 s[22:23], vcc
	s_xor_b64 s[22:23], exec, s[22:23]
; %bb.8758:                             ;   in Loop: Header=BB4_8716 Depth=2
	v_cmp_lt_u64_e32 vcc, s[58:59], v[14:15]
	v_add_u32_e32 v9, 7, v20
	v_cndmask_b32_e32 v9, v19, v9, vcc
	v_cndmask_b32_e64 v19, 0, 1, vcc
	v_lshrrev_b64 v[50:51], v19, v[14:15]
; %bb.8759:                             ;   in Loop: Header=BB4_8716 Depth=2
	s_or_saveexec_b64 s[22:23], s[22:23]
	buffer_load_dword v52, off, s[0:3], s33 offset:308 ; 4-byte Folded Reload
	s_xor_b64 exec, exec, s[22:23]
; %bb.8760:                             ;   in Loop: Header=BB4_8716 Depth=2
	v_mov_b32_e32 v51, v15
	v_bfe_u32 v9, v14, 23, 1
	v_mov_b32_e32 v50, v14
; %bb.8761:                             ;   in Loop: Header=BB4_8716 Depth=2
	s_or_b64 exec, exec, s[22:23]
	v_lshrrev_b64 v[19:20], 20, v[50:51]
	v_cmp_gt_i32_e32 vcc, 16, v9
	v_cndmask_b32_e32 v20, 0, v20, vcc
	v_cndmask_b32_e32 v19, 7, v19, vcc
	v_cmp_eq_u32_e32 vcc, 0, v9
	v_min_i32_e32 v9, 15, v9
	v_cmp_eq_u64_e64 s[22:23], 0, v[19:20]
	v_lshlrev_b32_e32 v9, 3, v9
	v_and_b32_e32 v9, 0xf8, v9
	v_and_or_b32 v9, v19, 7, v9
	s_and_b64 s[22:23], vcc, s[22:23]
	v_cndmask_b32_e64 v9, v9, 0, s[22:23]
	v_or_b32_e32 v9, v9, v18
.LBB4_8762:                             ;   in Loop: Header=BB4_8716 Depth=2
	s_or_b64 exec, exec, s[92:93]
                                        ; implicit-def: $vgpr18
.LBB4_8763:                             ;   in Loop: Header=BB4_8716 Depth=2
	s_andn2_saveexec_b64 s[22:23], s[90:91]
; %bb.8764:                             ;   in Loop: Header=BB4_8716 Depth=2
	v_or_b32_e32 v9, 0x7e, v18
; %bb.8765:                             ;   in Loop: Header=BB4_8716 Depth=2
	s_or_b64 exec, exec, s[22:23]
                                        ; implicit-def: $vgpr19
.LBB4_8766:                             ;   in Loop: Header=BB4_8716 Depth=2
	s_andn2_saveexec_b64 s[22:23], s[88:89]
; %bb.8767:                             ;   in Loop: Header=BB4_8716 Depth=2
	v_or_b32_sdwa v9, v19, s39 dst_sel:DWORD dst_unused:UNUSED_PAD src0_sel:BYTE_3 src1_sel:DWORD
; %bb.8768:                             ;   in Loop: Header=BB4_8716 Depth=2
	s_or_b64 exec, exec, s[22:23]
	v_lshrrev_b32_e32 v14, 16, v10
	v_cmp_ne_u16_sdwa s[88:89], v14, v15 src0_sel:BYTE_0 src1_sel:DWORD
	v_mov_b32_e32 v18, 0
	s_and_saveexec_b64 s[22:23], s[88:89]
	s_cbranch_execz .LBB4_8774
; %bb.8769:                             ;   in Loop: Header=BB4_8716 Depth=2
	v_cmp_ne_u16_sdwa s[90:91], v14, s48 src0_sel:BYTE_0 src1_sel:DWORD
	v_bfrev_b32_e32 v18, 1
	s_and_saveexec_b64 s[88:89], s[90:91]
	s_cbranch_execz .LBB4_8773
; %bb.8770:                             ;   in Loop: Header=BB4_8716 Depth=2
	v_bfe_u32 v19, v10, 16, 7
	v_cmp_ne_u32_e32 vcc, s39, v19
	v_mov_b32_e32 v18, 0x7f800001
	s_and_saveexec_b64 s[90:91], vcc
	s_cbranch_execz .LBB4_8772
; %bb.8771:                             ;   in Loop: Header=BB4_8716 Depth=2
	v_and_b32_e32 v20, 7, v14
	v_ffbh_u32_e32 v18, v20
	v_min_u32_e32 v22, 32, v18
	v_subrev_u32_e32 v18, 28, v22
	v_lshrrev_b32_e32 v21, 3, v19
	v_cmp_gt_u32_e32 vcc, 8, v19
	v_lshlrev_b64 v[18:19], v18, v[14:15]
	v_sub_u32_e32 v19, 29, v22
	v_and_b32_e32 v18, 7, v18
	v_cndmask_b32_e32 v19, v21, v19, vcc
	v_cndmask_b32_e32 v18, v20, v18, vcc
	v_lshlrev_b32_e32 v14, 24, v14
	v_bfrev_b32_e32 v20, 60
	v_lshlrev_b32_e32 v18, 20, v18
	v_and_b32_e32 v14, 0x80000000, v14
	v_lshl_add_u32 v19, v19, 23, v20
	v_or3_b32 v18, v14, v19, v18
.LBB4_8772:                             ;   in Loop: Header=BB4_8716 Depth=2
	s_or_b64 exec, exec, s[90:91]
.LBB4_8773:                             ;   in Loop: Header=BB4_8716 Depth=2
	s_or_b64 exec, exec, s[88:89]
.LBB4_8774:                             ;   in Loop: Header=BB4_8716 Depth=2
	s_or_b64 exec, exec, s[22:23]
	v_mul_f32_e32 v20, v7, v18
	v_and_b32_e32 v14, 0x7f800000, v20
	v_cmp_ne_u64_e32 vcc, s[46:47], v[14:15]
                                        ; implicit-def: $vgpr18
	s_and_saveexec_b64 s[22:23], vcc
	s_xor_b64 s[88:89], exec, s[22:23]
	s_cbranch_execz .LBB4_8788
; %bb.8775:                             ;   in Loop: Header=BB4_8716 Depth=2
	v_and_b32_e32 v14, 0x7fffffff, v20
	v_cmp_gt_u64_e32 vcc, s[56:57], v[14:15]
	v_and_b32_sdwa v19, v20, s48 dst_sel:DWORD dst_unused:UNUSED_PAD src0_sel:BYTE_3 src1_sel:DWORD
                                        ; implicit-def: $vgpr18
	s_and_saveexec_b64 s[22:23], vcc
	s_xor_b64 s[90:91], exec, s[22:23]
	s_cbranch_execz .LBB4_8785
; %bb.8776:                             ;   in Loop: Header=BB4_8716 Depth=2
	v_mov_b32_e32 v18, 0
	v_cmp_ne_u32_e32 vcc, 0, v20
	s_and_saveexec_b64 s[92:93], vcc
	s_cbranch_execz .LBB4_8784
; %bb.8777:                             ;   in Loop: Header=BB4_8716 Depth=2
	v_bfe_u32 v18, v20, 23, 8
	v_and_b32_e32 v14, 0x7fffff, v20
	v_cmp_gt_u32_e64 s[22:23], s49, v18
	v_sub_u32_e32 v20, 0x79, v18
	v_cmp_eq_u32_e32 vcc, 0, v18
	v_cndmask_b32_e64 v20, 0, v20, s[22:23]
	v_or_b32_e32 v21, 0x800000, v14
	v_cndmask_b32_e32 v20, v20, v47, vcc
	v_cndmask_b32_e32 v14, v21, v14, vcc
	v_add_u32_e32 v21, 20, v20
	v_lshlrev_b64 v[21:22], v21, -1
	v_add_u32_e32 v23, 19, v20
	v_lshlrev_b64 v[23:24], v23, 1
	v_lshrrev_b64 v[50:51], v20, v[14:15]
	v_bfi_b32 v22, v22, 0, 0
	v_bfi_b32 v21, v21, 0, v14
	v_cmp_eq_u64_e64 s[22:23], v[21:22], v[23:24]
	s_waitcnt vmcnt(0)
	v_mov_b32_e32 v52, v51
	v_mov_b32_e32 v51, v50
	s_and_saveexec_b64 s[94:95], s[22:23]
; %bb.8778:                             ;   in Loop: Header=BB4_8716 Depth=2
	v_bfe_u32 v14, v50, 20, 1
	v_add_co_u32_e64 v14, s[22:23], v50, v14
	v_add_co_u32_e64 v51, s[22:23], -1, v14
; %bb.8779:                             ;   in Loop: Header=BB4_8716 Depth=2
	s_or_b64 exec, exec, s[94:95]
	v_add_u32_e32 v14, 0xffffff81, v18
	v_cndmask_b32_e32 v14, v14, v44, vcc
	v_lshrrev_b32_e32 v18, 23, v50
	v_add3_u32 v21, v20, v14, v18
	v_add_u32_e32 v20, 6, v21
	v_and_b32_e32 v14, 0xfffff, v51
	v_add_u32_e32 v14, v14, v50
	v_cmp_ne_u32_e32 vcc, 0, v20
                                        ; implicit-def: $vgpr50_vgpr51
                                        ; implicit-def: $vgpr18
	s_and_saveexec_b64 s[22:23], vcc
	s_xor_b64 s[22:23], exec, s[22:23]
; %bb.8780:                             ;   in Loop: Header=BB4_8716 Depth=2
	v_cmp_lt_u64_e32 vcc, s[58:59], v[14:15]
	v_add_u32_e32 v18, 7, v21
	v_cndmask_b32_e32 v18, v20, v18, vcc
	v_cndmask_b32_e64 v20, 0, 1, vcc
	v_lshrrev_b64 v[50:51], v20, v[14:15]
; %bb.8781:                             ;   in Loop: Header=BB4_8716 Depth=2
	s_or_saveexec_b64 s[22:23], s[22:23]
	buffer_load_dword v52, off, s[0:3], s33 offset:308 ; 4-byte Folded Reload
	s_xor_b64 exec, exec, s[22:23]
; %bb.8782:                             ;   in Loop: Header=BB4_8716 Depth=2
	v_mov_b32_e32 v51, v15
	v_bfe_u32 v18, v14, 23, 1
	v_mov_b32_e32 v50, v14
; %bb.8783:                             ;   in Loop: Header=BB4_8716 Depth=2
	s_or_b64 exec, exec, s[22:23]
	v_lshrrev_b64 v[20:21], 20, v[50:51]
	v_cmp_gt_i32_e32 vcc, 16, v18
	v_cndmask_b32_e32 v21, 0, v21, vcc
	v_cndmask_b32_e32 v20, 7, v20, vcc
	v_min_i32_e32 v14, 15, v18
	v_cmp_eq_u64_e64 s[22:23], 0, v[20:21]
	v_lshlrev_b32_e32 v14, 3, v14
	v_cmp_eq_u32_e32 vcc, 0, v18
	v_and_b32_e32 v14, 0xf8, v14
	v_and_or_b32 v14, v20, 7, v14
	s_and_b64 s[22:23], vcc, s[22:23]
	v_cndmask_b32_e64 v14, v14, 0, s[22:23]
	v_or_b32_e32 v18, v14, v19
.LBB4_8784:                             ;   in Loop: Header=BB4_8716 Depth=2
	s_or_b64 exec, exec, s[92:93]
                                        ; implicit-def: $vgpr19
.LBB4_8785:                             ;   in Loop: Header=BB4_8716 Depth=2
	s_andn2_saveexec_b64 s[22:23], s[90:91]
; %bb.8786:                             ;   in Loop: Header=BB4_8716 Depth=2
	v_or_b32_e32 v18, 0x7e, v19
; %bb.8787:                             ;   in Loop: Header=BB4_8716 Depth=2
	s_or_b64 exec, exec, s[22:23]
                                        ; implicit-def: $vgpr20
.LBB4_8788:                             ;   in Loop: Header=BB4_8716 Depth=2
	s_andn2_saveexec_b64 s[22:23], s[88:89]
; %bb.8789:                             ;   in Loop: Header=BB4_8716 Depth=2
	v_or_b32_sdwa v18, v20, s39 dst_sel:DWORD dst_unused:UNUSED_PAD src0_sel:BYTE_3 src1_sel:DWORD
; %bb.8790:                             ;   in Loop: Header=BB4_8716 Depth=2
	s_or_b64 exec, exec, s[22:23]
	v_cmp_lt_u32_e32 vcc, s61, v10
	v_mov_b32_e32 v19, 0
	s_and_saveexec_b64 s[22:23], vcc
	s_cbranch_execz .LBB4_8796
; %bb.8791:                             ;   in Loop: Header=BB4_8716 Depth=2
	v_lshrrev_b32_e32 v14, 24, v10
	v_cmp_ne_u32_e32 vcc, s48, v14
	v_bfrev_b32_e32 v19, 1
	s_and_saveexec_b64 s[88:89], vcc
	s_cbranch_execz .LBB4_8795
; %bb.8792:                             ;   in Loop: Header=BB4_8716 Depth=2
	v_bfe_u32 v20, v10, 24, 7
	v_cmp_ne_u32_e32 vcc, s39, v20
	v_mov_b32_e32 v19, 0x7f800001
	s_and_saveexec_b64 s[90:91], vcc
	s_cbranch_execz .LBB4_8794
; %bb.8793:                             ;   in Loop: Header=BB4_8716 Depth=2
	v_and_b32_e32 v21, 7, v14
	v_ffbh_u32_e32 v19, v21
	v_min_u32_e32 v23, 32, v19
	v_subrev_u32_e32 v19, 28, v23
	v_lshrrev_b32_e32 v22, 3, v20
	v_cmp_gt_u32_e32 vcc, 8, v20
	v_lshlrev_b64 v[19:20], v19, v[14:15]
	v_sub_u32_e32 v20, 29, v23
	v_and_b32_e32 v19, 7, v19
	v_cndmask_b32_e32 v20, v22, v20, vcc
	v_cndmask_b32_e32 v19, v21, v19, vcc
	v_lshlrev_b32_e32 v14, 24, v14
	v_bfrev_b32_e32 v21, 60
	v_lshlrev_b32_e32 v19, 20, v19
	v_and_b32_e32 v14, 0x80000000, v14
	v_lshl_add_u32 v20, v20, 23, v21
	v_or3_b32 v19, v14, v20, v19
.LBB4_8794:                             ;   in Loop: Header=BB4_8716 Depth=2
	s_or_b64 exec, exec, s[90:91]
.LBB4_8795:                             ;   in Loop: Header=BB4_8716 Depth=2
	s_or_b64 exec, exec, s[88:89]
.LBB4_8796:                             ;   in Loop: Header=BB4_8716 Depth=2
	s_or_b64 exec, exec, s[22:23]
	v_mul_f32_e32 v21, v7, v19
	v_and_b32_e32 v14, 0x7f800000, v21
	v_cmp_ne_u64_e32 vcc, s[46:47], v[14:15]
                                        ; implicit-def: $vgpr19
	s_and_saveexec_b64 s[22:23], vcc
	s_xor_b64 s[88:89], exec, s[22:23]
	s_cbranch_execz .LBB4_8810
; %bb.8797:                             ;   in Loop: Header=BB4_8716 Depth=2
	v_and_b32_e32 v14, 0x7fffffff, v21
	v_cmp_gt_u64_e32 vcc, s[56:57], v[14:15]
	v_and_b32_sdwa v20, v21, s48 dst_sel:DWORD dst_unused:UNUSED_PAD src0_sel:BYTE_3 src1_sel:DWORD
                                        ; implicit-def: $vgpr19
	s_and_saveexec_b64 s[22:23], vcc
	s_xor_b64 s[90:91], exec, s[22:23]
	s_cbranch_execz .LBB4_8807
; %bb.8798:                             ;   in Loop: Header=BB4_8716 Depth=2
	v_mov_b32_e32 v19, 0
	v_cmp_ne_u32_e32 vcc, 0, v21
	s_and_saveexec_b64 s[92:93], vcc
	s_cbranch_execz .LBB4_8806
; %bb.8799:                             ;   in Loop: Header=BB4_8716 Depth=2
	v_bfe_u32 v19, v21, 23, 8
	v_and_b32_e32 v14, 0x7fffff, v21
	v_cmp_gt_u32_e64 s[22:23], s49, v19
	v_sub_u32_e32 v21, 0x79, v19
	v_cmp_eq_u32_e32 vcc, 0, v19
	v_cndmask_b32_e64 v21, 0, v21, s[22:23]
	v_or_b32_e32 v22, 0x800000, v14
	v_cndmask_b32_e32 v21, v21, v47, vcc
	v_cndmask_b32_e32 v14, v22, v14, vcc
	v_add_u32_e32 v22, 20, v21
	v_lshlrev_b64 v[22:23], v22, -1
	v_add_u32_e32 v24, 19, v21
	v_lshlrev_b64 v[24:25], v24, 1
	v_lshrrev_b64 v[50:51], v21, v[14:15]
	v_bfi_b32 v23, v23, 0, 0
	v_bfi_b32 v22, v22, 0, v14
	v_cmp_eq_u64_e64 s[22:23], v[22:23], v[24:25]
	s_waitcnt vmcnt(0)
	v_mov_b32_e32 v52, v51
	v_mov_b32_e32 v51, v50
	s_and_saveexec_b64 s[94:95], s[22:23]
; %bb.8800:                             ;   in Loop: Header=BB4_8716 Depth=2
	v_bfe_u32 v14, v50, 20, 1
	v_add_co_u32_e64 v14, s[22:23], v50, v14
	v_add_co_u32_e64 v51, s[22:23], -1, v14
; %bb.8801:                             ;   in Loop: Header=BB4_8716 Depth=2
	s_or_b64 exec, exec, s[94:95]
	v_add_u32_e32 v14, 0xffffff81, v19
	v_cndmask_b32_e32 v14, v14, v44, vcc
	v_lshrrev_b32_e32 v19, 23, v50
	v_add3_u32 v22, v21, v14, v19
	v_add_u32_e32 v21, 6, v22
	v_and_b32_e32 v14, 0xfffff, v51
	v_add_u32_e32 v14, v14, v50
	v_cmp_ne_u32_e32 vcc, 0, v21
                                        ; implicit-def: $vgpr50_vgpr51
                                        ; implicit-def: $vgpr19
	s_and_saveexec_b64 s[22:23], vcc
	s_xor_b64 s[22:23], exec, s[22:23]
; %bb.8802:                             ;   in Loop: Header=BB4_8716 Depth=2
	v_cmp_lt_u64_e32 vcc, s[58:59], v[14:15]
	v_add_u32_e32 v19, 7, v22
	v_cndmask_b32_e32 v19, v21, v19, vcc
	v_cndmask_b32_e64 v21, 0, 1, vcc
	v_lshrrev_b64 v[50:51], v21, v[14:15]
; %bb.8803:                             ;   in Loop: Header=BB4_8716 Depth=2
	s_or_saveexec_b64 s[22:23], s[22:23]
	buffer_load_dword v52, off, s[0:3], s33 offset:308 ; 4-byte Folded Reload
	s_xor_b64 exec, exec, s[22:23]
; %bb.8804:                             ;   in Loop: Header=BB4_8716 Depth=2
	v_mov_b32_e32 v51, v15
	v_bfe_u32 v19, v14, 23, 1
	v_mov_b32_e32 v50, v14
; %bb.8805:                             ;   in Loop: Header=BB4_8716 Depth=2
	s_or_b64 exec, exec, s[22:23]
	v_lshrrev_b64 v[21:22], 20, v[50:51]
	v_cmp_gt_i32_e32 vcc, 16, v19
	v_cndmask_b32_e32 v22, 0, v22, vcc
	v_cndmask_b32_e32 v21, 7, v21, vcc
	v_min_i32_e32 v14, 15, v19
	v_cmp_eq_u64_e64 s[22:23], 0, v[21:22]
	v_lshlrev_b32_e32 v14, 3, v14
	v_cmp_eq_u32_e32 vcc, 0, v19
	v_and_b32_e32 v14, 0xf8, v14
	v_and_or_b32 v14, v21, 7, v14
	s_and_b64 s[22:23], vcc, s[22:23]
	v_cndmask_b32_e64 v14, v14, 0, s[22:23]
	v_or_b32_e32 v19, v14, v20
.LBB4_8806:                             ;   in Loop: Header=BB4_8716 Depth=2
	s_or_b64 exec, exec, s[92:93]
                                        ; implicit-def: $vgpr20
.LBB4_8807:                             ;   in Loop: Header=BB4_8716 Depth=2
	s_andn2_saveexec_b64 s[22:23], s[90:91]
; %bb.8808:                             ;   in Loop: Header=BB4_8716 Depth=2
	v_or_b32_e32 v19, 0x7e, v20
; %bb.8809:                             ;   in Loop: Header=BB4_8716 Depth=2
	s_or_b64 exec, exec, s[22:23]
                                        ; implicit-def: $vgpr21
.LBB4_8810:                             ;   in Loop: Header=BB4_8716 Depth=2
	s_andn2_saveexec_b64 s[22:23], s[88:89]
; %bb.8811:                             ;   in Loop: Header=BB4_8716 Depth=2
	v_or_b32_sdwa v19, v21, s39 dst_sel:DWORD dst_unused:UNUSED_PAD src0_sel:BYTE_3 src1_sel:DWORD
; %bb.8812:                             ;   in Loop: Header=BB4_8716 Depth=2
	s_or_b64 exec, exec, s[22:23]
	v_mov_b32_e32 v14, v11
	v_cmp_ne_u16_sdwa s[88:89], v11, v15 src0_sel:BYTE_0 src1_sel:DWORD
	v_mov_b32_e32 v20, 0
	s_and_saveexec_b64 s[22:23], s[88:89]
	s_cbranch_execz .LBB4_8818
; %bb.8813:                             ;   in Loop: Header=BB4_8716 Depth=2
	v_cmp_ne_u16_sdwa s[90:91], v11, s48 src0_sel:BYTE_0 src1_sel:DWORD
	v_bfrev_b32_e32 v20, 1
	s_and_saveexec_b64 s[88:89], s[90:91]
	s_cbranch_execz .LBB4_8817
; %bb.8814:                             ;   in Loop: Header=BB4_8716 Depth=2
	v_and_b32_e32 v21, 0x7f, v11
	v_cmp_ne_u32_e32 vcc, s39, v21
	v_mov_b32_e32 v20, 0x7f800001
	s_and_saveexec_b64 s[90:91], vcc
	s_cbranch_execz .LBB4_8816
; %bb.8815:                             ;   in Loop: Header=BB4_8716 Depth=2
	v_and_b32_e32 v20, 7, v11
	v_ffbh_u32_e32 v20, v20
	v_min_u32_e32 v20, 32, v20
	v_lshrrev_b32_e32 v22, 3, v21
	v_cmp_gt_u32_e32 vcc, 8, v21
	v_subrev_u32_e32 v21, 28, v20
	v_sub_u32_e32 v20, 29, v20
	v_cndmask_b32_e32 v22, v22, v20, vcc
	v_cndmask_b32_e32 v20, 0, v21, vcc
	v_lshlrev_b64 v[20:21], v20, v[14:15]
	v_lshlrev_b32_e32 v21, 24, v14
	v_lshlrev_b32_e32 v20, 20, v20
	v_bfrev_b32_e32 v23, 60
	v_and_b32_e32 v20, 0x700000, v20
	v_and_b32_e32 v21, 0x80000000, v21
	v_lshl_add_u32 v22, v22, 23, v23
	v_or3_b32 v20, v21, v22, v20
.LBB4_8816:                             ;   in Loop: Header=BB4_8716 Depth=2
	s_or_b64 exec, exec, s[90:91]
.LBB4_8817:                             ;   in Loop: Header=BB4_8716 Depth=2
	s_or_b64 exec, exec, s[88:89]
.LBB4_8818:                             ;   in Loop: Header=BB4_8716 Depth=2
	s_or_b64 exec, exec, s[22:23]
	v_mul_f32_e32 v22, v7, v20
	v_and_b32_e32 v20, 0x7f800000, v22
	v_mov_b32_e32 v21, v15
	v_cmp_ne_u64_e32 vcc, s[46:47], v[20:21]
                                        ; implicit-def: $vgpr20
	s_and_saveexec_b64 s[22:23], vcc
	s_xor_b64 s[88:89], exec, s[22:23]
	s_cbranch_execz .LBB4_8832
; %bb.8819:                             ;   in Loop: Header=BB4_8716 Depth=2
	v_and_b32_e32 v20, 0x7fffffff, v22
	v_mov_b32_e32 v21, v15
	v_cmp_gt_u64_e32 vcc, s[56:57], v[20:21]
	v_and_b32_sdwa v21, v22, s48 dst_sel:DWORD dst_unused:UNUSED_PAD src0_sel:BYTE_3 src1_sel:DWORD
                                        ; implicit-def: $vgpr20
	s_and_saveexec_b64 s[22:23], vcc
	s_xor_b64 s[90:91], exec, s[22:23]
	s_cbranch_execz .LBB4_8829
; %bb.8820:                             ;   in Loop: Header=BB4_8716 Depth=2
	v_mov_b32_e32 v20, 0
	v_cmp_ne_u32_e32 vcc, 0, v22
	s_and_saveexec_b64 s[92:93], vcc
	s_cbranch_execz .LBB4_8828
; %bb.8821:                             ;   in Loop: Header=BB4_8716 Depth=2
	v_bfe_u32 v20, v22, 23, 8
	v_and_b32_e32 v23, 0x7fffff, v22
	v_cmp_gt_u32_e64 s[22:23], s49, v20
	v_sub_u32_e32 v22, 0x79, v20
	v_cmp_eq_u32_e32 vcc, 0, v20
	v_cndmask_b32_e64 v22, 0, v22, s[22:23]
	v_cndmask_b32_e32 v22, v22, v47, vcc
	v_or_b32_e32 v24, 0x800000, v23
	v_add_u32_e32 v25, 20, v22
	v_cndmask_b32_e32 v23, v24, v23, vcc
	v_mov_b32_e32 v24, v15
	v_lshlrev_b64 v[25:26], v25, -1
	v_add_u32_e32 v27, 19, v22
	v_lshlrev_b64 v[27:28], v27, 1
	v_lshrrev_b64 v[50:51], v22, v[23:24]
	v_bfi_b32 v26, v26, 0, 0
	v_bfi_b32 v25, v25, 0, v23
	v_cmp_eq_u64_e64 s[22:23], v[25:26], v[27:28]
	s_waitcnt vmcnt(0)
	v_mov_b32_e32 v52, v51
	v_mov_b32_e32 v51, v50
	s_and_saveexec_b64 s[94:95], s[22:23]
; %bb.8822:                             ;   in Loop: Header=BB4_8716 Depth=2
	v_bfe_u32 v23, v50, 20, 1
	v_add_co_u32_e64 v23, s[22:23], v50, v23
	v_add_co_u32_e64 v51, s[22:23], -1, v23
; %bb.8823:                             ;   in Loop: Header=BB4_8716 Depth=2
	s_or_b64 exec, exec, s[94:95]
	v_add_u32_e32 v20, 0xffffff81, v20
	v_cndmask_b32_e32 v20, v20, v44, vcc
	v_lshrrev_b32_e32 v23, 23, v50
	v_add3_u32 v23, v22, v20, v23
	v_add_u32_e32 v22, 6, v23
	v_and_b32_e32 v20, 0xfffff, v51
	v_add_u32_e32 v50, v20, v50
	v_mov_b32_e32 v51, v15
	v_cmp_ne_u32_e32 vcc, 0, v22
                                        ; implicit-def: $vgpr20
	s_and_saveexec_b64 s[22:23], vcc
	s_xor_b64 s[22:23], exec, s[22:23]
; %bb.8824:                             ;   in Loop: Header=BB4_8716 Depth=2
	v_cmp_lt_u64_e32 vcc, s[58:59], v[50:51]
	v_add_u32_e32 v20, 7, v23
	v_cndmask_b32_e32 v20, v22, v20, vcc
	v_cndmask_b32_e64 v22, 0, 1, vcc
	v_lshrrev_b64 v[50:51], v22, v[50:51]
; %bb.8825:                             ;   in Loop: Header=BB4_8716 Depth=2
	s_or_saveexec_b64 s[22:23], s[22:23]
	buffer_load_dword v52, off, s[0:3], s33 offset:308 ; 4-byte Folded Reload
	s_xor_b64 exec, exec, s[22:23]
; %bb.8826:                             ;   in Loop: Header=BB4_8716 Depth=2
	v_bfe_u32 v20, v50, 23, 1
; %bb.8827:                             ;   in Loop: Header=BB4_8716 Depth=2
	s_or_b64 exec, exec, s[22:23]
	v_lshrrev_b64 v[22:23], 20, v[50:51]
	v_cmp_gt_i32_e32 vcc, 16, v20
	v_cndmask_b32_e32 v23, 0, v23, vcc
	v_cndmask_b32_e32 v22, 7, v22, vcc
	v_cmp_eq_u32_e32 vcc, 0, v20
	v_min_i32_e32 v20, 15, v20
	v_cmp_eq_u64_e64 s[22:23], 0, v[22:23]
	v_lshlrev_b32_e32 v20, 3, v20
	v_and_b32_e32 v20, 0xf8, v20
	v_and_or_b32 v20, v22, 7, v20
	s_and_b64 s[22:23], vcc, s[22:23]
	v_cndmask_b32_e64 v20, v20, 0, s[22:23]
	v_or_b32_e32 v20, v20, v21
.LBB4_8828:                             ;   in Loop: Header=BB4_8716 Depth=2
	s_or_b64 exec, exec, s[92:93]
                                        ; implicit-def: $vgpr21
.LBB4_8829:                             ;   in Loop: Header=BB4_8716 Depth=2
	s_andn2_saveexec_b64 s[22:23], s[90:91]
; %bb.8830:                             ;   in Loop: Header=BB4_8716 Depth=2
	v_or_b32_e32 v20, 0x7e, v21
; %bb.8831:                             ;   in Loop: Header=BB4_8716 Depth=2
	s_or_b64 exec, exec, s[22:23]
                                        ; implicit-def: $vgpr22
.LBB4_8832:                             ;   in Loop: Header=BB4_8716 Depth=2
	s_andn2_saveexec_b64 s[22:23], s[88:89]
; %bb.8833:                             ;   in Loop: Header=BB4_8716 Depth=2
	v_or_b32_sdwa v20, v22, s39 dst_sel:DWORD dst_unused:UNUSED_PAD src0_sel:BYTE_3 src1_sel:DWORD
; %bb.8834:                             ;   in Loop: Header=BB4_8716 Depth=2
	s_or_b64 exec, exec, s[22:23]
	v_lshrrev_b16_e32 v30, 8, v14
	v_cmp_ne_u16_e32 vcc, 0, v30
	v_mov_b32_e32 v21, 0
	s_and_saveexec_b64 s[22:23], vcc
	s_cbranch_execz .LBB4_8840
; %bb.8835:                             ;   in Loop: Header=BB4_8716 Depth=2
	v_cmp_ne_u16_e32 vcc, s48, v30
	v_bfrev_b32_e32 v21, 1
	s_and_saveexec_b64 s[88:89], vcc
	s_cbranch_execz .LBB4_8839
; %bb.8836:                             ;   in Loop: Header=BB4_8716 Depth=2
	v_and_b32_e32 v22, 0x7f, v30
	v_cmp_ne_u32_e32 vcc, s39, v22
	v_mov_b32_e32 v21, 0x7f800001
	s_and_saveexec_b64 s[90:91], vcc
	s_cbranch_execz .LBB4_8838
; %bb.8837:                             ;   in Loop: Header=BB4_8716 Depth=2
	v_and_b32_e32 v23, 7, v30
	v_ffbh_u32_e32 v21, v23
	v_min_u32_e32 v25, 32, v21
	v_subrev_u32_e32 v21, 28, v25
	v_lshrrev_b32_e32 v24, 3, v22
	v_cmp_gt_u32_e32 vcc, 8, v22
	v_lshlrev_b64 v[21:22], v21, v[30:31]
	v_sub_u32_e32 v22, 29, v25
	v_and_b32_e32 v21, 7, v21
	v_cndmask_b32_e32 v22, v24, v22, vcc
	v_cndmask_b32_e32 v21, v23, v21, vcc
	v_lshlrev_b32_e32 v14, 16, v14
	v_bfrev_b32_e32 v23, 60
	v_lshlrev_b32_e32 v21, 20, v21
	v_and_b32_e32 v14, 0x80000000, v14
	v_lshl_add_u32 v22, v22, 23, v23
	v_or3_b32 v21, v14, v22, v21
.LBB4_8838:                             ;   in Loop: Header=BB4_8716 Depth=2
	s_or_b64 exec, exec, s[90:91]
.LBB4_8839:                             ;   in Loop: Header=BB4_8716 Depth=2
	s_or_b64 exec, exec, s[88:89]
.LBB4_8840:                             ;   in Loop: Header=BB4_8716 Depth=2
	s_or_b64 exec, exec, s[22:23]
	v_mul_f32_e32 v23, v7, v21
	v_and_b32_e32 v14, 0x7f800000, v23
	v_cmp_ne_u64_e32 vcc, s[46:47], v[14:15]
                                        ; implicit-def: $vgpr21
	s_and_saveexec_b64 s[22:23], vcc
	s_xor_b64 s[88:89], exec, s[22:23]
	s_cbranch_execz .LBB4_8854
; %bb.8841:                             ;   in Loop: Header=BB4_8716 Depth=2
	v_and_b32_e32 v14, 0x7fffffff, v23
	v_cmp_gt_u64_e32 vcc, s[56:57], v[14:15]
	v_and_b32_sdwa v22, v23, s48 dst_sel:DWORD dst_unused:UNUSED_PAD src0_sel:BYTE_3 src1_sel:DWORD
                                        ; implicit-def: $vgpr21
	s_and_saveexec_b64 s[22:23], vcc
	s_xor_b64 s[90:91], exec, s[22:23]
	s_cbranch_execz .LBB4_8851
; %bb.8842:                             ;   in Loop: Header=BB4_8716 Depth=2
	v_mov_b32_e32 v21, 0
	v_cmp_ne_u32_e32 vcc, 0, v23
	s_and_saveexec_b64 s[92:93], vcc
	s_cbranch_execz .LBB4_8850
; %bb.8843:                             ;   in Loop: Header=BB4_8716 Depth=2
	v_bfe_u32 v21, v23, 23, 8
	v_and_b32_e32 v14, 0x7fffff, v23
	v_cmp_gt_u32_e64 s[22:23], s49, v21
	v_sub_u32_e32 v23, 0x79, v21
	v_cmp_eq_u32_e32 vcc, 0, v21
	v_cndmask_b32_e64 v23, 0, v23, s[22:23]
	v_or_b32_e32 v24, 0x800000, v14
	v_cndmask_b32_e32 v23, v23, v47, vcc
	v_cndmask_b32_e32 v14, v24, v14, vcc
	v_add_u32_e32 v24, 20, v23
	v_lshlrev_b64 v[24:25], v24, -1
	v_add_u32_e32 v26, 19, v23
	v_lshlrev_b64 v[26:27], v26, 1
	v_lshrrev_b64 v[50:51], v23, v[14:15]
	v_bfi_b32 v25, v25, 0, 0
	v_bfi_b32 v24, v24, 0, v14
	v_cmp_eq_u64_e64 s[22:23], v[24:25], v[26:27]
	s_waitcnt vmcnt(0)
	v_mov_b32_e32 v52, v51
	v_mov_b32_e32 v51, v50
	s_and_saveexec_b64 s[94:95], s[22:23]
; %bb.8844:                             ;   in Loop: Header=BB4_8716 Depth=2
	v_bfe_u32 v14, v50, 20, 1
	v_add_co_u32_e64 v14, s[22:23], v50, v14
	v_add_co_u32_e64 v51, s[22:23], -1, v14
; %bb.8845:                             ;   in Loop: Header=BB4_8716 Depth=2
	s_or_b64 exec, exec, s[94:95]
	v_add_u32_e32 v14, 0xffffff81, v21
	v_cndmask_b32_e32 v14, v14, v44, vcc
	v_lshrrev_b32_e32 v21, 23, v50
	v_add3_u32 v24, v23, v14, v21
	v_add_u32_e32 v23, 6, v24
	v_and_b32_e32 v14, 0xfffff, v51
	v_add_u32_e32 v14, v14, v50
	v_cmp_ne_u32_e32 vcc, 0, v23
                                        ; implicit-def: $vgpr50_vgpr51
                                        ; implicit-def: $vgpr21
	s_and_saveexec_b64 s[22:23], vcc
	s_xor_b64 s[22:23], exec, s[22:23]
; %bb.8846:                             ;   in Loop: Header=BB4_8716 Depth=2
	v_cmp_lt_u64_e32 vcc, s[58:59], v[14:15]
	v_add_u32_e32 v21, 7, v24
	v_cndmask_b32_e32 v21, v23, v21, vcc
	v_cndmask_b32_e64 v23, 0, 1, vcc
	v_lshrrev_b64 v[50:51], v23, v[14:15]
; %bb.8847:                             ;   in Loop: Header=BB4_8716 Depth=2
	s_or_saveexec_b64 s[22:23], s[22:23]
	buffer_load_dword v52, off, s[0:3], s33 offset:308 ; 4-byte Folded Reload
	s_xor_b64 exec, exec, s[22:23]
; %bb.8848:                             ;   in Loop: Header=BB4_8716 Depth=2
	v_mov_b32_e32 v51, v15
	v_bfe_u32 v21, v14, 23, 1
	v_mov_b32_e32 v50, v14
; %bb.8849:                             ;   in Loop: Header=BB4_8716 Depth=2
	s_or_b64 exec, exec, s[22:23]
	v_lshrrev_b64 v[23:24], 20, v[50:51]
	v_cmp_gt_i32_e32 vcc, 16, v21
	v_cndmask_b32_e32 v24, 0, v24, vcc
	v_cndmask_b32_e32 v23, 7, v23, vcc
	v_min_i32_e32 v14, 15, v21
	v_cmp_eq_u64_e64 s[22:23], 0, v[23:24]
	v_lshlrev_b32_e32 v14, 3, v14
	v_cmp_eq_u32_e32 vcc, 0, v21
	v_and_b32_e32 v14, 0xf8, v14
	v_and_or_b32 v14, v23, 7, v14
	s_and_b64 s[22:23], vcc, s[22:23]
	v_cndmask_b32_e64 v14, v14, 0, s[22:23]
	v_or_b32_e32 v21, v14, v22
.LBB4_8850:                             ;   in Loop: Header=BB4_8716 Depth=2
	s_or_b64 exec, exec, s[92:93]
                                        ; implicit-def: $vgpr22
.LBB4_8851:                             ;   in Loop: Header=BB4_8716 Depth=2
	s_andn2_saveexec_b64 s[22:23], s[90:91]
; %bb.8852:                             ;   in Loop: Header=BB4_8716 Depth=2
	v_or_b32_e32 v21, 0x7e, v22
; %bb.8853:                             ;   in Loop: Header=BB4_8716 Depth=2
	s_or_b64 exec, exec, s[22:23]
                                        ; implicit-def: $vgpr23
.LBB4_8854:                             ;   in Loop: Header=BB4_8716 Depth=2
	s_andn2_saveexec_b64 s[22:23], s[88:89]
; %bb.8855:                             ;   in Loop: Header=BB4_8716 Depth=2
	v_or_b32_sdwa v21, v23, s39 dst_sel:DWORD dst_unused:UNUSED_PAD src0_sel:BYTE_3 src1_sel:DWORD
; %bb.8856:                             ;   in Loop: Header=BB4_8716 Depth=2
	s_or_b64 exec, exec, s[22:23]
	v_lshrrev_b32_e32 v14, 16, v11
	v_cmp_ne_u16_sdwa s[88:89], v14, v15 src0_sel:BYTE_0 src1_sel:DWORD
	v_mov_b32_e32 v22, 0
	s_and_saveexec_b64 s[22:23], s[88:89]
	s_cbranch_execz .LBB4_8862
; %bb.8857:                             ;   in Loop: Header=BB4_8716 Depth=2
	v_cmp_ne_u16_sdwa s[90:91], v14, s48 src0_sel:BYTE_0 src1_sel:DWORD
	v_bfrev_b32_e32 v22, 1
	s_and_saveexec_b64 s[88:89], s[90:91]
	s_cbranch_execz .LBB4_8861
; %bb.8858:                             ;   in Loop: Header=BB4_8716 Depth=2
	v_bfe_u32 v23, v11, 16, 7
	v_cmp_ne_u32_e32 vcc, s39, v23
	v_mov_b32_e32 v22, 0x7f800001
	s_and_saveexec_b64 s[90:91], vcc
	s_cbranch_execz .LBB4_8860
; %bb.8859:                             ;   in Loop: Header=BB4_8716 Depth=2
	v_and_b32_e32 v24, 7, v14
	v_ffbh_u32_e32 v22, v24
	v_min_u32_e32 v26, 32, v22
	v_subrev_u32_e32 v22, 28, v26
	v_lshrrev_b32_e32 v25, 3, v23
	v_cmp_gt_u32_e32 vcc, 8, v23
	v_lshlrev_b64 v[22:23], v22, v[14:15]
	v_sub_u32_e32 v23, 29, v26
	v_and_b32_e32 v22, 7, v22
	v_cndmask_b32_e32 v23, v25, v23, vcc
	v_cndmask_b32_e32 v22, v24, v22, vcc
	v_lshlrev_b32_e32 v14, 24, v14
	v_bfrev_b32_e32 v24, 60
	v_lshlrev_b32_e32 v22, 20, v22
	v_and_b32_e32 v14, 0x80000000, v14
	v_lshl_add_u32 v23, v23, 23, v24
	v_or3_b32 v22, v14, v23, v22
.LBB4_8860:                             ;   in Loop: Header=BB4_8716 Depth=2
	s_or_b64 exec, exec, s[90:91]
.LBB4_8861:                             ;   in Loop: Header=BB4_8716 Depth=2
	s_or_b64 exec, exec, s[88:89]
.LBB4_8862:                             ;   in Loop: Header=BB4_8716 Depth=2
	s_or_b64 exec, exec, s[22:23]
	v_mul_f32_e32 v24, v7, v22
	v_and_b32_e32 v14, 0x7f800000, v24
	v_cmp_ne_u64_e32 vcc, s[46:47], v[14:15]
                                        ; implicit-def: $vgpr22
	s_and_saveexec_b64 s[22:23], vcc
	s_xor_b64 s[88:89], exec, s[22:23]
	s_cbranch_execz .LBB4_8876
; %bb.8863:                             ;   in Loop: Header=BB4_8716 Depth=2
	v_and_b32_e32 v14, 0x7fffffff, v24
	v_cmp_gt_u64_e32 vcc, s[56:57], v[14:15]
	v_and_b32_sdwa v23, v24, s48 dst_sel:DWORD dst_unused:UNUSED_PAD src0_sel:BYTE_3 src1_sel:DWORD
                                        ; implicit-def: $vgpr22
	s_and_saveexec_b64 s[22:23], vcc
	s_xor_b64 s[90:91], exec, s[22:23]
	s_cbranch_execz .LBB4_8873
; %bb.8864:                             ;   in Loop: Header=BB4_8716 Depth=2
	v_mov_b32_e32 v22, 0
	v_cmp_ne_u32_e32 vcc, 0, v24
	s_and_saveexec_b64 s[92:93], vcc
	s_cbranch_execz .LBB4_8872
; %bb.8865:                             ;   in Loop: Header=BB4_8716 Depth=2
	v_bfe_u32 v22, v24, 23, 8
	v_and_b32_e32 v14, 0x7fffff, v24
	v_cmp_gt_u32_e64 s[22:23], s49, v22
	v_sub_u32_e32 v24, 0x79, v22
	v_cmp_eq_u32_e32 vcc, 0, v22
	v_cndmask_b32_e64 v24, 0, v24, s[22:23]
	v_or_b32_e32 v25, 0x800000, v14
	v_cndmask_b32_e32 v24, v24, v47, vcc
	v_cndmask_b32_e32 v14, v25, v14, vcc
	v_add_u32_e32 v25, 20, v24
	v_lshlrev_b64 v[25:26], v25, -1
	v_add_u32_e32 v27, 19, v24
	v_lshlrev_b64 v[27:28], v27, 1
	v_lshrrev_b64 v[50:51], v24, v[14:15]
	v_bfi_b32 v26, v26, 0, 0
	v_bfi_b32 v25, v25, 0, v14
	v_cmp_eq_u64_e64 s[22:23], v[25:26], v[27:28]
	s_waitcnt vmcnt(0)
	v_mov_b32_e32 v52, v51
	v_mov_b32_e32 v51, v50
	s_and_saveexec_b64 s[94:95], s[22:23]
; %bb.8866:                             ;   in Loop: Header=BB4_8716 Depth=2
	v_bfe_u32 v14, v50, 20, 1
	v_add_co_u32_e64 v14, s[22:23], v50, v14
	v_add_co_u32_e64 v51, s[22:23], -1, v14
; %bb.8867:                             ;   in Loop: Header=BB4_8716 Depth=2
	s_or_b64 exec, exec, s[94:95]
	v_add_u32_e32 v14, 0xffffff81, v22
	v_cndmask_b32_e32 v14, v14, v44, vcc
	v_lshrrev_b32_e32 v22, 23, v50
	v_add3_u32 v25, v24, v14, v22
	v_add_u32_e32 v24, 6, v25
	v_and_b32_e32 v14, 0xfffff, v51
	v_add_u32_e32 v14, v14, v50
	v_cmp_ne_u32_e32 vcc, 0, v24
                                        ; implicit-def: $vgpr50_vgpr51
                                        ; implicit-def: $vgpr22
	s_and_saveexec_b64 s[22:23], vcc
	s_xor_b64 s[22:23], exec, s[22:23]
; %bb.8868:                             ;   in Loop: Header=BB4_8716 Depth=2
	v_cmp_lt_u64_e32 vcc, s[58:59], v[14:15]
	v_add_u32_e32 v22, 7, v25
	v_cndmask_b32_e32 v22, v24, v22, vcc
	v_cndmask_b32_e64 v24, 0, 1, vcc
	v_lshrrev_b64 v[50:51], v24, v[14:15]
; %bb.8869:                             ;   in Loop: Header=BB4_8716 Depth=2
	s_or_saveexec_b64 s[22:23], s[22:23]
	buffer_load_dword v52, off, s[0:3], s33 offset:308 ; 4-byte Folded Reload
	s_xor_b64 exec, exec, s[22:23]
; %bb.8870:                             ;   in Loop: Header=BB4_8716 Depth=2
	v_mov_b32_e32 v51, v15
	v_bfe_u32 v22, v14, 23, 1
	v_mov_b32_e32 v50, v14
; %bb.8871:                             ;   in Loop: Header=BB4_8716 Depth=2
	s_or_b64 exec, exec, s[22:23]
	v_lshrrev_b64 v[24:25], 20, v[50:51]
	v_cmp_gt_i32_e32 vcc, 16, v22
	v_cndmask_b32_e32 v25, 0, v25, vcc
	v_cndmask_b32_e32 v24, 7, v24, vcc
	v_min_i32_e32 v14, 15, v22
	v_cmp_eq_u64_e64 s[22:23], 0, v[24:25]
	v_lshlrev_b32_e32 v14, 3, v14
	v_cmp_eq_u32_e32 vcc, 0, v22
	v_and_b32_e32 v14, 0xf8, v14
	v_and_or_b32 v14, v24, 7, v14
	s_and_b64 s[22:23], vcc, s[22:23]
	v_cndmask_b32_e64 v14, v14, 0, s[22:23]
	v_or_b32_e32 v22, v14, v23
.LBB4_8872:                             ;   in Loop: Header=BB4_8716 Depth=2
	s_or_b64 exec, exec, s[92:93]
                                        ; implicit-def: $vgpr23
.LBB4_8873:                             ;   in Loop: Header=BB4_8716 Depth=2
	s_andn2_saveexec_b64 s[22:23], s[90:91]
; %bb.8874:                             ;   in Loop: Header=BB4_8716 Depth=2
	v_or_b32_e32 v22, 0x7e, v23
; %bb.8875:                             ;   in Loop: Header=BB4_8716 Depth=2
	s_or_b64 exec, exec, s[22:23]
                                        ; implicit-def: $vgpr24
.LBB4_8876:                             ;   in Loop: Header=BB4_8716 Depth=2
	s_andn2_saveexec_b64 s[22:23], s[88:89]
; %bb.8877:                             ;   in Loop: Header=BB4_8716 Depth=2
	v_or_b32_sdwa v22, v24, s39 dst_sel:DWORD dst_unused:UNUSED_PAD src0_sel:BYTE_3 src1_sel:DWORD
; %bb.8878:                             ;   in Loop: Header=BB4_8716 Depth=2
	s_or_b64 exec, exec, s[22:23]
	v_cmp_lt_u64_e32 vcc, s[60:61], v[10:11]
	v_mov_b32_e32 v14, 0
	s_and_saveexec_b64 s[22:23], vcc
	s_cbranch_execz .LBB4_8884
; %bb.8879:                             ;   in Loop: Header=BB4_8716 Depth=2
	v_lshrrev_b32_e32 v10, 24, v11
	v_cmp_ne_u32_e32 vcc, s48, v10
	v_bfrev_b32_e32 v14, 1
	s_and_saveexec_b64 s[88:89], vcc
	s_cbranch_execz .LBB4_8883
; %bb.8880:                             ;   in Loop: Header=BB4_8716 Depth=2
	v_bfe_u32 v11, v11, 24, 7
	v_cmp_ne_u32_e32 vcc, s39, v11
	v_mov_b32_e32 v14, 0x7f800001
	s_and_saveexec_b64 s[90:91], vcc
	s_cbranch_execz .LBB4_8882
; %bb.8881:                             ;   in Loop: Header=BB4_8716 Depth=2
	v_and_b32_e32 v14, 7, v10
	v_lshrrev_b32_e32 v25, 3, v11
	v_cmp_gt_u32_e32 vcc, 8, v11
	v_ffbh_u32_e32 v11, v14
	v_min_u32_e32 v11, 32, v11
	v_subrev_u32_e32 v23, 28, v11
	v_lshlrev_b64 v[23:24], v23, v[10:11]
	v_sub_u32_e32 v11, 29, v11
	v_and_b32_e32 v23, 7, v23
	v_cndmask_b32_e32 v11, v25, v11, vcc
	v_cndmask_b32_e32 v14, v14, v23, vcc
	v_lshlrev_b32_e32 v10, 24, v10
	v_bfrev_b32_e32 v23, 60
	v_lshlrev_b32_e32 v14, 20, v14
	v_and_b32_e32 v10, 0x80000000, v10
	v_lshl_add_u32 v11, v11, 23, v23
	v_or3_b32 v14, v10, v11, v14
.LBB4_8882:                             ;   in Loop: Header=BB4_8716 Depth=2
	s_or_b64 exec, exec, s[90:91]
.LBB4_8883:                             ;   in Loop: Header=BB4_8716 Depth=2
	s_or_b64 exec, exec, s[88:89]
.LBB4_8884:                             ;   in Loop: Header=BB4_8716 Depth=2
	s_or_b64 exec, exec, s[22:23]
	v_mul_f32_e32 v10, v7, v14
	v_and_b32_e32 v14, 0x7f800000, v10
	v_cmp_ne_u64_e32 vcc, s[46:47], v[14:15]
                                        ; implicit-def: $vgpr23
	s_and_saveexec_b64 s[22:23], vcc
	s_xor_b64 s[88:89], exec, s[22:23]
	s_cbranch_execz .LBB4_8898
; %bb.8885:                             ;   in Loop: Header=BB4_8716 Depth=2
	v_and_b32_e32 v14, 0x7fffffff, v10
	v_cmp_gt_u64_e32 vcc, s[56:57], v[14:15]
	v_and_b32_sdwa v24, v10, s48 dst_sel:DWORD dst_unused:UNUSED_PAD src0_sel:BYTE_3 src1_sel:DWORD
                                        ; implicit-def: $vgpr23
	s_and_saveexec_b64 s[22:23], vcc
	s_xor_b64 s[90:91], exec, s[22:23]
	s_cbranch_execz .LBB4_8895
; %bb.8886:                             ;   in Loop: Header=BB4_8716 Depth=2
	v_mov_b32_e32 v23, 0
	v_cmp_ne_u32_e32 vcc, 0, v10
	s_and_saveexec_b64 s[92:93], vcc
	s_cbranch_execz .LBB4_8894
; %bb.8887:                             ;   in Loop: Header=BB4_8716 Depth=2
	v_bfe_u32 v23, v10, 23, 8
	v_and_b32_e32 v11, 0x7fffff, v10
	v_cmp_gt_u32_e64 s[22:23], s49, v23
	v_sub_u32_e32 v10, 0x79, v23
	v_cmp_eq_u32_e32 vcc, 0, v23
	v_cndmask_b32_e64 v10, 0, v10, s[22:23]
	v_cndmask_b32_e32 v25, v10, v47, vcc
	v_or_b32_e32 v14, 0x800000, v11
	v_add_u32_e32 v10, 20, v25
	v_cndmask_b32_e32 v14, v14, v11, vcc
	v_lshlrev_b64 v[10:11], v10, -1
	v_add_u32_e32 v26, 19, v25
	v_lshlrev_b64 v[26:27], v26, 1
	v_bfi_b32 v11, v11, 0, 0
	v_bfi_b32 v10, v10, 0, v14
	v_cmp_eq_u64_e64 s[22:23], v[10:11], v[26:27]
	v_lshrrev_b64 v[10:11], v25, v[14:15]
	v_mov_b32_e32 v51, v11
	v_mov_b32_e32 v50, v10
	s_and_saveexec_b64 s[94:95], s[22:23]
; %bb.8888:                             ;   in Loop: Header=BB4_8716 Depth=2
	v_bfe_u32 v11, v10, 20, 1
	v_add_co_u32_e64 v11, s[22:23], v10, v11
	v_add_co_u32_e64 v50, s[22:23], -1, v11
; %bb.8889:                             ;   in Loop: Header=BB4_8716 Depth=2
	s_or_b64 exec, exec, s[94:95]
	v_add_u32_e32 v11, 0xffffff81, v23
	v_cndmask_b32_e32 v11, v11, v44, vcc
	v_lshrrev_b32_e32 v14, 23, v10
	v_add3_u32 v26, v25, v11, v14
	v_add_u32_e32 v25, 6, v26
	v_and_b32_e32 v11, 0xfffff, v50
	v_add_u32_e32 v14, v11, v10
	v_cmp_ne_u32_e32 vcc, 0, v25
                                        ; implicit-def: $vgpr10_vgpr11
                                        ; implicit-def: $vgpr23
	s_and_saveexec_b64 s[22:23], vcc
	s_xor_b64 s[22:23], exec, s[22:23]
; %bb.8890:                             ;   in Loop: Header=BB4_8716 Depth=2
	v_cmp_lt_u64_e32 vcc, s[58:59], v[14:15]
	v_add_u32_e32 v10, 7, v26
	v_cndmask_b32_e32 v23, v25, v10, vcc
	v_cndmask_b32_e64 v10, 0, 1, vcc
	v_lshrrev_b64 v[10:11], v10, v[14:15]
; %bb.8891:                             ;   in Loop: Header=BB4_8716 Depth=2
	s_andn2_saveexec_b64 s[22:23], s[22:23]
; %bb.8892:                             ;   in Loop: Header=BB4_8716 Depth=2
	v_mov_b32_e32 v10, v14
	v_bfe_u32 v23, v14, 23, 1
	v_mov_b32_e32 v11, v15
; %bb.8893:                             ;   in Loop: Header=BB4_8716 Depth=2
	s_or_b64 exec, exec, s[22:23]
	v_lshrrev_b64 v[10:11], 20, v[10:11]
	v_cmp_gt_i32_e32 vcc, 16, v23
	v_cndmask_b32_e32 v11, 0, v11, vcc
	v_cndmask_b32_e32 v10, 7, v10, vcc
	v_cmp_eq_u64_e64 s[22:23], 0, v[10:11]
	v_min_i32_e32 v11, 15, v23
	v_lshlrev_b32_e32 v11, 3, v11
	v_cmp_eq_u32_e32 vcc, 0, v23
	v_and_b32_e32 v11, 0xf8, v11
	v_and_or_b32 v10, v10, 7, v11
	s_and_b64 s[22:23], vcc, s[22:23]
	v_cndmask_b32_e64 v10, v10, 0, s[22:23]
	v_or_b32_e32 v23, v10, v24
.LBB4_8894:                             ;   in Loop: Header=BB4_8716 Depth=2
	s_or_b64 exec, exec, s[92:93]
                                        ; implicit-def: $vgpr24
.LBB4_8895:                             ;   in Loop: Header=BB4_8716 Depth=2
	s_andn2_saveexec_b64 s[22:23], s[90:91]
; %bb.8896:                             ;   in Loop: Header=BB4_8716 Depth=2
	v_or_b32_e32 v23, 0x7e, v24
; %bb.8897:                             ;   in Loop: Header=BB4_8716 Depth=2
	s_or_b64 exec, exec, s[22:23]
                                        ; implicit-def: $vgpr10
.LBB4_8898:                             ;   in Loop: Header=BB4_8716 Depth=2
	s_andn2_saveexec_b64 s[22:23], s[88:89]
; %bb.8899:                             ;   in Loop: Header=BB4_8716 Depth=2
	v_or_b32_sdwa v23, v10, s39 dst_sel:DWORD dst_unused:UNUSED_PAD src0_sel:BYTE_3 src1_sel:DWORD
; %bb.8900:                             ;   in Loop: Header=BB4_8716 Depth=2
	s_or_b64 exec, exec, s[22:23]
	v_cmp_ne_u16_sdwa s[88:89], v12, v15 src0_sel:BYTE_0 src1_sel:DWORD
	v_mov_b32_e32 v10, 0
	s_and_saveexec_b64 s[22:23], s[88:89]
	s_cbranch_execz .LBB4_8906
; %bb.8901:                             ;   in Loop: Header=BB4_8716 Depth=2
	v_cmp_ne_u16_sdwa s[90:91], v12, s48 src0_sel:BYTE_0 src1_sel:DWORD
	v_bfrev_b32_e32 v10, 1
	s_and_saveexec_b64 s[88:89], s[90:91]
	s_cbranch_execz .LBB4_8905
; %bb.8902:                             ;   in Loop: Header=BB4_8716 Depth=2
	v_and_b32_e32 v11, 0x7f, v12
	v_cmp_ne_u32_e32 vcc, s39, v11
	v_mov_b32_e32 v10, 0x7f800001
	s_and_saveexec_b64 s[90:91], vcc
	s_cbranch_execz .LBB4_8904
; %bb.8903:                             ;   in Loop: Header=BB4_8716 Depth=2
	v_and_b32_e32 v10, 7, v12
	v_ffbh_u32_e32 v10, v10
	v_min_u32_e32 v10, 32, v10
	v_lshrrev_b32_e32 v14, 3, v11
	v_cmp_gt_u32_e32 vcc, 8, v11
	v_subrev_u32_e32 v11, 28, v10
	v_sub_u32_e32 v10, 29, v10
	v_cndmask_b32_e32 v14, v14, v10, vcc
	v_cndmask_b32_e32 v10, 0, v11, vcc
	v_lshlrev_b64 v[10:11], v10, v[12:13]
	v_lshlrev_b32_e32 v11, 24, v12
	v_lshlrev_b32_e32 v10, 20, v10
	v_bfrev_b32_e32 v24, 60
	v_and_b32_e32 v10, 0x700000, v10
	v_and_b32_e32 v11, 0x80000000, v11
	v_lshl_add_u32 v14, v14, 23, v24
	v_or3_b32 v10, v11, v14, v10
.LBB4_8904:                             ;   in Loop: Header=BB4_8716 Depth=2
	s_or_b64 exec, exec, s[90:91]
.LBB4_8905:                             ;   in Loop: Header=BB4_8716 Depth=2
	s_or_b64 exec, exec, s[88:89]
.LBB4_8906:                             ;   in Loop: Header=BB4_8716 Depth=2
	s_or_b64 exec, exec, s[22:23]
	v_mul_f32_e32 v10, v7, v10
	v_and_b32_e32 v14, 0x7f800000, v10
	v_cmp_ne_u64_e32 vcc, s[46:47], v[14:15]
                                        ; implicit-def: $vgpr24
	s_and_saveexec_b64 s[22:23], vcc
	s_xor_b64 s[88:89], exec, s[22:23]
	s_cbranch_execz .LBB4_8920
; %bb.8907:                             ;   in Loop: Header=BB4_8716 Depth=2
	v_and_b32_e32 v14, 0x7fffffff, v10
	v_cmp_gt_u64_e32 vcc, s[56:57], v[14:15]
	v_and_b32_sdwa v25, v10, s48 dst_sel:DWORD dst_unused:UNUSED_PAD src0_sel:BYTE_3 src1_sel:DWORD
                                        ; implicit-def: $vgpr24
	s_and_saveexec_b64 s[22:23], vcc
	s_xor_b64 s[90:91], exec, s[22:23]
	s_cbranch_execz .LBB4_8917
; %bb.8908:                             ;   in Loop: Header=BB4_8716 Depth=2
	v_mov_b32_e32 v24, 0
	v_cmp_ne_u32_e32 vcc, 0, v10
	s_and_saveexec_b64 s[92:93], vcc
	s_cbranch_execz .LBB4_8916
; %bb.8909:                             ;   in Loop: Header=BB4_8716 Depth=2
	v_bfe_u32 v24, v10, 23, 8
	v_and_b32_e32 v11, 0x7fffff, v10
	v_cmp_gt_u32_e64 s[22:23], s49, v24
	v_sub_u32_e32 v10, 0x79, v24
	v_cmp_eq_u32_e32 vcc, 0, v24
	v_cndmask_b32_e64 v10, 0, v10, s[22:23]
	v_cndmask_b32_e32 v26, v10, v47, vcc
	v_or_b32_e32 v14, 0x800000, v11
	v_add_u32_e32 v10, 20, v26
	v_cndmask_b32_e32 v14, v14, v11, vcc
	v_lshlrev_b64 v[10:11], v10, -1
	v_add_u32_e32 v27, 19, v26
	v_lshlrev_b64 v[27:28], v27, 1
	v_bfi_b32 v11, v11, 0, 0
	v_bfi_b32 v10, v10, 0, v14
	v_cmp_eq_u64_e64 s[22:23], v[10:11], v[27:28]
	v_lshrrev_b64 v[10:11], v26, v[14:15]
	v_mov_b32_e32 v51, v11
	v_mov_b32_e32 v50, v10
	s_and_saveexec_b64 s[94:95], s[22:23]
; %bb.8910:                             ;   in Loop: Header=BB4_8716 Depth=2
	v_bfe_u32 v11, v10, 20, 1
	v_add_co_u32_e64 v11, s[22:23], v10, v11
	v_add_co_u32_e64 v50, s[22:23], -1, v11
; %bb.8911:                             ;   in Loop: Header=BB4_8716 Depth=2
	s_or_b64 exec, exec, s[94:95]
	v_add_u32_e32 v11, 0xffffff81, v24
	v_cndmask_b32_e32 v11, v11, v44, vcc
	v_lshrrev_b32_e32 v14, 23, v10
	v_add3_u32 v27, v26, v11, v14
	v_add_u32_e32 v26, 6, v27
	v_and_b32_e32 v11, 0xfffff, v50
	v_add_u32_e32 v14, v11, v10
	v_cmp_ne_u32_e32 vcc, 0, v26
                                        ; implicit-def: $vgpr10_vgpr11
                                        ; implicit-def: $vgpr24
	s_and_saveexec_b64 s[22:23], vcc
	s_xor_b64 s[22:23], exec, s[22:23]
; %bb.8912:                             ;   in Loop: Header=BB4_8716 Depth=2
	v_cmp_lt_u64_e32 vcc, s[58:59], v[14:15]
	v_add_u32_e32 v10, 7, v27
	v_cndmask_b32_e32 v24, v26, v10, vcc
	v_cndmask_b32_e64 v10, 0, 1, vcc
	v_lshrrev_b64 v[10:11], v10, v[14:15]
; %bb.8913:                             ;   in Loop: Header=BB4_8716 Depth=2
	s_andn2_saveexec_b64 s[22:23], s[22:23]
; %bb.8914:                             ;   in Loop: Header=BB4_8716 Depth=2
	v_mov_b32_e32 v10, v14
	v_bfe_u32 v24, v14, 23, 1
	v_mov_b32_e32 v11, v15
; %bb.8915:                             ;   in Loop: Header=BB4_8716 Depth=2
	s_or_b64 exec, exec, s[22:23]
	v_lshrrev_b64 v[10:11], 20, v[10:11]
	v_cmp_gt_i32_e32 vcc, 16, v24
	v_cndmask_b32_e32 v11, 0, v11, vcc
	v_cndmask_b32_e32 v10, 7, v10, vcc
	v_cmp_eq_u64_e64 s[22:23], 0, v[10:11]
	v_min_i32_e32 v11, 15, v24
	v_lshlrev_b32_e32 v11, 3, v11
	v_cmp_eq_u32_e32 vcc, 0, v24
	v_and_b32_e32 v11, 0xf8, v11
	v_and_or_b32 v10, v10, 7, v11
	s_and_b64 s[22:23], vcc, s[22:23]
	v_cndmask_b32_e64 v10, v10, 0, s[22:23]
	v_or_b32_e32 v24, v10, v25
.LBB4_8916:                             ;   in Loop: Header=BB4_8716 Depth=2
	s_or_b64 exec, exec, s[92:93]
                                        ; implicit-def: $vgpr25
.LBB4_8917:                             ;   in Loop: Header=BB4_8716 Depth=2
	s_andn2_saveexec_b64 s[22:23], s[90:91]
; %bb.8918:                             ;   in Loop: Header=BB4_8716 Depth=2
	v_or_b32_e32 v24, 0x7e, v25
; %bb.8919:                             ;   in Loop: Header=BB4_8716 Depth=2
	s_or_b64 exec, exec, s[22:23]
                                        ; implicit-def: $vgpr10
.LBB4_8920:                             ;   in Loop: Header=BB4_8716 Depth=2
	s_andn2_saveexec_b64 s[22:23], s[88:89]
; %bb.8921:                             ;   in Loop: Header=BB4_8716 Depth=2
	v_or_b32_sdwa v24, v10, s39 dst_sel:DWORD dst_unused:UNUSED_PAD src0_sel:BYTE_3 src1_sel:DWORD
; %bb.8922:                             ;   in Loop: Header=BB4_8716 Depth=2
	s_or_b64 exec, exec, s[22:23]
	v_lshrrev_b16_e32 v10, 8, v12
	v_cmp_ne_u16_e32 vcc, 0, v10
	v_mov_b32_e32 v11, 0
	s_and_saveexec_b64 s[22:23], vcc
	s_cbranch_execz .LBB4_8928
; %bb.8923:                             ;   in Loop: Header=BB4_8716 Depth=2
	v_cmp_ne_u16_e32 vcc, s48, v10
	v_bfrev_b32_e32 v11, 1
	s_and_saveexec_b64 s[88:89], vcc
	s_cbranch_execz .LBB4_8927
; %bb.8924:                             ;   in Loop: Header=BB4_8716 Depth=2
	v_and_b32_e32 v14, 0x7f, v10
	v_cmp_ne_u32_e32 vcc, s39, v14
	v_mov_b32_e32 v11, 0x7f800001
	s_and_saveexec_b64 s[90:91], vcc
	s_cbranch_execz .LBB4_8926
; %bb.8925:                             ;   in Loop: Header=BB4_8716 Depth=2
	v_and_b32_e32 v25, 7, v10
	v_ffbh_u32_e32 v11, v25
	v_lshrrev_b32_e32 v26, 3, v14
	v_cmp_gt_u32_e32 vcc, 8, v14
	v_min_u32_e32 v14, 32, v11
	v_subrev_u32_e32 v11, 28, v14
	v_lshlrev_b64 v[10:11], v11, v[10:11]
	v_sub_u32_e32 v11, 29, v14
	v_and_b32_e32 v10, 7, v10
	v_cndmask_b32_e32 v11, v26, v11, vcc
	v_cndmask_b32_e32 v10, v25, v10, vcc
	v_lshlrev_b32_e32 v14, 16, v12
	v_bfrev_b32_e32 v25, 60
	v_lshlrev_b32_e32 v10, 20, v10
	v_and_b32_e32 v14, 0x80000000, v14
	v_lshl_add_u32 v11, v11, 23, v25
	v_or3_b32 v11, v14, v11, v10
.LBB4_8926:                             ;   in Loop: Header=BB4_8716 Depth=2
	s_or_b64 exec, exec, s[90:91]
.LBB4_8927:                             ;   in Loop: Header=BB4_8716 Depth=2
	s_or_b64 exec, exec, s[88:89]
.LBB4_8928:                             ;   in Loop: Header=BB4_8716 Depth=2
	s_or_b64 exec, exec, s[22:23]
	v_mul_f32_e32 v10, v7, v11
	v_and_b32_e32 v14, 0x7f800000, v10
	v_cmp_ne_u64_e32 vcc, s[46:47], v[14:15]
                                        ; implicit-def: $vgpr25
	s_and_saveexec_b64 s[22:23], vcc
	s_xor_b64 s[88:89], exec, s[22:23]
	s_cbranch_execz .LBB4_8942
; %bb.8929:                             ;   in Loop: Header=BB4_8716 Depth=2
	v_and_b32_e32 v14, 0x7fffffff, v10
	v_cmp_gt_u64_e32 vcc, s[56:57], v[14:15]
	v_and_b32_sdwa v26, v10, s48 dst_sel:DWORD dst_unused:UNUSED_PAD src0_sel:BYTE_3 src1_sel:DWORD
                                        ; implicit-def: $vgpr25
	s_and_saveexec_b64 s[22:23], vcc
	s_xor_b64 s[90:91], exec, s[22:23]
	s_cbranch_execz .LBB4_8939
; %bb.8930:                             ;   in Loop: Header=BB4_8716 Depth=2
	v_mov_b32_e32 v25, 0
	v_cmp_ne_u32_e32 vcc, 0, v10
	s_and_saveexec_b64 s[92:93], vcc
	s_cbranch_execz .LBB4_8938
; %bb.8931:                             ;   in Loop: Header=BB4_8716 Depth=2
	v_bfe_u32 v25, v10, 23, 8
	v_and_b32_e32 v11, 0x7fffff, v10
	v_cmp_gt_u32_e64 s[22:23], s49, v25
	v_sub_u32_e32 v10, 0x79, v25
	v_cmp_eq_u32_e32 vcc, 0, v25
	v_cndmask_b32_e64 v10, 0, v10, s[22:23]
	v_cndmask_b32_e32 v27, v10, v47, vcc
	v_or_b32_e32 v14, 0x800000, v11
	v_add_u32_e32 v10, 20, v27
	v_cndmask_b32_e32 v14, v14, v11, vcc
	v_lshlrev_b64 v[10:11], v10, -1
	v_add_u32_e32 v28, 19, v27
	v_lshlrev_b64 v[28:29], v28, 1
	v_bfi_b32 v11, v11, 0, 0
	v_bfi_b32 v10, v10, 0, v14
	v_cmp_eq_u64_e64 s[22:23], v[10:11], v[28:29]
	v_lshrrev_b64 v[10:11], v27, v[14:15]
	v_mov_b32_e32 v51, v11
	v_mov_b32_e32 v50, v10
	s_and_saveexec_b64 s[94:95], s[22:23]
; %bb.8932:                             ;   in Loop: Header=BB4_8716 Depth=2
	v_bfe_u32 v11, v10, 20, 1
	v_add_co_u32_e64 v11, s[22:23], v10, v11
	v_add_co_u32_e64 v50, s[22:23], -1, v11
; %bb.8933:                             ;   in Loop: Header=BB4_8716 Depth=2
	s_or_b64 exec, exec, s[94:95]
	v_add_u32_e32 v11, 0xffffff81, v25
	v_cndmask_b32_e32 v11, v11, v44, vcc
	v_lshrrev_b32_e32 v14, 23, v10
	v_add3_u32 v28, v27, v11, v14
	v_add_u32_e32 v27, 6, v28
	v_and_b32_e32 v11, 0xfffff, v50
	v_add_u32_e32 v14, v11, v10
	v_cmp_ne_u32_e32 vcc, 0, v27
                                        ; implicit-def: $vgpr10_vgpr11
                                        ; implicit-def: $vgpr25
	s_and_saveexec_b64 s[22:23], vcc
	s_xor_b64 s[22:23], exec, s[22:23]
; %bb.8934:                             ;   in Loop: Header=BB4_8716 Depth=2
	v_cmp_lt_u64_e32 vcc, s[58:59], v[14:15]
	v_add_u32_e32 v10, 7, v28
	v_cndmask_b32_e32 v25, v27, v10, vcc
	v_cndmask_b32_e64 v10, 0, 1, vcc
	v_lshrrev_b64 v[10:11], v10, v[14:15]
; %bb.8935:                             ;   in Loop: Header=BB4_8716 Depth=2
	s_andn2_saveexec_b64 s[22:23], s[22:23]
; %bb.8936:                             ;   in Loop: Header=BB4_8716 Depth=2
	v_mov_b32_e32 v10, v14
	v_bfe_u32 v25, v14, 23, 1
	v_mov_b32_e32 v11, v15
; %bb.8937:                             ;   in Loop: Header=BB4_8716 Depth=2
	s_or_b64 exec, exec, s[22:23]
	v_lshrrev_b64 v[10:11], 20, v[10:11]
	v_cmp_gt_i32_e32 vcc, 16, v25
	v_cndmask_b32_e32 v11, 0, v11, vcc
	v_cndmask_b32_e32 v10, 7, v10, vcc
	v_cmp_eq_u64_e64 s[22:23], 0, v[10:11]
	v_min_i32_e32 v11, 15, v25
	v_lshlrev_b32_e32 v11, 3, v11
	v_cmp_eq_u32_e32 vcc, 0, v25
	v_and_b32_e32 v11, 0xf8, v11
	v_and_or_b32 v10, v10, 7, v11
	s_and_b64 s[22:23], vcc, s[22:23]
	v_cndmask_b32_e64 v10, v10, 0, s[22:23]
	v_or_b32_e32 v25, v10, v26
.LBB4_8938:                             ;   in Loop: Header=BB4_8716 Depth=2
	s_or_b64 exec, exec, s[92:93]
                                        ; implicit-def: $vgpr26
.LBB4_8939:                             ;   in Loop: Header=BB4_8716 Depth=2
	s_andn2_saveexec_b64 s[22:23], s[90:91]
; %bb.8940:                             ;   in Loop: Header=BB4_8716 Depth=2
	v_or_b32_e32 v25, 0x7e, v26
; %bb.8941:                             ;   in Loop: Header=BB4_8716 Depth=2
	s_or_b64 exec, exec, s[22:23]
                                        ; implicit-def: $vgpr10
.LBB4_8942:                             ;   in Loop: Header=BB4_8716 Depth=2
	s_andn2_saveexec_b64 s[22:23], s[88:89]
; %bb.8943:                             ;   in Loop: Header=BB4_8716 Depth=2
	v_or_b32_sdwa v25, v10, s39 dst_sel:DWORD dst_unused:UNUSED_PAD src0_sel:BYTE_3 src1_sel:DWORD
; %bb.8944:                             ;   in Loop: Header=BB4_8716 Depth=2
	s_or_b64 exec, exec, s[22:23]
	v_lshrrev_b32_e32 v10, 16, v12
	v_cmp_ne_u16_sdwa s[88:89], v10, v15 src0_sel:BYTE_0 src1_sel:DWORD
	v_mov_b32_e32 v11, 0
	s_and_saveexec_b64 s[22:23], s[88:89]
	s_cbranch_execz .LBB4_8950
; %bb.8945:                             ;   in Loop: Header=BB4_8716 Depth=2
	v_cmp_ne_u16_sdwa s[90:91], v10, s48 src0_sel:BYTE_0 src1_sel:DWORD
	v_bfrev_b32_e32 v11, 1
	s_and_saveexec_b64 s[88:89], s[90:91]
	s_cbranch_execz .LBB4_8949
; %bb.8946:                             ;   in Loop: Header=BB4_8716 Depth=2
	v_bfe_u32 v14, v12, 16, 7
	v_cmp_ne_u32_e32 vcc, s39, v14
	v_mov_b32_e32 v11, 0x7f800001
	s_and_saveexec_b64 s[90:91], vcc
	s_cbranch_execz .LBB4_8948
; %bb.8947:                             ;   in Loop: Header=BB4_8716 Depth=2
	v_and_b32_e32 v11, 7, v10
	v_lshrrev_b32_e32 v28, 3, v14
	v_cmp_gt_u32_e32 vcc, 8, v14
	v_ffbh_u32_e32 v14, v11
	v_min_u32_e32 v14, 32, v14
	v_subrev_u32_e32 v26, 28, v14
	v_lshlrev_b64 v[26:27], v26, v[10:11]
	v_sub_u32_e32 v14, 29, v14
	v_and_b32_e32 v26, 7, v26
	v_cndmask_b32_e32 v14, v28, v14, vcc
	v_cndmask_b32_e32 v11, v11, v26, vcc
	v_lshlrev_b32_e32 v10, 24, v10
	v_bfrev_b32_e32 v26, 60
	v_lshlrev_b32_e32 v11, 20, v11
	v_and_b32_e32 v10, 0x80000000, v10
	v_lshl_add_u32 v14, v14, 23, v26
	v_or3_b32 v11, v10, v14, v11
.LBB4_8948:                             ;   in Loop: Header=BB4_8716 Depth=2
	s_or_b64 exec, exec, s[90:91]
.LBB4_8949:                             ;   in Loop: Header=BB4_8716 Depth=2
	s_or_b64 exec, exec, s[88:89]
.LBB4_8950:                             ;   in Loop: Header=BB4_8716 Depth=2
	s_or_b64 exec, exec, s[22:23]
	v_mul_f32_e32 v10, v7, v11
	v_and_b32_e32 v14, 0x7f800000, v10
	v_cmp_ne_u64_e32 vcc, s[46:47], v[14:15]
                                        ; implicit-def: $vgpr26
	s_and_saveexec_b64 s[22:23], vcc
	s_xor_b64 s[88:89], exec, s[22:23]
	s_cbranch_execz .LBB4_8964
; %bb.8951:                             ;   in Loop: Header=BB4_8716 Depth=2
	v_and_b32_e32 v14, 0x7fffffff, v10
	v_cmp_gt_u64_e32 vcc, s[56:57], v[14:15]
	v_and_b32_sdwa v27, v10, s48 dst_sel:DWORD dst_unused:UNUSED_PAD src0_sel:BYTE_3 src1_sel:DWORD
                                        ; implicit-def: $vgpr26
	s_and_saveexec_b64 s[22:23], vcc
	s_xor_b64 s[90:91], exec, s[22:23]
	s_cbranch_execz .LBB4_8961
; %bb.8952:                             ;   in Loop: Header=BB4_8716 Depth=2
	v_mov_b32_e32 v26, 0
	v_cmp_ne_u32_e32 vcc, 0, v10
	s_and_saveexec_b64 s[92:93], vcc
	s_cbranch_execz .LBB4_8960
; %bb.8953:                             ;   in Loop: Header=BB4_8716 Depth=2
	v_bfe_u32 v26, v10, 23, 8
	v_and_b32_e32 v11, 0x7fffff, v10
	v_cmp_gt_u32_e64 s[22:23], s49, v26
	v_sub_u32_e32 v10, 0x79, v26
	v_cmp_eq_u32_e32 vcc, 0, v26
	v_cndmask_b32_e64 v10, 0, v10, s[22:23]
	v_cndmask_b32_e32 v28, v10, v47, vcc
	v_or_b32_e32 v14, 0x800000, v11
	v_add_u32_e32 v10, 20, v28
	v_cndmask_b32_e32 v14, v14, v11, vcc
	v_lshlrev_b64 v[10:11], v10, -1
	v_add_u32_e32 v29, 19, v28
	v_lshlrev_b64 v[29:30], v29, 1
	v_bfi_b32 v11, v11, 0, 0
	v_bfi_b32 v10, v10, 0, v14
	v_cmp_eq_u64_e64 s[22:23], v[10:11], v[29:30]
	v_lshrrev_b64 v[10:11], v28, v[14:15]
	v_mov_b32_e32 v51, v11
	v_mov_b32_e32 v50, v10
	s_and_saveexec_b64 s[94:95], s[22:23]
; %bb.8954:                             ;   in Loop: Header=BB4_8716 Depth=2
	v_bfe_u32 v11, v10, 20, 1
	v_add_co_u32_e64 v11, s[22:23], v10, v11
	v_add_co_u32_e64 v50, s[22:23], -1, v11
; %bb.8955:                             ;   in Loop: Header=BB4_8716 Depth=2
	s_or_b64 exec, exec, s[94:95]
	v_add_u32_e32 v11, 0xffffff81, v26
	v_cndmask_b32_e32 v11, v11, v44, vcc
	v_lshrrev_b32_e32 v14, 23, v10
	v_add3_u32 v29, v28, v11, v14
	v_add_u32_e32 v28, 6, v29
	v_and_b32_e32 v11, 0xfffff, v50
	v_add_u32_e32 v14, v11, v10
	v_cmp_ne_u32_e32 vcc, 0, v28
                                        ; implicit-def: $vgpr10_vgpr11
                                        ; implicit-def: $vgpr26
	s_and_saveexec_b64 s[22:23], vcc
	s_xor_b64 s[22:23], exec, s[22:23]
; %bb.8956:                             ;   in Loop: Header=BB4_8716 Depth=2
	v_cmp_lt_u64_e32 vcc, s[58:59], v[14:15]
	v_add_u32_e32 v10, 7, v29
	v_cndmask_b32_e32 v26, v28, v10, vcc
	v_cndmask_b32_e64 v10, 0, 1, vcc
	v_lshrrev_b64 v[10:11], v10, v[14:15]
; %bb.8957:                             ;   in Loop: Header=BB4_8716 Depth=2
	s_andn2_saveexec_b64 s[22:23], s[22:23]
; %bb.8958:                             ;   in Loop: Header=BB4_8716 Depth=2
	v_mov_b32_e32 v10, v14
	v_bfe_u32 v26, v14, 23, 1
	v_mov_b32_e32 v11, v15
; %bb.8959:                             ;   in Loop: Header=BB4_8716 Depth=2
	s_or_b64 exec, exec, s[22:23]
	v_lshrrev_b64 v[10:11], 20, v[10:11]
	v_cmp_gt_i32_e32 vcc, 16, v26
	v_cndmask_b32_e32 v11, 0, v11, vcc
	v_cndmask_b32_e32 v10, 7, v10, vcc
	v_cmp_eq_u64_e64 s[22:23], 0, v[10:11]
	v_min_i32_e32 v11, 15, v26
	v_lshlrev_b32_e32 v11, 3, v11
	v_cmp_eq_u32_e32 vcc, 0, v26
	v_and_b32_e32 v11, 0xf8, v11
	v_and_or_b32 v10, v10, 7, v11
	s_and_b64 s[22:23], vcc, s[22:23]
	v_cndmask_b32_e64 v10, v10, 0, s[22:23]
	v_or_b32_e32 v26, v10, v27
.LBB4_8960:                             ;   in Loop: Header=BB4_8716 Depth=2
	s_or_b64 exec, exec, s[92:93]
                                        ; implicit-def: $vgpr27
.LBB4_8961:                             ;   in Loop: Header=BB4_8716 Depth=2
	s_andn2_saveexec_b64 s[22:23], s[90:91]
; %bb.8962:                             ;   in Loop: Header=BB4_8716 Depth=2
	v_or_b32_e32 v26, 0x7e, v27
; %bb.8963:                             ;   in Loop: Header=BB4_8716 Depth=2
	s_or_b64 exec, exec, s[22:23]
                                        ; implicit-def: $vgpr10
.LBB4_8964:                             ;   in Loop: Header=BB4_8716 Depth=2
	s_andn2_saveexec_b64 s[22:23], s[88:89]
; %bb.8965:                             ;   in Loop: Header=BB4_8716 Depth=2
	v_or_b32_sdwa v26, v10, s39 dst_sel:DWORD dst_unused:UNUSED_PAD src0_sel:BYTE_3 src1_sel:DWORD
; %bb.8966:                             ;   in Loop: Header=BB4_8716 Depth=2
	s_or_b64 exec, exec, s[22:23]
	v_cmp_lt_u32_e32 vcc, s61, v12
	v_mov_b32_e32 v11, 0
	s_and_saveexec_b64 s[22:23], vcc
	s_cbranch_execz .LBB4_8972
; %bb.8967:                             ;   in Loop: Header=BB4_8716 Depth=2
	v_lshrrev_b32_e32 v10, 24, v12
	v_cmp_ne_u32_e32 vcc, s48, v10
	v_bfrev_b32_e32 v11, 1
	s_and_saveexec_b64 s[88:89], vcc
	s_cbranch_execz .LBB4_8971
; %bb.8968:                             ;   in Loop: Header=BB4_8716 Depth=2
	v_bfe_u32 v14, v12, 24, 7
	v_cmp_ne_u32_e32 vcc, s39, v14
	v_mov_b32_e32 v11, 0x7f800001
	s_and_saveexec_b64 s[90:91], vcc
	s_cbranch_execz .LBB4_8970
; %bb.8969:                             ;   in Loop: Header=BB4_8716 Depth=2
	v_and_b32_e32 v11, 7, v10
	v_lshrrev_b32_e32 v29, 3, v14
	v_cmp_gt_u32_e32 vcc, 8, v14
	v_ffbh_u32_e32 v14, v11
	v_min_u32_e32 v14, 32, v14
	v_subrev_u32_e32 v27, 28, v14
	v_lshlrev_b64 v[27:28], v27, v[10:11]
	v_sub_u32_e32 v14, 29, v14
	v_and_b32_e32 v27, 7, v27
	v_cndmask_b32_e32 v14, v29, v14, vcc
	v_cndmask_b32_e32 v11, v11, v27, vcc
	v_lshlrev_b32_e32 v10, 24, v10
	v_bfrev_b32_e32 v27, 60
	v_lshlrev_b32_e32 v11, 20, v11
	v_and_b32_e32 v10, 0x80000000, v10
	v_lshl_add_u32 v14, v14, 23, v27
	v_or3_b32 v11, v10, v14, v11
.LBB4_8970:                             ;   in Loop: Header=BB4_8716 Depth=2
	s_or_b64 exec, exec, s[90:91]
.LBB4_8971:                             ;   in Loop: Header=BB4_8716 Depth=2
	s_or_b64 exec, exec, s[88:89]
.LBB4_8972:                             ;   in Loop: Header=BB4_8716 Depth=2
	s_or_b64 exec, exec, s[22:23]
	v_mul_f32_e32 v10, v7, v11
	v_and_b32_e32 v14, 0x7f800000, v10
	v_cmp_ne_u64_e32 vcc, s[46:47], v[14:15]
                                        ; implicit-def: $vgpr27
	s_and_saveexec_b64 s[22:23], vcc
	s_xor_b64 s[88:89], exec, s[22:23]
	s_cbranch_execz .LBB4_8986
; %bb.8973:                             ;   in Loop: Header=BB4_8716 Depth=2
	v_and_b32_e32 v14, 0x7fffffff, v10
	v_cmp_gt_u64_e32 vcc, s[56:57], v[14:15]
	v_and_b32_sdwa v28, v10, s48 dst_sel:DWORD dst_unused:UNUSED_PAD src0_sel:BYTE_3 src1_sel:DWORD
                                        ; implicit-def: $vgpr27
	s_and_saveexec_b64 s[22:23], vcc
	s_xor_b64 s[90:91], exec, s[22:23]
	s_cbranch_execz .LBB4_8983
; %bb.8974:                             ;   in Loop: Header=BB4_8716 Depth=2
	v_mov_b32_e32 v27, 0
	v_cmp_ne_u32_e32 vcc, 0, v10
	s_and_saveexec_b64 s[92:93], vcc
	s_cbranch_execz .LBB4_8982
; %bb.8975:                             ;   in Loop: Header=BB4_8716 Depth=2
	v_bfe_u32 v27, v10, 23, 8
	v_and_b32_e32 v11, 0x7fffff, v10
	v_cmp_gt_u32_e64 s[22:23], s49, v27
	v_sub_u32_e32 v10, 0x79, v27
	v_cmp_eq_u32_e32 vcc, 0, v27
	v_cndmask_b32_e64 v10, 0, v10, s[22:23]
	v_cndmask_b32_e32 v29, v10, v47, vcc
	v_or_b32_e32 v14, 0x800000, v11
	v_add_u32_e32 v10, 20, v29
	v_cndmask_b32_e32 v14, v14, v11, vcc
	v_lshlrev_b64 v[10:11], v10, -1
	v_add_u32_e32 v30, 19, v29
	v_lshlrev_b64 v[30:31], v30, 1
	v_bfi_b32 v11, v11, 0, 0
	v_bfi_b32 v10, v10, 0, v14
	v_cmp_eq_u64_e64 s[22:23], v[10:11], v[30:31]
	v_lshrrev_b64 v[10:11], v29, v[14:15]
	v_mov_b32_e32 v51, v11
	v_mov_b32_e32 v50, v10
	s_and_saveexec_b64 s[94:95], s[22:23]
; %bb.8976:                             ;   in Loop: Header=BB4_8716 Depth=2
	v_bfe_u32 v11, v10, 20, 1
	v_add_co_u32_e64 v11, s[22:23], v10, v11
	v_add_co_u32_e64 v50, s[22:23], -1, v11
; %bb.8977:                             ;   in Loop: Header=BB4_8716 Depth=2
	s_or_b64 exec, exec, s[94:95]
	v_add_u32_e32 v11, 0xffffff81, v27
	v_cndmask_b32_e32 v11, v11, v44, vcc
	v_lshrrev_b32_e32 v14, 23, v10
	v_add3_u32 v30, v29, v11, v14
	v_add_u32_e32 v29, 6, v30
	v_and_b32_e32 v11, 0xfffff, v50
	v_add_u32_e32 v14, v11, v10
	v_cmp_ne_u32_e32 vcc, 0, v29
                                        ; implicit-def: $vgpr10_vgpr11
                                        ; implicit-def: $vgpr27
	s_and_saveexec_b64 s[22:23], vcc
	s_xor_b64 s[22:23], exec, s[22:23]
; %bb.8978:                             ;   in Loop: Header=BB4_8716 Depth=2
	v_cmp_lt_u64_e32 vcc, s[58:59], v[14:15]
	v_add_u32_e32 v10, 7, v30
	v_cndmask_b32_e32 v27, v29, v10, vcc
	v_cndmask_b32_e64 v10, 0, 1, vcc
	v_lshrrev_b64 v[10:11], v10, v[14:15]
; %bb.8979:                             ;   in Loop: Header=BB4_8716 Depth=2
	s_andn2_saveexec_b64 s[22:23], s[22:23]
; %bb.8980:                             ;   in Loop: Header=BB4_8716 Depth=2
	v_mov_b32_e32 v10, v14
	v_bfe_u32 v27, v14, 23, 1
	v_mov_b32_e32 v11, v15
; %bb.8981:                             ;   in Loop: Header=BB4_8716 Depth=2
	s_or_b64 exec, exec, s[22:23]
	v_lshrrev_b64 v[10:11], 20, v[10:11]
	v_cmp_gt_i32_e32 vcc, 16, v27
	v_cndmask_b32_e32 v11, 0, v11, vcc
	v_cndmask_b32_e32 v10, 7, v10, vcc
	v_cmp_eq_u64_e64 s[22:23], 0, v[10:11]
	v_min_i32_e32 v11, 15, v27
	v_lshlrev_b32_e32 v11, 3, v11
	v_cmp_eq_u32_e32 vcc, 0, v27
	v_and_b32_e32 v11, 0xf8, v11
	v_and_or_b32 v10, v10, 7, v11
	s_and_b64 s[22:23], vcc, s[22:23]
	v_cndmask_b32_e64 v10, v10, 0, s[22:23]
	v_or_b32_e32 v27, v10, v28
.LBB4_8982:                             ;   in Loop: Header=BB4_8716 Depth=2
	s_or_b64 exec, exec, s[92:93]
                                        ; implicit-def: $vgpr28
.LBB4_8983:                             ;   in Loop: Header=BB4_8716 Depth=2
	s_andn2_saveexec_b64 s[22:23], s[90:91]
; %bb.8984:                             ;   in Loop: Header=BB4_8716 Depth=2
	v_or_b32_e32 v27, 0x7e, v28
; %bb.8985:                             ;   in Loop: Header=BB4_8716 Depth=2
	s_or_b64 exec, exec, s[22:23]
                                        ; implicit-def: $vgpr10
.LBB4_8986:                             ;   in Loop: Header=BB4_8716 Depth=2
	s_andn2_saveexec_b64 s[22:23], s[88:89]
; %bb.8987:                             ;   in Loop: Header=BB4_8716 Depth=2
	v_or_b32_sdwa v27, v10, s39 dst_sel:DWORD dst_unused:UNUSED_PAD src0_sel:BYTE_3 src1_sel:DWORD
; %bb.8988:                             ;   in Loop: Header=BB4_8716 Depth=2
	s_or_b64 exec, exec, s[22:23]
	v_mov_b32_e32 v14, v13
	v_cmp_ne_u16_sdwa s[88:89], v13, v15 src0_sel:BYTE_0 src1_sel:DWORD
	v_mov_b32_e32 v10, 0
	s_and_saveexec_b64 s[22:23], s[88:89]
	s_cbranch_execz .LBB4_8994
; %bb.8989:                             ;   in Loop: Header=BB4_8716 Depth=2
	v_cmp_ne_u16_sdwa s[90:91], v13, s48 src0_sel:BYTE_0 src1_sel:DWORD
	v_bfrev_b32_e32 v10, 1
	s_and_saveexec_b64 s[88:89], s[90:91]
	s_cbranch_execz .LBB4_8993
; %bb.8990:                             ;   in Loop: Header=BB4_8716 Depth=2
	v_and_b32_e32 v11, 0x7f, v13
	v_cmp_ne_u32_e32 vcc, s39, v11
	v_mov_b32_e32 v10, 0x7f800001
	s_and_saveexec_b64 s[90:91], vcc
	s_cbranch_execz .LBB4_8992
; %bb.8991:                             ;   in Loop: Header=BB4_8716 Depth=2
	v_and_b32_e32 v10, 7, v13
	v_ffbh_u32_e32 v10, v10
	v_min_u32_e32 v10, 32, v10
	v_lshrrev_b32_e32 v28, 3, v11
	v_cmp_gt_u32_e32 vcc, 8, v11
	v_subrev_u32_e32 v11, 28, v10
	v_sub_u32_e32 v10, 29, v10
	v_cndmask_b32_e32 v28, v28, v10, vcc
	v_cndmask_b32_e32 v10, 0, v11, vcc
	v_lshlrev_b64 v[10:11], v10, v[14:15]
	v_lshlrev_b32_e32 v11, 24, v14
	v_lshlrev_b32_e32 v10, 20, v10
	v_bfrev_b32_e32 v29, 60
	v_and_b32_e32 v10, 0x700000, v10
	v_and_b32_e32 v11, 0x80000000, v11
	v_lshl_add_u32 v28, v28, 23, v29
	v_or3_b32 v10, v11, v28, v10
.LBB4_8992:                             ;   in Loop: Header=BB4_8716 Depth=2
	s_or_b64 exec, exec, s[90:91]
.LBB4_8993:                             ;   in Loop: Header=BB4_8716 Depth=2
	s_or_b64 exec, exec, s[88:89]
.LBB4_8994:                             ;   in Loop: Header=BB4_8716 Depth=2
	s_or_b64 exec, exec, s[22:23]
	v_mul_f32_e32 v10, v7, v10
	v_and_b32_e32 v28, 0x7f800000, v10
	v_mov_b32_e32 v29, v15
	v_cmp_ne_u64_e32 vcc, s[46:47], v[28:29]
                                        ; implicit-def: $vgpr28
	s_and_saveexec_b64 s[22:23], vcc
	s_xor_b64 s[88:89], exec, s[22:23]
	s_cbranch_execz .LBB4_9008
; %bb.8995:                             ;   in Loop: Header=BB4_8716 Depth=2
	v_and_b32_e32 v28, 0x7fffffff, v10
	v_mov_b32_e32 v29, v15
	v_cmp_gt_u64_e32 vcc, s[56:57], v[28:29]
	v_and_b32_sdwa v29, v10, s48 dst_sel:DWORD dst_unused:UNUSED_PAD src0_sel:BYTE_3 src1_sel:DWORD
                                        ; implicit-def: $vgpr28
	s_and_saveexec_b64 s[22:23], vcc
	s_xor_b64 s[90:91], exec, s[22:23]
	s_cbranch_execz .LBB4_9005
; %bb.8996:                             ;   in Loop: Header=BB4_8716 Depth=2
	v_mov_b32_e32 v28, 0
	v_cmp_ne_u32_e32 vcc, 0, v10
	s_and_saveexec_b64 s[92:93], vcc
	s_cbranch_execz .LBB4_9004
; %bb.8997:                             ;   in Loop: Header=BB4_8716 Depth=2
	v_bfe_u32 v28, v10, 23, 8
	v_and_b32_e32 v11, 0x7fffff, v10
	v_cmp_gt_u32_e64 s[22:23], s49, v28
	v_sub_u32_e32 v10, 0x79, v28
	v_cmp_eq_u32_e32 vcc, 0, v28
	v_cndmask_b32_e64 v10, 0, v10, s[22:23]
	v_or_b32_e32 v31, 0x800000, v11
	v_cndmask_b32_e32 v30, v10, v47, vcc
	v_cndmask_b32_e32 v10, v31, v11, vcc
	v_add_u32_e32 v31, 20, v30
	v_lshlrev_b64 v[31:32], v31, -1
	v_mov_b32_e32 v11, v15
	v_add_u32_e32 v33, 19, v30
	v_bfi_b32 v31, v31, 0, v10
	v_lshlrev_b64 v[33:34], v33, 1
	v_lshrrev_b64 v[10:11], v30, v[10:11]
	v_bfi_b32 v32, v32, 0, 0
	v_cmp_eq_u64_e64 s[22:23], v[31:32], v[33:34]
	v_mov_b32_e32 v51, v11
	v_mov_b32_e32 v50, v10
	s_and_saveexec_b64 s[94:95], s[22:23]
; %bb.8998:                             ;   in Loop: Header=BB4_8716 Depth=2
	v_bfe_u32 v11, v10, 20, 1
	v_add_co_u32_e64 v11, s[22:23], v10, v11
	v_add_co_u32_e64 v50, s[22:23], -1, v11
; %bb.8999:                             ;   in Loop: Header=BB4_8716 Depth=2
	s_or_b64 exec, exec, s[94:95]
	v_add_u32_e32 v11, 0xffffff81, v28
	v_cndmask_b32_e32 v11, v11, v44, vcc
	v_lshrrev_b32_e32 v28, 23, v10
	v_add3_u32 v31, v30, v11, v28
	v_add_u32_e32 v30, 6, v31
	v_and_b32_e32 v11, 0xfffff, v50
	v_add_u32_e32 v10, v11, v10
	v_mov_b32_e32 v11, v15
	v_cmp_ne_u32_e32 vcc, 0, v30
                                        ; implicit-def: $vgpr28
	s_and_saveexec_b64 s[22:23], vcc
	s_xor_b64 s[22:23], exec, s[22:23]
; %bb.9000:                             ;   in Loop: Header=BB4_8716 Depth=2
	v_cmp_lt_u64_e32 vcc, s[58:59], v[10:11]
	v_add_u32_e32 v28, 7, v31
	v_cndmask_b32_e32 v28, v30, v28, vcc
	v_cndmask_b32_e64 v30, 0, 1, vcc
	v_lshrrev_b64 v[10:11], v30, v[10:11]
; %bb.9001:                             ;   in Loop: Header=BB4_8716 Depth=2
	s_andn2_saveexec_b64 s[22:23], s[22:23]
; %bb.9002:                             ;   in Loop: Header=BB4_8716 Depth=2
	v_bfe_u32 v28, v10, 23, 1
; %bb.9003:                             ;   in Loop: Header=BB4_8716 Depth=2
	s_or_b64 exec, exec, s[22:23]
	v_lshrrev_b64 v[10:11], 20, v[10:11]
	v_cmp_gt_i32_e32 vcc, 16, v28
	v_cndmask_b32_e32 v11, 0, v11, vcc
	v_cndmask_b32_e32 v10, 7, v10, vcc
	v_cmp_eq_u64_e64 s[22:23], 0, v[10:11]
	v_min_i32_e32 v11, 15, v28
	v_lshlrev_b32_e32 v11, 3, v11
	v_cmp_eq_u32_e32 vcc, 0, v28
	v_and_b32_e32 v11, 0xf8, v11
	v_and_or_b32 v10, v10, 7, v11
	s_and_b64 s[22:23], vcc, s[22:23]
	v_cndmask_b32_e64 v10, v10, 0, s[22:23]
	v_or_b32_e32 v28, v10, v29
.LBB4_9004:                             ;   in Loop: Header=BB4_8716 Depth=2
	s_or_b64 exec, exec, s[92:93]
                                        ; implicit-def: $vgpr29
.LBB4_9005:                             ;   in Loop: Header=BB4_8716 Depth=2
	s_andn2_saveexec_b64 s[22:23], s[90:91]
; %bb.9006:                             ;   in Loop: Header=BB4_8716 Depth=2
	v_or_b32_e32 v28, 0x7e, v29
; %bb.9007:                             ;   in Loop: Header=BB4_8716 Depth=2
	s_or_b64 exec, exec, s[22:23]
                                        ; implicit-def: $vgpr10
.LBB4_9008:                             ;   in Loop: Header=BB4_8716 Depth=2
	s_andn2_saveexec_b64 s[22:23], s[88:89]
; %bb.9009:                             ;   in Loop: Header=BB4_8716 Depth=2
	v_or_b32_sdwa v28, v10, s39 dst_sel:DWORD dst_unused:UNUSED_PAD src0_sel:BYTE_3 src1_sel:DWORD
; %bb.9010:                             ;   in Loop: Header=BB4_8716 Depth=2
	s_or_b64 exec, exec, s[22:23]
	v_lshrrev_b16_e32 v10, 8, v14
	v_cmp_ne_u16_e32 vcc, 0, v10
	v_mov_b32_e32 v11, 0
	s_and_saveexec_b64 s[22:23], vcc
	s_cbranch_execz .LBB4_9016
; %bb.9011:                             ;   in Loop: Header=BB4_8716 Depth=2
	v_cmp_ne_u16_e32 vcc, s48, v10
	v_bfrev_b32_e32 v11, 1
	s_and_saveexec_b64 s[88:89], vcc
	s_cbranch_execz .LBB4_9015
; %bb.9012:                             ;   in Loop: Header=BB4_8716 Depth=2
	v_and_b32_e32 v29, 0x7f, v10
	v_cmp_ne_u32_e32 vcc, s39, v29
	v_mov_b32_e32 v11, 0x7f800001
	s_and_saveexec_b64 s[90:91], vcc
	s_cbranch_execz .LBB4_9014
; %bb.9013:                             ;   in Loop: Header=BB4_8716 Depth=2
	v_and_b32_e32 v30, 7, v10
	v_ffbh_u32_e32 v11, v30
	v_lshrrev_b32_e32 v31, 3, v29
	v_cmp_gt_u32_e32 vcc, 8, v29
	v_min_u32_e32 v29, 32, v11
	v_subrev_u32_e32 v11, 28, v29
	v_lshlrev_b64 v[10:11], v11, v[10:11]
	v_sub_u32_e32 v11, 29, v29
	v_and_b32_e32 v10, 7, v10
	v_cndmask_b32_e32 v11, v31, v11, vcc
	v_cndmask_b32_e32 v10, v30, v10, vcc
	v_lshlrev_b32_e32 v14, 16, v14
	v_bfrev_b32_e32 v29, 60
	v_lshlrev_b32_e32 v10, 20, v10
	v_and_b32_e32 v14, 0x80000000, v14
	v_lshl_add_u32 v11, v11, 23, v29
	v_or3_b32 v11, v14, v11, v10
.LBB4_9014:                             ;   in Loop: Header=BB4_8716 Depth=2
	s_or_b64 exec, exec, s[90:91]
.LBB4_9015:                             ;   in Loop: Header=BB4_8716 Depth=2
	s_or_b64 exec, exec, s[88:89]
.LBB4_9016:                             ;   in Loop: Header=BB4_8716 Depth=2
	s_or_b64 exec, exec, s[22:23]
	v_mul_f32_e32 v10, v7, v11
	v_and_b32_e32 v14, 0x7f800000, v10
	v_cmp_ne_u64_e32 vcc, s[46:47], v[14:15]
                                        ; implicit-def: $vgpr29
	s_and_saveexec_b64 s[22:23], vcc
	s_xor_b64 s[88:89], exec, s[22:23]
	s_cbranch_execz .LBB4_9030
; %bb.9017:                             ;   in Loop: Header=BB4_8716 Depth=2
	v_and_b32_e32 v14, 0x7fffffff, v10
	v_cmp_gt_u64_e32 vcc, s[56:57], v[14:15]
	v_and_b32_sdwa v30, v10, s48 dst_sel:DWORD dst_unused:UNUSED_PAD src0_sel:BYTE_3 src1_sel:DWORD
                                        ; implicit-def: $vgpr29
	s_and_saveexec_b64 s[22:23], vcc
	s_xor_b64 s[90:91], exec, s[22:23]
	s_cbranch_execz .LBB4_9027
; %bb.9018:                             ;   in Loop: Header=BB4_8716 Depth=2
	v_mov_b32_e32 v29, 0
	v_cmp_ne_u32_e32 vcc, 0, v10
	s_and_saveexec_b64 s[92:93], vcc
	s_cbranch_execz .LBB4_9026
; %bb.9019:                             ;   in Loop: Header=BB4_8716 Depth=2
	v_bfe_u32 v29, v10, 23, 8
	v_and_b32_e32 v11, 0x7fffff, v10
	v_cmp_gt_u32_e64 s[22:23], s49, v29
	v_sub_u32_e32 v10, 0x79, v29
	v_cmp_eq_u32_e32 vcc, 0, v29
	v_cndmask_b32_e64 v10, 0, v10, s[22:23]
	v_cndmask_b32_e32 v31, v10, v47, vcc
	v_or_b32_e32 v14, 0x800000, v11
	v_add_u32_e32 v10, 20, v31
	v_cndmask_b32_e32 v14, v14, v11, vcc
	v_lshlrev_b64 v[10:11], v10, -1
	v_add_u32_e32 v32, 19, v31
	v_lshlrev_b64 v[32:33], v32, 1
	v_bfi_b32 v11, v11, 0, 0
	v_bfi_b32 v10, v10, 0, v14
	v_cmp_eq_u64_e64 s[22:23], v[10:11], v[32:33]
	v_lshrrev_b64 v[10:11], v31, v[14:15]
	v_mov_b32_e32 v51, v11
	v_mov_b32_e32 v50, v10
	s_and_saveexec_b64 s[94:95], s[22:23]
; %bb.9020:                             ;   in Loop: Header=BB4_8716 Depth=2
	v_bfe_u32 v11, v10, 20, 1
	v_add_co_u32_e64 v11, s[22:23], v10, v11
	v_add_co_u32_e64 v50, s[22:23], -1, v11
; %bb.9021:                             ;   in Loop: Header=BB4_8716 Depth=2
	s_or_b64 exec, exec, s[94:95]
	v_add_u32_e32 v11, 0xffffff81, v29
	v_cndmask_b32_e32 v11, v11, v44, vcc
	v_lshrrev_b32_e32 v14, 23, v10
	v_add3_u32 v32, v31, v11, v14
	v_add_u32_e32 v31, 6, v32
	v_and_b32_e32 v11, 0xfffff, v50
	v_add_u32_e32 v14, v11, v10
	v_cmp_ne_u32_e32 vcc, 0, v31
                                        ; implicit-def: $vgpr10_vgpr11
                                        ; implicit-def: $vgpr29
	s_and_saveexec_b64 s[22:23], vcc
	s_xor_b64 s[22:23], exec, s[22:23]
; %bb.9022:                             ;   in Loop: Header=BB4_8716 Depth=2
	v_cmp_lt_u64_e32 vcc, s[58:59], v[14:15]
	v_add_u32_e32 v10, 7, v32
	v_cndmask_b32_e32 v29, v31, v10, vcc
	v_cndmask_b32_e64 v10, 0, 1, vcc
	v_lshrrev_b64 v[10:11], v10, v[14:15]
; %bb.9023:                             ;   in Loop: Header=BB4_8716 Depth=2
	s_andn2_saveexec_b64 s[22:23], s[22:23]
; %bb.9024:                             ;   in Loop: Header=BB4_8716 Depth=2
	v_mov_b32_e32 v10, v14
	v_bfe_u32 v29, v14, 23, 1
	v_mov_b32_e32 v11, v15
; %bb.9025:                             ;   in Loop: Header=BB4_8716 Depth=2
	s_or_b64 exec, exec, s[22:23]
	v_lshrrev_b64 v[10:11], 20, v[10:11]
	v_cmp_gt_i32_e32 vcc, 16, v29
	v_cndmask_b32_e32 v11, 0, v11, vcc
	v_cndmask_b32_e32 v10, 7, v10, vcc
	v_cmp_eq_u64_e64 s[22:23], 0, v[10:11]
	v_min_i32_e32 v11, 15, v29
	v_lshlrev_b32_e32 v11, 3, v11
	v_cmp_eq_u32_e32 vcc, 0, v29
	v_and_b32_e32 v11, 0xf8, v11
	v_and_or_b32 v10, v10, 7, v11
	s_and_b64 s[22:23], vcc, s[22:23]
	v_cndmask_b32_e64 v10, v10, 0, s[22:23]
	v_or_b32_e32 v29, v10, v30
.LBB4_9026:                             ;   in Loop: Header=BB4_8716 Depth=2
	s_or_b64 exec, exec, s[92:93]
                                        ; implicit-def: $vgpr30
.LBB4_9027:                             ;   in Loop: Header=BB4_8716 Depth=2
	s_andn2_saveexec_b64 s[22:23], s[90:91]
; %bb.9028:                             ;   in Loop: Header=BB4_8716 Depth=2
	v_or_b32_e32 v29, 0x7e, v30
; %bb.9029:                             ;   in Loop: Header=BB4_8716 Depth=2
	s_or_b64 exec, exec, s[22:23]
                                        ; implicit-def: $vgpr10
.LBB4_9030:                             ;   in Loop: Header=BB4_8716 Depth=2
	s_andn2_saveexec_b64 s[22:23], s[88:89]
; %bb.9031:                             ;   in Loop: Header=BB4_8716 Depth=2
	v_or_b32_sdwa v29, v10, s39 dst_sel:DWORD dst_unused:UNUSED_PAD src0_sel:BYTE_3 src1_sel:DWORD
; %bb.9032:                             ;   in Loop: Header=BB4_8716 Depth=2
	s_or_b64 exec, exec, s[22:23]
	v_lshrrev_b32_e32 v10, 16, v13
	v_cmp_ne_u16_sdwa s[88:89], v10, v15 src0_sel:BYTE_0 src1_sel:DWORD
	v_mov_b32_e32 v11, 0
	s_and_saveexec_b64 s[22:23], s[88:89]
	s_cbranch_execz .LBB4_9038
; %bb.9033:                             ;   in Loop: Header=BB4_8716 Depth=2
	v_cmp_ne_u16_sdwa s[90:91], v10, s48 src0_sel:BYTE_0 src1_sel:DWORD
	v_bfrev_b32_e32 v11, 1
	s_and_saveexec_b64 s[88:89], s[90:91]
	s_cbranch_execz .LBB4_9037
; %bb.9034:                             ;   in Loop: Header=BB4_8716 Depth=2
	v_bfe_u32 v14, v13, 16, 7
	v_cmp_ne_u32_e32 vcc, s39, v14
	v_mov_b32_e32 v11, 0x7f800001
	s_and_saveexec_b64 s[90:91], vcc
	s_cbranch_execz .LBB4_9036
; %bb.9035:                             ;   in Loop: Header=BB4_8716 Depth=2
	v_and_b32_e32 v11, 7, v10
	v_lshrrev_b32_e32 v32, 3, v14
	v_cmp_gt_u32_e32 vcc, 8, v14
	v_ffbh_u32_e32 v14, v11
	v_min_u32_e32 v14, 32, v14
	v_subrev_u32_e32 v30, 28, v14
	v_lshlrev_b64 v[30:31], v30, v[10:11]
	v_sub_u32_e32 v14, 29, v14
	v_and_b32_e32 v30, 7, v30
	v_cndmask_b32_e32 v14, v32, v14, vcc
	v_cndmask_b32_e32 v11, v11, v30, vcc
	v_lshlrev_b32_e32 v10, 24, v10
	v_bfrev_b32_e32 v30, 60
	v_lshlrev_b32_e32 v11, 20, v11
	v_and_b32_e32 v10, 0x80000000, v10
	v_lshl_add_u32 v14, v14, 23, v30
	v_or3_b32 v11, v10, v14, v11
.LBB4_9036:                             ;   in Loop: Header=BB4_8716 Depth=2
	s_or_b64 exec, exec, s[90:91]
.LBB4_9037:                             ;   in Loop: Header=BB4_8716 Depth=2
	s_or_b64 exec, exec, s[88:89]
.LBB4_9038:                             ;   in Loop: Header=BB4_8716 Depth=2
	s_or_b64 exec, exec, s[22:23]
	v_mul_f32_e32 v10, v7, v11
	v_and_b32_e32 v14, 0x7f800000, v10
	v_cmp_ne_u64_e32 vcc, s[46:47], v[14:15]
                                        ; implicit-def: $vgpr30
	s_and_saveexec_b64 s[22:23], vcc
	s_xor_b64 s[88:89], exec, s[22:23]
	s_cbranch_execz .LBB4_9052
; %bb.9039:                             ;   in Loop: Header=BB4_8716 Depth=2
	v_and_b32_e32 v14, 0x7fffffff, v10
	v_cmp_gt_u64_e32 vcc, s[56:57], v[14:15]
	v_and_b32_sdwa v31, v10, s48 dst_sel:DWORD dst_unused:UNUSED_PAD src0_sel:BYTE_3 src1_sel:DWORD
                                        ; implicit-def: $vgpr30
	s_and_saveexec_b64 s[22:23], vcc
	s_xor_b64 s[90:91], exec, s[22:23]
	s_cbranch_execz .LBB4_9049
; %bb.9040:                             ;   in Loop: Header=BB4_8716 Depth=2
	v_mov_b32_e32 v30, 0
	v_cmp_ne_u32_e32 vcc, 0, v10
	s_and_saveexec_b64 s[92:93], vcc
	s_cbranch_execz .LBB4_9048
; %bb.9041:                             ;   in Loop: Header=BB4_8716 Depth=2
	v_bfe_u32 v30, v10, 23, 8
	v_and_b32_e32 v11, 0x7fffff, v10
	v_cmp_gt_u32_e64 s[22:23], s49, v30
	v_sub_u32_e32 v10, 0x79, v30
	v_cmp_eq_u32_e32 vcc, 0, v30
	v_cndmask_b32_e64 v10, 0, v10, s[22:23]
	v_cndmask_b32_e32 v32, v10, v47, vcc
	v_or_b32_e32 v14, 0x800000, v11
	v_add_u32_e32 v10, 20, v32
	v_cndmask_b32_e32 v14, v14, v11, vcc
	v_lshlrev_b64 v[10:11], v10, -1
	v_add_u32_e32 v33, 19, v32
	v_lshlrev_b64 v[33:34], v33, 1
	v_bfi_b32 v11, v11, 0, 0
	v_bfi_b32 v10, v10, 0, v14
	v_cmp_eq_u64_e64 s[22:23], v[10:11], v[33:34]
	v_lshrrev_b64 v[10:11], v32, v[14:15]
	v_mov_b32_e32 v51, v11
	v_mov_b32_e32 v50, v10
	s_and_saveexec_b64 s[94:95], s[22:23]
; %bb.9042:                             ;   in Loop: Header=BB4_8716 Depth=2
	v_bfe_u32 v11, v10, 20, 1
	v_add_co_u32_e64 v11, s[22:23], v10, v11
	v_add_co_u32_e64 v50, s[22:23], -1, v11
; %bb.9043:                             ;   in Loop: Header=BB4_8716 Depth=2
	s_or_b64 exec, exec, s[94:95]
	v_add_u32_e32 v11, 0xffffff81, v30
	v_cndmask_b32_e32 v11, v11, v44, vcc
	v_lshrrev_b32_e32 v14, 23, v10
	v_add3_u32 v33, v32, v11, v14
	v_add_u32_e32 v32, 6, v33
	v_and_b32_e32 v11, 0xfffff, v50
	v_add_u32_e32 v14, v11, v10
	v_cmp_ne_u32_e32 vcc, 0, v32
                                        ; implicit-def: $vgpr10_vgpr11
                                        ; implicit-def: $vgpr30
	s_and_saveexec_b64 s[22:23], vcc
	s_xor_b64 s[22:23], exec, s[22:23]
; %bb.9044:                             ;   in Loop: Header=BB4_8716 Depth=2
	v_cmp_lt_u64_e32 vcc, s[58:59], v[14:15]
	v_add_u32_e32 v10, 7, v33
	v_cndmask_b32_e32 v30, v32, v10, vcc
	v_cndmask_b32_e64 v10, 0, 1, vcc
	v_lshrrev_b64 v[10:11], v10, v[14:15]
; %bb.9045:                             ;   in Loop: Header=BB4_8716 Depth=2
	s_andn2_saveexec_b64 s[22:23], s[22:23]
; %bb.9046:                             ;   in Loop: Header=BB4_8716 Depth=2
	v_mov_b32_e32 v10, v14
	v_bfe_u32 v30, v14, 23, 1
	v_mov_b32_e32 v11, v15
; %bb.9047:                             ;   in Loop: Header=BB4_8716 Depth=2
	s_or_b64 exec, exec, s[22:23]
	v_lshrrev_b64 v[10:11], 20, v[10:11]
	v_cmp_gt_i32_e32 vcc, 16, v30
	v_cndmask_b32_e32 v11, 0, v11, vcc
	v_cndmask_b32_e32 v10, 7, v10, vcc
	v_cmp_eq_u64_e64 s[22:23], 0, v[10:11]
	v_min_i32_e32 v11, 15, v30
	v_lshlrev_b32_e32 v11, 3, v11
	v_cmp_eq_u32_e32 vcc, 0, v30
	v_and_b32_e32 v11, 0xf8, v11
	v_and_or_b32 v10, v10, 7, v11
	s_and_b64 s[22:23], vcc, s[22:23]
	v_cndmask_b32_e64 v10, v10, 0, s[22:23]
	v_or_b32_e32 v30, v10, v31
.LBB4_9048:                             ;   in Loop: Header=BB4_8716 Depth=2
	s_or_b64 exec, exec, s[92:93]
                                        ; implicit-def: $vgpr31
.LBB4_9049:                             ;   in Loop: Header=BB4_8716 Depth=2
	s_andn2_saveexec_b64 s[22:23], s[90:91]
; %bb.9050:                             ;   in Loop: Header=BB4_8716 Depth=2
	v_or_b32_e32 v30, 0x7e, v31
; %bb.9051:                             ;   in Loop: Header=BB4_8716 Depth=2
	s_or_b64 exec, exec, s[22:23]
                                        ; implicit-def: $vgpr10
.LBB4_9052:                             ;   in Loop: Header=BB4_8716 Depth=2
	s_andn2_saveexec_b64 s[22:23], s[88:89]
; %bb.9053:                             ;   in Loop: Header=BB4_8716 Depth=2
	v_or_b32_sdwa v30, v10, s39 dst_sel:DWORD dst_unused:UNUSED_PAD src0_sel:BYTE_3 src1_sel:DWORD
; %bb.9054:                             ;   in Loop: Header=BB4_8716 Depth=2
	s_or_b64 exec, exec, s[22:23]
	v_cmp_lt_u64_e32 vcc, s[60:61], v[12:13]
	v_mov_b32_e32 v11, 0
	s_and_saveexec_b64 s[22:23], vcc
	s_cbranch_execz .LBB4_9060
; %bb.9055:                             ;   in Loop: Header=BB4_8716 Depth=2
	v_lshrrev_b32_e32 v10, 24, v13
	v_cmp_ne_u32_e32 vcc, s48, v10
	v_bfrev_b32_e32 v11, 1
	s_and_saveexec_b64 s[88:89], vcc
	s_cbranch_execz .LBB4_9059
; %bb.9056:                             ;   in Loop: Header=BB4_8716 Depth=2
	v_bfe_u32 v12, v13, 24, 7
	v_cmp_ne_u32_e32 vcc, s39, v12
	v_mov_b32_e32 v11, 0x7f800001
	s_and_saveexec_b64 s[90:91], vcc
	s_cbranch_execz .LBB4_9058
; %bb.9057:                             ;   in Loop: Header=BB4_8716 Depth=2
	v_and_b32_e32 v13, 7, v10
	v_ffbh_u32_e32 v11, v13
	v_min_u32_e32 v31, 32, v11
	v_subrev_u32_e32 v11, 28, v31
	v_lshrrev_b32_e32 v14, 3, v12
	v_cmp_gt_u32_e32 vcc, 8, v12
	v_lshlrev_b64 v[11:12], v11, v[10:11]
	v_sub_u32_e32 v12, 29, v31
	v_and_b32_e32 v11, 7, v11
	v_cndmask_b32_e32 v12, v14, v12, vcc
	v_cndmask_b32_e32 v11, v13, v11, vcc
	v_lshlrev_b32_e32 v10, 24, v10
	v_bfrev_b32_e32 v13, 60
	v_lshlrev_b32_e32 v11, 20, v11
	v_and_b32_e32 v10, 0x80000000, v10
	v_lshl_add_u32 v12, v12, 23, v13
	v_or3_b32 v11, v10, v12, v11
.LBB4_9058:                             ;   in Loop: Header=BB4_8716 Depth=2
	s_or_b64 exec, exec, s[90:91]
.LBB4_9059:                             ;   in Loop: Header=BB4_8716 Depth=2
	s_or_b64 exec, exec, s[88:89]
.LBB4_9060:                             ;   in Loop: Header=BB4_8716 Depth=2
	s_or_b64 exec, exec, s[22:23]
	v_mul_f32_e32 v11, v7, v11
	v_and_b32_e32 v14, 0x7f800000, v11
	v_cmp_ne_u64_e32 vcc, s[46:47], v[14:15]
                                        ; implicit-def: $vgpr10
	s_and_saveexec_b64 s[22:23], vcc
	s_xor_b64 s[88:89], exec, s[22:23]
	s_cbranch_execz .LBB4_9074
; %bb.9061:                             ;   in Loop: Header=BB4_8716 Depth=2
	v_and_b32_e32 v14, 0x7fffffff, v11
	v_cmp_gt_u64_e32 vcc, s[56:57], v[14:15]
	v_and_b32_sdwa v7, v11, s48 dst_sel:DWORD dst_unused:UNUSED_PAD src0_sel:BYTE_3 src1_sel:DWORD
                                        ; implicit-def: $vgpr10
	s_and_saveexec_b64 s[22:23], vcc
	s_xor_b64 s[90:91], exec, s[22:23]
	s_cbranch_execz .LBB4_9071
; %bb.9062:                             ;   in Loop: Header=BB4_8716 Depth=2
	v_mov_b32_e32 v10, 0
	v_cmp_ne_u32_e32 vcc, 0, v11
	s_and_saveexec_b64 s[92:93], vcc
	s_cbranch_execz .LBB4_9070
; %bb.9063:                             ;   in Loop: Header=BB4_8716 Depth=2
	v_bfe_u32 v13, v11, 23, 8
	v_and_b32_e32 v10, 0x7fffff, v11
	v_cmp_gt_u32_e64 s[22:23], s49, v13
	v_sub_u32_e32 v11, 0x79, v13
	v_cmp_eq_u32_e32 vcc, 0, v13
	v_cndmask_b32_e64 v11, 0, v11, s[22:23]
	v_or_b32_e32 v12, 0x800000, v10
	v_cndmask_b32_e32 v31, v11, v47, vcc
	v_cndmask_b32_e32 v14, v12, v10, vcc
	v_add_u32_e32 v10, 20, v31
	v_lshlrev_b64 v[10:11], v10, -1
	v_add_u32_e32 v12, 19, v31
	v_lshlrev_b64 v[32:33], v12, 1
	v_bfi_b32 v11, v11, 0, 0
	v_bfi_b32 v10, v10, 0, v14
	v_cmp_eq_u64_e64 s[22:23], v[10:11], v[32:33]
	v_lshrrev_b64 v[10:11], v31, v[14:15]
	v_mov_b32_e32 v12, v11
	v_mov_b32_e32 v11, v10
	s_and_saveexec_b64 s[94:95], s[22:23]
; %bb.9064:                             ;   in Loop: Header=BB4_8716 Depth=2
	v_bfe_u32 v11, v10, 20, 1
	v_add_co_u32_e64 v11, s[22:23], v10, v11
	v_add_co_u32_e64 v11, s[22:23], -1, v11
; %bb.9065:                             ;   in Loop: Header=BB4_8716 Depth=2
	s_or_b64 exec, exec, s[94:95]
	v_add_u32_e32 v12, 0xffffff81, v13
	v_cndmask_b32_e32 v12, v12, v44, vcc
	v_lshrrev_b32_e32 v13, 23, v10
	v_add3_u32 v31, v31, v12, v13
	v_add_u32_e32 v13, 6, v31
	v_and_b32_e32 v11, 0xfffff, v11
	v_add_u32_e32 v14, v11, v10
	v_cmp_ne_u32_e32 vcc, 0, v13
                                        ; implicit-def: $vgpr10_vgpr11
                                        ; implicit-def: $vgpr12
	s_and_saveexec_b64 s[22:23], vcc
	s_xor_b64 s[22:23], exec, s[22:23]
; %bb.9066:                             ;   in Loop: Header=BB4_8716 Depth=2
	v_cmp_lt_u64_e32 vcc, s[58:59], v[14:15]
	v_add_u32_e32 v10, 7, v31
	v_cndmask_b32_e32 v12, v13, v10, vcc
	v_cndmask_b32_e64 v10, 0, 1, vcc
	v_lshrrev_b64 v[10:11], v10, v[14:15]
; %bb.9067:                             ;   in Loop: Header=BB4_8716 Depth=2
	s_andn2_saveexec_b64 s[22:23], s[22:23]
; %bb.9068:                             ;   in Loop: Header=BB4_8716 Depth=2
	v_mov_b32_e32 v10, v14
	v_bfe_u32 v12, v14, 23, 1
	v_mov_b32_e32 v11, v15
; %bb.9069:                             ;   in Loop: Header=BB4_8716 Depth=2
	s_or_b64 exec, exec, s[22:23]
	v_lshrrev_b64 v[10:11], 20, v[10:11]
	v_cmp_gt_i32_e32 vcc, 16, v12
	v_cndmask_b32_e32 v11, 0, v11, vcc
	v_cndmask_b32_e32 v10, 7, v10, vcc
	v_cmp_eq_u64_e64 s[22:23], 0, v[10:11]
	v_min_i32_e32 v11, 15, v12
	v_lshlrev_b32_e32 v11, 3, v11
	v_cmp_eq_u32_e32 vcc, 0, v12
	v_and_b32_e32 v11, 0xf8, v11
	v_and_or_b32 v10, v10, 7, v11
	s_and_b64 s[22:23], vcc, s[22:23]
	v_cndmask_b32_e64 v10, v10, 0, s[22:23]
	v_or_b32_e32 v10, v10, v7
.LBB4_9070:                             ;   in Loop: Header=BB4_8716 Depth=2
	s_or_b64 exec, exec, s[92:93]
                                        ; implicit-def: $vgpr7
.LBB4_9071:                             ;   in Loop: Header=BB4_8716 Depth=2
	s_andn2_saveexec_b64 s[22:23], s[90:91]
; %bb.9072:                             ;   in Loop: Header=BB4_8716 Depth=2
	v_or_b32_e32 v10, 0x7e, v7
; %bb.9073:                             ;   in Loop: Header=BB4_8716 Depth=2
	s_or_b64 exec, exec, s[22:23]
                                        ; implicit-def: $vgpr11
.LBB4_9074:                             ;   in Loop: Header=BB4_8716 Depth=2
	s_andn2_saveexec_b64 s[22:23], s[88:89]
	s_cbranch_execz .LBB4_8715
; %bb.9075:                             ;   in Loop: Header=BB4_8716 Depth=2
	v_or_b32_sdwa v10, v11, s39 dst_sel:DWORD dst_unused:UNUSED_PAD src0_sel:BYTE_3 src1_sel:DWORD
	s_branch .LBB4_8715
.LBB4_9076:                             ;   in Loop: Header=BB4_7219 Depth=1
	s_or_b64 exec, exec, s[78:79]
.LBB4_9077:                             ;   in Loop: Header=BB4_7219 Depth=1
	s_or_b64 exec, exec, s[76:77]
	buffer_load_dword v5, off, s[0:3], s33 offset:304 ; 4-byte Folded Reload
	v_cmp_lt_i32_e32 vcc, 0, v3
	s_waitcnt vmcnt(0)
	v_and_b32_e32 v4, 15, v5
	v_and_b32_e32 v0, 0x3f0, v5
	v_cndmask_b32_e64 v1, v1, v4, s[20:21]
	v_cndmask_b32_e32 v4, 0, v59, vcc
	v_cndmask_b32_e64 v0, 0, v0, s[20:21]
	v_sub_u32_e32 v3, v4, v3
	v_cmp_ne_u32_e32 vcc, 0, v1
	v_and_or_b32 v0, v5, s50, v0
	v_lshl_add_u32 v2, v3, 6, v2
	s_and_b64 s[20:21], vcc, exec
.LBB4_9078:                             ;   in Loop: Header=BB4_7219 Depth=1
	s_or_b64 exec, exec, s[74:75]
	buffer_load_dword v34, off, s[0:3], s33 offset:88 ; 4-byte Folded Reload
	buffer_load_dword v35, off, s[0:3], s33 offset:92 ; 4-byte Folded Reload
	buffer_load_dword v36, off, s[0:3], s33 offset:96 ; 4-byte Folded Reload
	buffer_load_dword v37, off, s[0:3], s33 offset:100 ; 4-byte Folded Reload
	s_and_saveexec_b64 s[22:23], s[20:21]
	s_cbranch_execz .LBB4_9539
.LBB4_9079:                             ;   in Loop: Header=BB4_7219 Depth=1
	s_waitcnt vmcnt(1)
	v_ashrrev_i32_e32 v3, 31, v2
	v_lshrrev_b32_e32 v3, 26, v3
	v_add_u32_e32 v5, v2, v3
	v_ashrrev_i32_e32 v3, 6, v5
	v_lshrrev_b32_e32 v4, 10, v1
	v_sub_u32_e32 v4, v4, v3
	v_cmp_lt_i32_e32 vcc, 0, v4
	s_and_saveexec_b64 s[74:75], vcc
	s_cbranch_execz .LBB4_9504
; %bb.9080:                             ;   in Loop: Header=BB4_7219 Depth=1
	v_and_b32_e32 v5, 0xffffffc0, v5
	v_sub_u32_e32 v5, v2, v5
	v_lshlrev_b32_e32 v6, 10, v3
	v_add3_u32 v5, v0, v5, v6
	v_ashrrev_i32_e32 v6, 31, v5
	s_mov_b64 s[76:77], 0
	s_branch .LBB4_9082
.LBB4_9081:                             ;   in Loop: Header=BB4_9082 Depth=2
	s_or_b64 exec, exec, s[20:21]
	v_add_co_u32_e32 v29, vcc, v5, v48
	v_addc_co_u32_e32 v30, vcc, v6, v49, vcc
	v_add_co_u32_e32 v38, vcc, v38, v52
	v_sub_u32_e32 v4, v4, v59
	v_addc_co_u32_e32 v39, vcc, 0, v39, vcc
	v_cmp_gt_i32_e32 vcc, 1, v4
	s_or_b64 s[76:77], vcc, s[76:77]
	v_add_co_u32_e32 v48, vcc, v48, v52
	v_addc_co_u32_e32 v49, vcc, 0, v49, vcc
	flat_store_byte v[29:30], v7 glc slc
	flat_store_byte v[29:30], v8 offset:64 glc slc
	flat_store_byte v[29:30], v9 offset:128 glc slc
	;; [unrolled: 1-line block ×15, first 2 shown]
	s_andn2_b64 exec, exec, s[76:77]
	s_cbranch_execz .LBB4_9503
.LBB4_9082:                             ;   Parent Loop BB4_7219 Depth=1
                                        ; =>  This Inner Loop Header: Depth=2
	s_trap 2
	ds_read_b64 v[10:11], v0
	s_waitcnt lgkmcnt(0)
	v_cmp_eq_u32_sdwa s[78:79], v10, v15 src0_sel:BYTE_0 src1_sel:DWORD
	v_readfirstlane_b32 s20, v10
	s_and_b64 vcc, exec, s[78:79]
	v_readfirstlane_b32 s21, v11
	s_cbranch_vccnz .LBB4_9086
; %bb.9083:                             ;   in Loop: Header=BB4_9082 Depth=2
	v_cmp_eq_u32_sdwa s[78:79], v10, s48 src0_sel:BYTE_0 src1_sel:DWORD
	s_and_b64 vcc, exec, s[78:79]
	s_brev_b32 s94, 1
	s_cbranch_vccnz .LBB4_9087
; %bb.9084:                             ;   in Loop: Header=BB4_9082 Depth=2
	s_and_b32 s78, s20, 0x7f
	s_cmpk_eq_i32 s78, 0x7f
	s_mov_b32 s94, 0x7f800001
	s_cbranch_scc1 .LBB4_9087
; %bb.9085:                             ;   in Loop: Header=BB4_9082 Depth=2
	s_and_b32 s79, s20, 7
	s_flbit_i32_b32 s79, s79
	s_min_u32 s79, s79, 32
	s_lshr_b32 s88, s78, 3
	s_sub_i32 s89, s79, 28
	s_sub_i32 s79, 29, s79
	s_cmp_lt_u32 s78, 8
	s_cselect_b32 s78, s89, 0
	s_cselect_b32 s88, s79, s88
	s_lshl_b64 s[78:79], s[20:21], s78
	s_lshl_b32 s21, s78, 20
	s_lshl_b32 s20, s20, 24
	;; [unrolled: 1-line block ×3, first 2 shown]
	s_and_b32 s20, s20, 0x80000000
	s_add_i32 s78, s78, 0x3c000000
	s_and_b32 s21, s21, 0x700000
	s_or_b32 s20, s20, s78
	s_or_b32 s94, s20, s21
	s_branch .LBB4_9087
.LBB4_9086:                             ;   in Loop: Header=BB4_9082 Depth=2
	s_mov_b32 s94, 0
.LBB4_9087:                             ;   in Loop: Header=BB4_9082 Depth=2
	v_add_co_u32_e32 v10, vcc, v5, v38
	v_addc_co_u32_e32 v11, vcc, v6, v39, vcc
	flat_load_ubyte v7, v[10:11] glc slc
	v_mov_b32_e32 v8, 0
	s_waitcnt vmcnt(0) lgkmcnt(0)
	v_cmp_ne_u16_e32 vcc, 0, v7
	s_and_saveexec_b64 s[20:21], vcc
	s_cbranch_execz .LBB4_9093
; %bb.9088:                             ;   in Loop: Header=BB4_9082 Depth=2
	v_cmp_ne_u16_e32 vcc, s48, v7
	v_bfrev_b32_e32 v8, 1
	s_and_saveexec_b64 s[78:79], vcc
	s_cbranch_execz .LBB4_9092
; %bb.9089:                             ;   in Loop: Header=BB4_9082 Depth=2
	v_and_b32_e32 v12, 0xffff, v7
	v_and_b32_e32 v9, 0x7f, v12
	v_cmp_ne_u32_e32 vcc, s39, v9
	v_mov_b32_e32 v8, 0x7f800001
	s_and_saveexec_b64 s[88:89], vcc
	s_cbranch_execz .LBB4_9091
; %bb.9090:                             ;   in Loop: Header=BB4_9082 Depth=2
	v_and_b32_e32 v13, 7, v12
	v_ffbh_u32_e32 v8, v13
	v_min_u32_e32 v18, 32, v8
	v_subrev_u32_e32 v8, 28, v18
	v_lshrrev_b32_e32 v14, 3, v9
	v_cmp_gt_u32_e32 vcc, 8, v9
	v_lshlrev_b64 v[8:9], v8, v[12:13]
	v_sub_u32_e32 v9, 29, v18
	v_and_b32_e32 v8, 7, v8
	v_cndmask_b32_e32 v9, v14, v9, vcc
	v_cndmask_b32_e32 v8, v13, v8, vcc
	v_lshlrev_b32_e32 v7, 24, v7
	v_bfrev_b32_e32 v12, 60
	v_lshlrev_b32_e32 v8, 20, v8
	v_and_b32_e32 v7, 0x80000000, v7
	v_lshl_add_u32 v9, v9, 23, v12
	v_or3_b32 v8, v7, v9, v8
.LBB4_9091:                             ;   in Loop: Header=BB4_9082 Depth=2
	s_or_b64 exec, exec, s[88:89]
.LBB4_9092:                             ;   in Loop: Header=BB4_9082 Depth=2
	s_or_b64 exec, exec, s[78:79]
.LBB4_9093:                             ;   in Loop: Header=BB4_9082 Depth=2
	s_or_b64 exec, exec, s[20:21]
	v_mul_f32_e32 v9, s94, v8
	v_and_b32_e32 v14, 0x7f800000, v9
	v_cmp_ne_u64_e32 vcc, s[46:47], v[14:15]
                                        ; implicit-def: $vgpr7
	s_and_saveexec_b64 s[20:21], vcc
	s_xor_b64 s[78:79], exec, s[20:21]
	s_cbranch_execz .LBB4_9111
; %bb.9094:                             ;   in Loop: Header=BB4_9082 Depth=2
	v_and_b32_e32 v14, 0x7fffffff, v9
	v_cmp_gt_u64_e32 vcc, s[56:57], v[14:15]
	v_and_b32_sdwa v8, v9, s48 dst_sel:DWORD dst_unused:UNUSED_PAD src0_sel:BYTE_3 src1_sel:DWORD
                                        ; implicit-def: $vgpr7
	s_and_saveexec_b64 s[20:21], vcc
	s_xor_b64 s[88:89], exec, s[20:21]
	s_cbranch_execz .LBB4_9108
; %bb.9095:                             ;   in Loop: Header=BB4_9082 Depth=2
	v_cmp_ne_u32_e32 vcc, 0, v9
	v_mov_b32_e32 v7, 0
	s_and_saveexec_b64 s[90:91], vcc
	s_cbranch_execz .LBB4_9107
; %bb.9096:                             ;   in Loop: Header=BB4_9082 Depth=2
	v_bfe_u32 v7, v9, 23, 8
	v_and_b32_e32 v12, 0x7fffff, v9
	v_cmp_gt_u32_e64 s[20:21], s49, v7
	v_sub_u32_e32 v9, 0x79, v7
	v_cmp_eq_u32_e32 vcc, 0, v7
	v_cndmask_b32_e64 v9, 0, v9, s[20:21]
	v_or_b32_e32 v13, 0x800000, v12
	v_cndmask_b32_e32 v9, v9, v47, vcc
	v_cndmask_b32_e32 v14, v13, v12, vcc
	v_add_u32_e32 v12, 20, v9
	v_lshlrev_b64 v[12:13], v12, -1
	v_add_u32_e32 v18, 19, v9
	v_lshlrev_b64 v[18:19], v18, 1
	v_bfi_b32 v13, v13, 0, 0
	v_bfi_b32 v12, v12, 0, v14
	v_cmp_eq_u64_e64 s[20:21], v[12:13], v[18:19]
	v_lshrrev_b64 v[12:13], v9, v[14:15]
	v_mov_b32_e32 v14, v13
	v_mov_b32_e32 v13, v12
	s_and_saveexec_b64 s[92:93], s[20:21]
; %bb.9097:                             ;   in Loop: Header=BB4_9082 Depth=2
	v_bfe_u32 v13, v12, 20, 1
	v_add_co_u32_e64 v13, s[20:21], v12, v13
	v_add_co_u32_e64 v13, s[20:21], -1, v13
; %bb.9098:                             ;   in Loop: Header=BB4_9082 Depth=2
	s_or_b64 exec, exec, s[92:93]
	v_add_u32_e32 v7, 0xffffff81, v7
	v_cndmask_b32_e32 v7, v7, v44, vcc
	v_lshrrev_b32_e32 v14, 23, v12
	v_add3_u32 v18, v9, v7, v14
	v_add_u32_e32 v7, 6, v18
	v_and_b32_e32 v9, 0xfffff, v13
	v_add_u32_e32 v14, v9, v12
	v_cmp_ne_u32_e32 vcc, 0, v7
                                        ; implicit-def: $vgpr12_vgpr13
                                        ; implicit-def: $vgpr9
	s_and_saveexec_b64 s[20:21], vcc
	s_xor_b64 s[20:21], exec, s[20:21]
; %bb.9099:                             ;   in Loop: Header=BB4_9082 Depth=2
	v_cmp_lt_u64_e32 vcc, s[58:59], v[14:15]
	v_add_u32_e32 v9, 7, v18
	v_cndmask_b32_e32 v9, v7, v9, vcc
	v_cndmask_b32_e64 v7, 0, 1, vcc
	v_lshrrev_b64 v[12:13], v7, v[14:15]
; %bb.9100:                             ;   in Loop: Header=BB4_9082 Depth=2
	s_andn2_saveexec_b64 s[20:21], s[20:21]
; %bb.9101:                             ;   in Loop: Header=BB4_9082 Depth=2
	v_mov_b32_e32 v12, v14
	v_bfe_u32 v9, v14, 23, 1
	v_mov_b32_e32 v13, v15
; %bb.9102:                             ;   in Loop: Header=BB4_9082 Depth=2
	s_or_b64 exec, exec, s[20:21]
	v_lshrrev_b64 v[12:13], 20, v[12:13]
	v_cmp_gt_i32_e32 vcc, 16, v9
	v_cndmask_b32_e32 v13, 0, v13, vcc
	v_cndmask_b32_e32 v12, 7, v12, vcc
	v_cmp_ne_u64_e32 vcc, 0, v[12:13]
	v_cmp_ne_u32_e64 s[20:21], 0, v9
	s_or_b64 s[20:21], s[20:21], vcc
                                        ; implicit-def: $vgpr7
	s_and_saveexec_b64 s[92:93], s[20:21]
	s_xor_b64 s[20:21], exec, s[92:93]
; %bb.9103:                             ;   in Loop: Header=BB4_9082 Depth=2
	v_min_i32_e32 v7, 15, v9
	v_lshl_or_b32 v7, v7, 3, v8
	v_and_or_b32 v7, v12, 7, v7
                                        ; implicit-def: $vgpr8
; %bb.9104:                             ;   in Loop: Header=BB4_9082 Depth=2
	s_andn2_saveexec_b64 s[20:21], s[20:21]
; %bb.9105:                             ;   in Loop: Header=BB4_9082 Depth=2
	v_mov_b32_e32 v7, v8
; %bb.9106:                             ;   in Loop: Header=BB4_9082 Depth=2
	s_or_b64 exec, exec, s[20:21]
.LBB4_9107:                             ;   in Loop: Header=BB4_9082 Depth=2
	s_or_b64 exec, exec, s[90:91]
                                        ; implicit-def: $vgpr8
.LBB4_9108:                             ;   in Loop: Header=BB4_9082 Depth=2
	s_andn2_saveexec_b64 s[20:21], s[88:89]
; %bb.9109:                             ;   in Loop: Header=BB4_9082 Depth=2
	v_or_b32_e32 v7, 0x7e, v8
; %bb.9110:                             ;   in Loop: Header=BB4_9082 Depth=2
	s_or_b64 exec, exec, s[20:21]
                                        ; implicit-def: $vgpr9
.LBB4_9111:                             ;   in Loop: Header=BB4_9082 Depth=2
	s_andn2_saveexec_b64 s[20:21], s[78:79]
; %bb.9112:                             ;   in Loop: Header=BB4_9082 Depth=2
	v_or_b32_sdwa v7, v9, s39 dst_sel:DWORD dst_unused:UNUSED_PAD src0_sel:BYTE_3 src1_sel:DWORD
; %bb.9113:                             ;   in Loop: Header=BB4_9082 Depth=2
	s_or_b64 exec, exec, s[20:21]
	flat_load_ubyte v8, v[10:11] offset:64 glc slc
	v_mov_b32_e32 v9, 0
	s_waitcnt vmcnt(0) lgkmcnt(0)
	v_cmp_ne_u16_e32 vcc, 0, v8
	s_and_saveexec_b64 s[20:21], vcc
	s_cbranch_execz .LBB4_9119
; %bb.9114:                             ;   in Loop: Header=BB4_9082 Depth=2
	v_cmp_ne_u16_e32 vcc, s48, v8
	v_bfrev_b32_e32 v9, 1
	s_and_saveexec_b64 s[78:79], vcc
	s_cbranch_execz .LBB4_9118
; %bb.9115:                             ;   in Loop: Header=BB4_9082 Depth=2
	v_and_b32_e32 v12, 0xffff, v8
	v_and_b32_e32 v13, 0x7f, v12
	v_cmp_ne_u32_e32 vcc, s39, v13
	v_mov_b32_e32 v9, 0x7f800001
	s_and_saveexec_b64 s[88:89], vcc
	s_cbranch_execz .LBB4_9117
; %bb.9116:                             ;   in Loop: Header=BB4_9082 Depth=2
	v_and_b32_e32 v9, 7, v12
	v_lshrrev_b32_e32 v14, 3, v13
	v_cmp_gt_u32_e32 vcc, 8, v13
	v_ffbh_u32_e32 v13, v9
	v_min_u32_e32 v18, 32, v13
	v_subrev_u32_e32 v13, 28, v18
	v_lshlrev_b64 v[12:13], v13, v[12:13]
	v_sub_u32_e32 v13, 29, v18
	v_and_b32_e32 v12, 7, v12
	v_cndmask_b32_e32 v13, v14, v13, vcc
	v_cndmask_b32_e32 v9, v9, v12, vcc
	v_lshlrev_b32_e32 v8, 24, v8
	v_bfrev_b32_e32 v12, 60
	v_lshlrev_b32_e32 v9, 20, v9
	v_and_b32_e32 v8, 0x80000000, v8
	v_lshl_add_u32 v12, v13, 23, v12
	v_or3_b32 v9, v8, v12, v9
.LBB4_9117:                             ;   in Loop: Header=BB4_9082 Depth=2
	s_or_b64 exec, exec, s[88:89]
.LBB4_9118:                             ;   in Loop: Header=BB4_9082 Depth=2
	s_or_b64 exec, exec, s[78:79]
.LBB4_9119:                             ;   in Loop: Header=BB4_9082 Depth=2
	s_or_b64 exec, exec, s[20:21]
	v_mul_f32_e32 v12, s94, v9
	v_and_b32_e32 v14, 0x7f800000, v12
	v_cmp_ne_u64_e32 vcc, s[46:47], v[14:15]
                                        ; implicit-def: $vgpr8
	s_and_saveexec_b64 s[20:21], vcc
	s_xor_b64 s[78:79], exec, s[20:21]
	s_cbranch_execz .LBB4_9137
; %bb.9120:                             ;   in Loop: Header=BB4_9082 Depth=2
	v_and_b32_e32 v14, 0x7fffffff, v12
	v_cmp_gt_u64_e32 vcc, s[56:57], v[14:15]
	v_and_b32_sdwa v9, v12, s48 dst_sel:DWORD dst_unused:UNUSED_PAD src0_sel:BYTE_3 src1_sel:DWORD
                                        ; implicit-def: $vgpr8
	s_and_saveexec_b64 s[20:21], vcc
	s_xor_b64 s[88:89], exec, s[20:21]
	s_cbranch_execz .LBB4_9134
; %bb.9121:                             ;   in Loop: Header=BB4_9082 Depth=2
	v_cmp_ne_u32_e32 vcc, 0, v12
	v_mov_b32_e32 v8, 0
	s_and_saveexec_b64 s[90:91], vcc
	s_cbranch_execz .LBB4_9133
; %bb.9122:                             ;   in Loop: Header=BB4_9082 Depth=2
	v_bfe_u32 v8, v12, 23, 8
	v_and_b32_e32 v13, 0x7fffff, v12
	v_cmp_gt_u32_e64 s[20:21], s49, v8
	v_sub_u32_e32 v12, 0x79, v8
	v_cmp_eq_u32_e32 vcc, 0, v8
	v_cndmask_b32_e64 v12, 0, v12, s[20:21]
	v_cndmask_b32_e32 v18, v12, v47, vcc
	v_or_b32_e32 v14, 0x800000, v13
	v_add_u32_e32 v12, 20, v18
	v_cndmask_b32_e32 v14, v14, v13, vcc
	v_lshlrev_b64 v[12:13], v12, -1
	v_add_u32_e32 v19, 19, v18
	v_lshlrev_b64 v[19:20], v19, 1
	v_bfi_b32 v13, v13, 0, 0
	v_bfi_b32 v12, v12, 0, v14
	v_cmp_eq_u64_e64 s[20:21], v[12:13], v[19:20]
	v_lshrrev_b64 v[12:13], v18, v[14:15]
	v_mov_b32_e32 v14, v13
	v_mov_b32_e32 v13, v12
	s_and_saveexec_b64 s[92:93], s[20:21]
; %bb.9123:                             ;   in Loop: Header=BB4_9082 Depth=2
	v_bfe_u32 v13, v12, 20, 1
	v_add_co_u32_e64 v13, s[20:21], v12, v13
	v_add_co_u32_e64 v13, s[20:21], -1, v13
; %bb.9124:                             ;   in Loop: Header=BB4_9082 Depth=2
	s_or_b64 exec, exec, s[92:93]
	v_add_u32_e32 v8, 0xffffff81, v8
	v_cndmask_b32_e32 v8, v8, v44, vcc
	v_lshrrev_b32_e32 v14, 23, v12
	v_add3_u32 v19, v18, v8, v14
	v_add_u32_e32 v8, 6, v19
	v_and_b32_e32 v13, 0xfffff, v13
	v_add_u32_e32 v14, v13, v12
	v_cmp_ne_u32_e32 vcc, 0, v8
                                        ; implicit-def: $vgpr12_vgpr13
                                        ; implicit-def: $vgpr18
	s_and_saveexec_b64 s[20:21], vcc
	s_xor_b64 s[20:21], exec, s[20:21]
; %bb.9125:                             ;   in Loop: Header=BB4_9082 Depth=2
	v_cmp_lt_u64_e32 vcc, s[58:59], v[14:15]
	v_add_u32_e32 v12, 7, v19
	v_cndmask_b32_e32 v18, v8, v12, vcc
	v_cndmask_b32_e64 v8, 0, 1, vcc
	v_lshrrev_b64 v[12:13], v8, v[14:15]
; %bb.9126:                             ;   in Loop: Header=BB4_9082 Depth=2
	s_andn2_saveexec_b64 s[20:21], s[20:21]
; %bb.9127:                             ;   in Loop: Header=BB4_9082 Depth=2
	v_mov_b32_e32 v12, v14
	v_bfe_u32 v18, v14, 23, 1
	v_mov_b32_e32 v13, v15
; %bb.9128:                             ;   in Loop: Header=BB4_9082 Depth=2
	s_or_b64 exec, exec, s[20:21]
	v_lshrrev_b64 v[12:13], 20, v[12:13]
	v_cmp_gt_i32_e32 vcc, 16, v18
	v_cndmask_b32_e32 v13, 0, v13, vcc
	v_cndmask_b32_e32 v12, 7, v12, vcc
	v_cmp_ne_u64_e32 vcc, 0, v[12:13]
	v_cmp_ne_u32_e64 s[20:21], 0, v18
	s_or_b64 s[20:21], s[20:21], vcc
                                        ; implicit-def: $vgpr8
	s_and_saveexec_b64 s[92:93], s[20:21]
	s_xor_b64 s[20:21], exec, s[92:93]
; %bb.9129:                             ;   in Loop: Header=BB4_9082 Depth=2
	v_min_i32_e32 v8, 15, v18
	v_lshl_or_b32 v8, v8, 3, v9
	v_and_or_b32 v8, v12, 7, v8
                                        ; implicit-def: $vgpr9
; %bb.9130:                             ;   in Loop: Header=BB4_9082 Depth=2
	s_andn2_saveexec_b64 s[20:21], s[20:21]
; %bb.9131:                             ;   in Loop: Header=BB4_9082 Depth=2
	v_mov_b32_e32 v8, v9
; %bb.9132:                             ;   in Loop: Header=BB4_9082 Depth=2
	s_or_b64 exec, exec, s[20:21]
.LBB4_9133:                             ;   in Loop: Header=BB4_9082 Depth=2
	s_or_b64 exec, exec, s[90:91]
                                        ; implicit-def: $vgpr9
.LBB4_9134:                             ;   in Loop: Header=BB4_9082 Depth=2
	s_andn2_saveexec_b64 s[20:21], s[88:89]
; %bb.9135:                             ;   in Loop: Header=BB4_9082 Depth=2
	v_or_b32_e32 v8, 0x7e, v9
; %bb.9136:                             ;   in Loop: Header=BB4_9082 Depth=2
	s_or_b64 exec, exec, s[20:21]
                                        ; implicit-def: $vgpr12
.LBB4_9137:                             ;   in Loop: Header=BB4_9082 Depth=2
	s_andn2_saveexec_b64 s[20:21], s[78:79]
; %bb.9138:                             ;   in Loop: Header=BB4_9082 Depth=2
	v_or_b32_sdwa v8, v12, s39 dst_sel:DWORD dst_unused:UNUSED_PAD src0_sel:BYTE_3 src1_sel:DWORD
; %bb.9139:                             ;   in Loop: Header=BB4_9082 Depth=2
	s_or_b64 exec, exec, s[20:21]
	flat_load_ubyte v9, v[10:11] offset:128 glc slc
	v_mov_b32_e32 v13, 0
	s_waitcnt vmcnt(0) lgkmcnt(0)
	v_cmp_ne_u16_e32 vcc, 0, v9
	s_and_saveexec_b64 s[20:21], vcc
	s_cbranch_execz .LBB4_9145
; %bb.9140:                             ;   in Loop: Header=BB4_9082 Depth=2
	v_cmp_ne_u16_e32 vcc, s48, v9
	v_bfrev_b32_e32 v13, 1
	s_and_saveexec_b64 s[78:79], vcc
	s_cbranch_execz .LBB4_9144
; %bb.9141:                             ;   in Loop: Header=BB4_9082 Depth=2
	v_and_b32_e32 v12, 0xffff, v9
	v_and_b32_e32 v14, 0x7f, v12
	v_cmp_ne_u32_e32 vcc, s39, v14
	v_mov_b32_e32 v13, 0x7f800001
	s_and_saveexec_b64 s[88:89], vcc
	s_cbranch_execz .LBB4_9143
; %bb.9142:                             ;   in Loop: Header=BB4_9082 Depth=2
	v_and_b32_e32 v18, 7, v12
	v_ffbh_u32_e32 v13, v18
	v_lshrrev_b32_e32 v19, 3, v14
	v_cmp_gt_u32_e32 vcc, 8, v14
	v_min_u32_e32 v14, 32, v13
	v_subrev_u32_e32 v13, 28, v14
	v_lshlrev_b64 v[12:13], v13, v[12:13]
	v_sub_u32_e32 v13, 29, v14
	v_and_b32_e32 v12, 7, v12
	v_cndmask_b32_e32 v13, v19, v13, vcc
	v_cndmask_b32_e32 v12, v18, v12, vcc
	v_lshlrev_b32_e32 v9, 24, v9
	v_bfrev_b32_e32 v14, 60
	v_lshlrev_b32_e32 v12, 20, v12
	v_and_b32_e32 v9, 0x80000000, v9
	v_lshl_add_u32 v13, v13, 23, v14
	v_or3_b32 v13, v9, v13, v12
.LBB4_9143:                             ;   in Loop: Header=BB4_9082 Depth=2
	s_or_b64 exec, exec, s[88:89]
.LBB4_9144:                             ;   in Loop: Header=BB4_9082 Depth=2
	s_or_b64 exec, exec, s[78:79]
.LBB4_9145:                             ;   in Loop: Header=BB4_9082 Depth=2
	s_or_b64 exec, exec, s[20:21]
	v_mul_f32_e32 v12, s94, v13
	v_and_b32_e32 v14, 0x7f800000, v12
	v_cmp_ne_u64_e32 vcc, s[46:47], v[14:15]
                                        ; implicit-def: $vgpr9
	s_and_saveexec_b64 s[20:21], vcc
	s_xor_b64 s[78:79], exec, s[20:21]
	s_cbranch_execz .LBB4_9163
; %bb.9146:                             ;   in Loop: Header=BB4_9082 Depth=2
	v_and_b32_e32 v14, 0x7fffffff, v12
	v_cmp_gt_u64_e32 vcc, s[56:57], v[14:15]
	v_and_b32_sdwa v18, v12, s48 dst_sel:DWORD dst_unused:UNUSED_PAD src0_sel:BYTE_3 src1_sel:DWORD
                                        ; implicit-def: $vgpr9
	s_and_saveexec_b64 s[20:21], vcc
	s_xor_b64 s[88:89], exec, s[20:21]
	s_cbranch_execz .LBB4_9160
; %bb.9147:                             ;   in Loop: Header=BB4_9082 Depth=2
	v_cmp_ne_u32_e32 vcc, 0, v12
	v_mov_b32_e32 v9, 0
	s_and_saveexec_b64 s[90:91], vcc
	s_cbranch_execz .LBB4_9159
; %bb.9148:                             ;   in Loop: Header=BB4_9082 Depth=2
	v_bfe_u32 v9, v12, 23, 8
	v_and_b32_e32 v13, 0x7fffff, v12
	v_cmp_gt_u32_e64 s[20:21], s49, v9
	v_sub_u32_e32 v12, 0x79, v9
	v_cmp_eq_u32_e32 vcc, 0, v9
	v_cndmask_b32_e64 v12, 0, v12, s[20:21]
	v_cndmask_b32_e32 v19, v12, v47, vcc
	v_or_b32_e32 v14, 0x800000, v13
	v_add_u32_e32 v12, 20, v19
	v_cndmask_b32_e32 v14, v14, v13, vcc
	v_lshlrev_b64 v[12:13], v12, -1
	v_add_u32_e32 v20, 19, v19
	v_lshlrev_b64 v[20:21], v20, 1
	v_bfi_b32 v13, v13, 0, 0
	v_bfi_b32 v12, v12, 0, v14
	v_cmp_eq_u64_e64 s[20:21], v[12:13], v[20:21]
	v_lshrrev_b64 v[12:13], v19, v[14:15]
	v_mov_b32_e32 v14, v13
	v_mov_b32_e32 v13, v12
	s_and_saveexec_b64 s[92:93], s[20:21]
; %bb.9149:                             ;   in Loop: Header=BB4_9082 Depth=2
	v_bfe_u32 v13, v12, 20, 1
	v_add_co_u32_e64 v13, s[20:21], v12, v13
	v_add_co_u32_e64 v13, s[20:21], -1, v13
; %bb.9150:                             ;   in Loop: Header=BB4_9082 Depth=2
	s_or_b64 exec, exec, s[92:93]
	v_add_u32_e32 v9, 0xffffff81, v9
	v_cndmask_b32_e32 v9, v9, v44, vcc
	v_lshrrev_b32_e32 v14, 23, v12
	v_add3_u32 v20, v19, v9, v14
	v_add_u32_e32 v9, 6, v20
	v_and_b32_e32 v13, 0xfffff, v13
	v_add_u32_e32 v14, v13, v12
	v_cmp_ne_u32_e32 vcc, 0, v9
                                        ; implicit-def: $vgpr12_vgpr13
                                        ; implicit-def: $vgpr19
	s_and_saveexec_b64 s[20:21], vcc
	s_xor_b64 s[20:21], exec, s[20:21]
; %bb.9151:                             ;   in Loop: Header=BB4_9082 Depth=2
	v_cmp_lt_u64_e32 vcc, s[58:59], v[14:15]
	v_add_u32_e32 v12, 7, v20
	v_cndmask_b32_e32 v19, v9, v12, vcc
	v_cndmask_b32_e64 v9, 0, 1, vcc
	v_lshrrev_b64 v[12:13], v9, v[14:15]
; %bb.9152:                             ;   in Loop: Header=BB4_9082 Depth=2
	s_andn2_saveexec_b64 s[20:21], s[20:21]
; %bb.9153:                             ;   in Loop: Header=BB4_9082 Depth=2
	v_mov_b32_e32 v12, v14
	v_bfe_u32 v19, v14, 23, 1
	v_mov_b32_e32 v13, v15
; %bb.9154:                             ;   in Loop: Header=BB4_9082 Depth=2
	s_or_b64 exec, exec, s[20:21]
	v_lshrrev_b64 v[12:13], 20, v[12:13]
	v_cmp_gt_i32_e32 vcc, 16, v19
	v_cndmask_b32_e32 v13, 0, v13, vcc
	v_cndmask_b32_e32 v12, 7, v12, vcc
	v_cmp_ne_u64_e32 vcc, 0, v[12:13]
	v_cmp_ne_u32_e64 s[20:21], 0, v19
	s_or_b64 s[20:21], s[20:21], vcc
                                        ; implicit-def: $vgpr9
	s_and_saveexec_b64 s[92:93], s[20:21]
	s_xor_b64 s[20:21], exec, s[92:93]
; %bb.9155:                             ;   in Loop: Header=BB4_9082 Depth=2
	v_min_i32_e32 v9, 15, v19
	v_lshl_or_b32 v9, v9, 3, v18
	v_and_or_b32 v9, v12, 7, v9
                                        ; implicit-def: $vgpr18
; %bb.9156:                             ;   in Loop: Header=BB4_9082 Depth=2
	s_andn2_saveexec_b64 s[20:21], s[20:21]
; %bb.9157:                             ;   in Loop: Header=BB4_9082 Depth=2
	v_mov_b32_e32 v9, v18
; %bb.9158:                             ;   in Loop: Header=BB4_9082 Depth=2
	s_or_b64 exec, exec, s[20:21]
.LBB4_9159:                             ;   in Loop: Header=BB4_9082 Depth=2
	s_or_b64 exec, exec, s[90:91]
                                        ; implicit-def: $vgpr18
.LBB4_9160:                             ;   in Loop: Header=BB4_9082 Depth=2
	s_andn2_saveexec_b64 s[20:21], s[88:89]
; %bb.9161:                             ;   in Loop: Header=BB4_9082 Depth=2
	v_or_b32_e32 v9, 0x7e, v18
; %bb.9162:                             ;   in Loop: Header=BB4_9082 Depth=2
	s_or_b64 exec, exec, s[20:21]
                                        ; implicit-def: $vgpr12
.LBB4_9163:                             ;   in Loop: Header=BB4_9082 Depth=2
	s_andn2_saveexec_b64 s[20:21], s[78:79]
; %bb.9164:                             ;   in Loop: Header=BB4_9082 Depth=2
	v_or_b32_sdwa v9, v12, s39 dst_sel:DWORD dst_unused:UNUSED_PAD src0_sel:BYTE_3 src1_sel:DWORD
; %bb.9165:                             ;   in Loop: Header=BB4_9082 Depth=2
	s_or_b64 exec, exec, s[20:21]
	flat_load_ubyte v13, v[10:11] offset:192 glc slc
	v_mov_b32_e32 v14, 0
	s_waitcnt vmcnt(0) lgkmcnt(0)
	v_cmp_ne_u16_e32 vcc, 0, v13
	s_and_saveexec_b64 s[20:21], vcc
	s_cbranch_execz .LBB4_9171
; %bb.9166:                             ;   in Loop: Header=BB4_9082 Depth=2
	v_cmp_ne_u16_e32 vcc, s48, v13
	v_bfrev_b32_e32 v14, 1
	s_and_saveexec_b64 s[78:79], vcc
	s_cbranch_execz .LBB4_9170
; %bb.9167:                             ;   in Loop: Header=BB4_9082 Depth=2
	v_and_b32_e32 v12, 0xffff, v13
	v_and_b32_e32 v18, 0x7f, v12
	v_cmp_ne_u32_e32 vcc, s39, v18
	v_mov_b32_e32 v14, 0x7f800001
	s_and_saveexec_b64 s[88:89], vcc
	s_cbranch_execz .LBB4_9169
; %bb.9168:                             ;   in Loop: Header=BB4_9082 Depth=2
	v_and_b32_e32 v14, 7, v12
	v_lshrrev_b32_e32 v20, 3, v18
	v_cmp_gt_u32_e32 vcc, 8, v18
	v_ffbh_u32_e32 v18, v14
	v_min_u32_e32 v21, 32, v18
	v_subrev_u32_e32 v18, 28, v21
	v_lshlrev_b64 v[18:19], v18, v[12:13]
	v_sub_u32_e32 v12, 29, v21
	v_and_b32_e32 v18, 7, v18
	v_cndmask_b32_e32 v12, v20, v12, vcc
	v_cndmask_b32_e32 v14, v14, v18, vcc
	v_lshlrev_b32_e32 v13, 24, v13
	v_bfrev_b32_e32 v18, 60
	v_lshlrev_b32_e32 v14, 20, v14
	v_and_b32_e32 v13, 0x80000000, v13
	v_lshl_add_u32 v12, v12, 23, v18
	v_or3_b32 v14, v13, v12, v14
.LBB4_9169:                             ;   in Loop: Header=BB4_9082 Depth=2
	s_or_b64 exec, exec, s[88:89]
.LBB4_9170:                             ;   in Loop: Header=BB4_9082 Depth=2
	s_or_b64 exec, exec, s[78:79]
.LBB4_9171:                             ;   in Loop: Header=BB4_9082 Depth=2
	s_or_b64 exec, exec, s[20:21]
	v_mul_f32_e32 v12, s94, v14
	v_and_b32_e32 v14, 0x7f800000, v12
	v_cmp_ne_u64_e32 vcc, s[46:47], v[14:15]
                                        ; implicit-def: $vgpr18
	s_and_saveexec_b64 s[20:21], vcc
	s_xor_b64 s[78:79], exec, s[20:21]
	s_cbranch_execz .LBB4_9189
; %bb.9172:                             ;   in Loop: Header=BB4_9082 Depth=2
	v_and_b32_e32 v14, 0x7fffffff, v12
	v_cmp_gt_u64_e32 vcc, s[56:57], v[14:15]
	v_and_b32_sdwa v19, v12, s48 dst_sel:DWORD dst_unused:UNUSED_PAD src0_sel:BYTE_3 src1_sel:DWORD
                                        ; implicit-def: $vgpr18
	s_and_saveexec_b64 s[20:21], vcc
	s_xor_b64 s[88:89], exec, s[20:21]
	s_cbranch_execz .LBB4_9186
; %bb.9173:                             ;   in Loop: Header=BB4_9082 Depth=2
	v_cmp_ne_u32_e32 vcc, 0, v12
	v_mov_b32_e32 v18, 0
	s_and_saveexec_b64 s[90:91], vcc
	s_cbranch_execz .LBB4_9185
; %bb.9174:                             ;   in Loop: Header=BB4_9082 Depth=2
	v_bfe_u32 v18, v12, 23, 8
	v_and_b32_e32 v13, 0x7fffff, v12
	v_cmp_gt_u32_e64 s[20:21], s49, v18
	v_sub_u32_e32 v12, 0x79, v18
	v_cmp_eq_u32_e32 vcc, 0, v18
	v_cndmask_b32_e64 v12, 0, v12, s[20:21]
	v_cndmask_b32_e32 v20, v12, v47, vcc
	v_or_b32_e32 v14, 0x800000, v13
	v_add_u32_e32 v12, 20, v20
	v_cndmask_b32_e32 v14, v14, v13, vcc
	v_lshlrev_b64 v[12:13], v12, -1
	v_add_u32_e32 v21, 19, v20
	v_lshlrev_b64 v[21:22], v21, 1
	v_bfi_b32 v13, v13, 0, 0
	v_bfi_b32 v12, v12, 0, v14
	v_cmp_eq_u64_e64 s[20:21], v[12:13], v[21:22]
	v_lshrrev_b64 v[12:13], v20, v[14:15]
	v_mov_b32_e32 v14, v13
	v_mov_b32_e32 v13, v12
	s_and_saveexec_b64 s[92:93], s[20:21]
; %bb.9175:                             ;   in Loop: Header=BB4_9082 Depth=2
	v_bfe_u32 v13, v12, 20, 1
	v_add_co_u32_e64 v13, s[20:21], v12, v13
	v_add_co_u32_e64 v13, s[20:21], -1, v13
; %bb.9176:                             ;   in Loop: Header=BB4_9082 Depth=2
	s_or_b64 exec, exec, s[92:93]
	v_add_u32_e32 v14, 0xffffff81, v18
	v_cndmask_b32_e32 v14, v14, v44, vcc
	v_lshrrev_b32_e32 v18, 23, v12
	v_add3_u32 v21, v20, v14, v18
	v_add_u32_e32 v18, 6, v21
	v_and_b32_e32 v13, 0xfffff, v13
	v_add_u32_e32 v14, v13, v12
	v_cmp_ne_u32_e32 vcc, 0, v18
                                        ; implicit-def: $vgpr12_vgpr13
                                        ; implicit-def: $vgpr20
	s_and_saveexec_b64 s[20:21], vcc
	s_xor_b64 s[20:21], exec, s[20:21]
; %bb.9177:                             ;   in Loop: Header=BB4_9082 Depth=2
	v_cmp_lt_u64_e32 vcc, s[58:59], v[14:15]
	v_add_u32_e32 v12, 7, v21
	v_cndmask_b32_e32 v20, v18, v12, vcc
	v_cndmask_b32_e64 v12, 0, 1, vcc
	v_lshrrev_b64 v[12:13], v12, v[14:15]
; %bb.9178:                             ;   in Loop: Header=BB4_9082 Depth=2
	s_andn2_saveexec_b64 s[20:21], s[20:21]
; %bb.9179:                             ;   in Loop: Header=BB4_9082 Depth=2
	v_mov_b32_e32 v12, v14
	v_bfe_u32 v20, v14, 23, 1
	v_mov_b32_e32 v13, v15
; %bb.9180:                             ;   in Loop: Header=BB4_9082 Depth=2
	s_or_b64 exec, exec, s[20:21]
	v_lshrrev_b64 v[12:13], 20, v[12:13]
	v_cmp_gt_i32_e32 vcc, 16, v20
	v_cndmask_b32_e32 v13, 0, v13, vcc
	v_cndmask_b32_e32 v12, 7, v12, vcc
	v_cmp_ne_u64_e32 vcc, 0, v[12:13]
	v_cmp_ne_u32_e64 s[20:21], 0, v20
	s_or_b64 s[20:21], s[20:21], vcc
                                        ; implicit-def: $vgpr18
	s_and_saveexec_b64 s[92:93], s[20:21]
	s_xor_b64 s[20:21], exec, s[92:93]
; %bb.9181:                             ;   in Loop: Header=BB4_9082 Depth=2
	v_min_i32_e32 v13, 15, v20
	v_lshl_or_b32 v13, v13, 3, v19
	v_and_or_b32 v18, v12, 7, v13
                                        ; implicit-def: $vgpr19
; %bb.9182:                             ;   in Loop: Header=BB4_9082 Depth=2
	s_andn2_saveexec_b64 s[20:21], s[20:21]
; %bb.9183:                             ;   in Loop: Header=BB4_9082 Depth=2
	v_mov_b32_e32 v18, v19
; %bb.9184:                             ;   in Loop: Header=BB4_9082 Depth=2
	s_or_b64 exec, exec, s[20:21]
.LBB4_9185:                             ;   in Loop: Header=BB4_9082 Depth=2
	s_or_b64 exec, exec, s[90:91]
                                        ; implicit-def: $vgpr19
.LBB4_9186:                             ;   in Loop: Header=BB4_9082 Depth=2
	s_andn2_saveexec_b64 s[20:21], s[88:89]
; %bb.9187:                             ;   in Loop: Header=BB4_9082 Depth=2
	v_or_b32_e32 v18, 0x7e, v19
; %bb.9188:                             ;   in Loop: Header=BB4_9082 Depth=2
	s_or_b64 exec, exec, s[20:21]
                                        ; implicit-def: $vgpr12
.LBB4_9189:                             ;   in Loop: Header=BB4_9082 Depth=2
	s_andn2_saveexec_b64 s[20:21], s[78:79]
; %bb.9190:                             ;   in Loop: Header=BB4_9082 Depth=2
	v_or_b32_sdwa v18, v12, s39 dst_sel:DWORD dst_unused:UNUSED_PAD src0_sel:BYTE_3 src1_sel:DWORD
; %bb.9191:                             ;   in Loop: Header=BB4_9082 Depth=2
	s_or_b64 exec, exec, s[20:21]
	flat_load_ubyte v13, v[10:11] offset:256 glc slc
	v_mov_b32_e32 v14, 0
	s_waitcnt vmcnt(0) lgkmcnt(0)
	v_cmp_ne_u16_e32 vcc, 0, v13
	s_and_saveexec_b64 s[20:21], vcc
	s_cbranch_execz .LBB4_9197
; %bb.9192:                             ;   in Loop: Header=BB4_9082 Depth=2
	v_cmp_ne_u16_e32 vcc, s48, v13
	v_bfrev_b32_e32 v14, 1
	s_and_saveexec_b64 s[78:79], vcc
	s_cbranch_execz .LBB4_9196
; %bb.9193:                             ;   in Loop: Header=BB4_9082 Depth=2
	v_and_b32_e32 v12, 0xffff, v13
	v_and_b32_e32 v19, 0x7f, v12
	v_cmp_ne_u32_e32 vcc, s39, v19
	v_mov_b32_e32 v14, 0x7f800001
	s_and_saveexec_b64 s[88:89], vcc
	s_cbranch_execz .LBB4_9195
; %bb.9194:                             ;   in Loop: Header=BB4_9082 Depth=2
	v_and_b32_e32 v14, 7, v12
	v_lshrrev_b32_e32 v21, 3, v19
	v_cmp_gt_u32_e32 vcc, 8, v19
	v_ffbh_u32_e32 v19, v14
	v_min_u32_e32 v22, 32, v19
	v_subrev_u32_e32 v19, 28, v22
	v_lshlrev_b64 v[19:20], v19, v[12:13]
	v_sub_u32_e32 v12, 29, v22
	v_and_b32_e32 v19, 7, v19
	v_cndmask_b32_e32 v12, v21, v12, vcc
	v_cndmask_b32_e32 v14, v14, v19, vcc
	v_lshlrev_b32_e32 v13, 24, v13
	v_bfrev_b32_e32 v19, 60
	v_lshlrev_b32_e32 v14, 20, v14
	v_and_b32_e32 v13, 0x80000000, v13
	v_lshl_add_u32 v12, v12, 23, v19
	v_or3_b32 v14, v13, v12, v14
.LBB4_9195:                             ;   in Loop: Header=BB4_9082 Depth=2
	s_or_b64 exec, exec, s[88:89]
.LBB4_9196:                             ;   in Loop: Header=BB4_9082 Depth=2
	s_or_b64 exec, exec, s[78:79]
.LBB4_9197:                             ;   in Loop: Header=BB4_9082 Depth=2
	s_or_b64 exec, exec, s[20:21]
	v_mul_f32_e32 v12, s94, v14
	v_and_b32_e32 v14, 0x7f800000, v12
	v_cmp_ne_u64_e32 vcc, s[46:47], v[14:15]
                                        ; implicit-def: $vgpr19
	s_and_saveexec_b64 s[20:21], vcc
	s_xor_b64 s[78:79], exec, s[20:21]
	s_cbranch_execz .LBB4_9215
; %bb.9198:                             ;   in Loop: Header=BB4_9082 Depth=2
	v_and_b32_e32 v14, 0x7fffffff, v12
	v_cmp_gt_u64_e32 vcc, s[56:57], v[14:15]
	v_and_b32_sdwa v20, v12, s48 dst_sel:DWORD dst_unused:UNUSED_PAD src0_sel:BYTE_3 src1_sel:DWORD
                                        ; implicit-def: $vgpr19
	s_and_saveexec_b64 s[20:21], vcc
	s_xor_b64 s[88:89], exec, s[20:21]
	s_cbranch_execz .LBB4_9212
; %bb.9199:                             ;   in Loop: Header=BB4_9082 Depth=2
	v_cmp_ne_u32_e32 vcc, 0, v12
	v_mov_b32_e32 v19, 0
	s_and_saveexec_b64 s[90:91], vcc
	s_cbranch_execz .LBB4_9211
; %bb.9200:                             ;   in Loop: Header=BB4_9082 Depth=2
	v_bfe_u32 v19, v12, 23, 8
	v_and_b32_e32 v13, 0x7fffff, v12
	v_cmp_gt_u32_e64 s[20:21], s49, v19
	v_sub_u32_e32 v12, 0x79, v19
	v_cmp_eq_u32_e32 vcc, 0, v19
	v_cndmask_b32_e64 v12, 0, v12, s[20:21]
	v_cndmask_b32_e32 v21, v12, v47, vcc
	v_or_b32_e32 v14, 0x800000, v13
	v_add_u32_e32 v12, 20, v21
	v_cndmask_b32_e32 v14, v14, v13, vcc
	v_lshlrev_b64 v[12:13], v12, -1
	v_add_u32_e32 v22, 19, v21
	v_lshlrev_b64 v[22:23], v22, 1
	v_bfi_b32 v13, v13, 0, 0
	v_bfi_b32 v12, v12, 0, v14
	v_cmp_eq_u64_e64 s[20:21], v[12:13], v[22:23]
	v_lshrrev_b64 v[12:13], v21, v[14:15]
	v_mov_b32_e32 v14, v13
	v_mov_b32_e32 v13, v12
	s_and_saveexec_b64 s[92:93], s[20:21]
; %bb.9201:                             ;   in Loop: Header=BB4_9082 Depth=2
	v_bfe_u32 v13, v12, 20, 1
	v_add_co_u32_e64 v13, s[20:21], v12, v13
	v_add_co_u32_e64 v13, s[20:21], -1, v13
; %bb.9202:                             ;   in Loop: Header=BB4_9082 Depth=2
	s_or_b64 exec, exec, s[92:93]
	v_add_u32_e32 v14, 0xffffff81, v19
	v_cndmask_b32_e32 v14, v14, v44, vcc
	v_lshrrev_b32_e32 v19, 23, v12
	v_add3_u32 v22, v21, v14, v19
	v_add_u32_e32 v19, 6, v22
	v_and_b32_e32 v13, 0xfffff, v13
	v_add_u32_e32 v14, v13, v12
	v_cmp_ne_u32_e32 vcc, 0, v19
                                        ; implicit-def: $vgpr12_vgpr13
                                        ; implicit-def: $vgpr21
	s_and_saveexec_b64 s[20:21], vcc
	s_xor_b64 s[20:21], exec, s[20:21]
; %bb.9203:                             ;   in Loop: Header=BB4_9082 Depth=2
	v_cmp_lt_u64_e32 vcc, s[58:59], v[14:15]
	v_add_u32_e32 v12, 7, v22
	v_cndmask_b32_e32 v21, v19, v12, vcc
	v_cndmask_b32_e64 v12, 0, 1, vcc
	v_lshrrev_b64 v[12:13], v12, v[14:15]
; %bb.9204:                             ;   in Loop: Header=BB4_9082 Depth=2
	s_andn2_saveexec_b64 s[20:21], s[20:21]
; %bb.9205:                             ;   in Loop: Header=BB4_9082 Depth=2
	v_mov_b32_e32 v12, v14
	v_bfe_u32 v21, v14, 23, 1
	v_mov_b32_e32 v13, v15
; %bb.9206:                             ;   in Loop: Header=BB4_9082 Depth=2
	s_or_b64 exec, exec, s[20:21]
	v_lshrrev_b64 v[12:13], 20, v[12:13]
	v_cmp_gt_i32_e32 vcc, 16, v21
	v_cndmask_b32_e32 v13, 0, v13, vcc
	v_cndmask_b32_e32 v12, 7, v12, vcc
	v_cmp_ne_u64_e32 vcc, 0, v[12:13]
	v_cmp_ne_u32_e64 s[20:21], 0, v21
	s_or_b64 s[20:21], s[20:21], vcc
                                        ; implicit-def: $vgpr19
	s_and_saveexec_b64 s[92:93], s[20:21]
	s_xor_b64 s[20:21], exec, s[92:93]
; %bb.9207:                             ;   in Loop: Header=BB4_9082 Depth=2
	v_min_i32_e32 v13, 15, v21
	v_lshl_or_b32 v13, v13, 3, v20
	v_and_or_b32 v19, v12, 7, v13
                                        ; implicit-def: $vgpr20
; %bb.9208:                             ;   in Loop: Header=BB4_9082 Depth=2
	s_andn2_saveexec_b64 s[20:21], s[20:21]
; %bb.9209:                             ;   in Loop: Header=BB4_9082 Depth=2
	v_mov_b32_e32 v19, v20
; %bb.9210:                             ;   in Loop: Header=BB4_9082 Depth=2
	s_or_b64 exec, exec, s[20:21]
.LBB4_9211:                             ;   in Loop: Header=BB4_9082 Depth=2
	s_or_b64 exec, exec, s[90:91]
                                        ; implicit-def: $vgpr20
.LBB4_9212:                             ;   in Loop: Header=BB4_9082 Depth=2
	s_andn2_saveexec_b64 s[20:21], s[88:89]
; %bb.9213:                             ;   in Loop: Header=BB4_9082 Depth=2
	v_or_b32_e32 v19, 0x7e, v20
; %bb.9214:                             ;   in Loop: Header=BB4_9082 Depth=2
	s_or_b64 exec, exec, s[20:21]
                                        ; implicit-def: $vgpr12
.LBB4_9215:                             ;   in Loop: Header=BB4_9082 Depth=2
	s_andn2_saveexec_b64 s[20:21], s[78:79]
; %bb.9216:                             ;   in Loop: Header=BB4_9082 Depth=2
	v_or_b32_sdwa v19, v12, s39 dst_sel:DWORD dst_unused:UNUSED_PAD src0_sel:BYTE_3 src1_sel:DWORD
; %bb.9217:                             ;   in Loop: Header=BB4_9082 Depth=2
	s_or_b64 exec, exec, s[20:21]
	flat_load_ubyte v13, v[10:11] offset:320 glc slc
	v_mov_b32_e32 v14, 0
	s_waitcnt vmcnt(0) lgkmcnt(0)
	v_cmp_ne_u16_e32 vcc, 0, v13
	s_and_saveexec_b64 s[20:21], vcc
	s_cbranch_execz .LBB4_9223
; %bb.9218:                             ;   in Loop: Header=BB4_9082 Depth=2
	v_cmp_ne_u16_e32 vcc, s48, v13
	v_bfrev_b32_e32 v14, 1
	s_and_saveexec_b64 s[78:79], vcc
	s_cbranch_execz .LBB4_9222
; %bb.9219:                             ;   in Loop: Header=BB4_9082 Depth=2
	v_and_b32_e32 v12, 0xffff, v13
	v_and_b32_e32 v20, 0x7f, v12
	v_cmp_ne_u32_e32 vcc, s39, v20
	v_mov_b32_e32 v14, 0x7f800001
	s_and_saveexec_b64 s[88:89], vcc
	s_cbranch_execz .LBB4_9221
; %bb.9220:                             ;   in Loop: Header=BB4_9082 Depth=2
	v_and_b32_e32 v14, 7, v12
	v_lshrrev_b32_e32 v22, 3, v20
	v_cmp_gt_u32_e32 vcc, 8, v20
	v_ffbh_u32_e32 v20, v14
	v_min_u32_e32 v23, 32, v20
	v_subrev_u32_e32 v20, 28, v23
	v_lshlrev_b64 v[20:21], v20, v[12:13]
	v_sub_u32_e32 v12, 29, v23
	v_and_b32_e32 v20, 7, v20
	v_cndmask_b32_e32 v12, v22, v12, vcc
	v_cndmask_b32_e32 v14, v14, v20, vcc
	v_lshlrev_b32_e32 v13, 24, v13
	v_bfrev_b32_e32 v20, 60
	v_lshlrev_b32_e32 v14, 20, v14
	v_and_b32_e32 v13, 0x80000000, v13
	v_lshl_add_u32 v12, v12, 23, v20
	v_or3_b32 v14, v13, v12, v14
.LBB4_9221:                             ;   in Loop: Header=BB4_9082 Depth=2
	s_or_b64 exec, exec, s[88:89]
.LBB4_9222:                             ;   in Loop: Header=BB4_9082 Depth=2
	s_or_b64 exec, exec, s[78:79]
.LBB4_9223:                             ;   in Loop: Header=BB4_9082 Depth=2
	s_or_b64 exec, exec, s[20:21]
	v_mul_f32_e32 v12, s94, v14
	v_and_b32_e32 v14, 0x7f800000, v12
	v_cmp_ne_u64_e32 vcc, s[46:47], v[14:15]
                                        ; implicit-def: $vgpr20
	s_and_saveexec_b64 s[20:21], vcc
	s_xor_b64 s[78:79], exec, s[20:21]
	s_cbranch_execz .LBB4_9241
; %bb.9224:                             ;   in Loop: Header=BB4_9082 Depth=2
	v_and_b32_e32 v14, 0x7fffffff, v12
	v_cmp_gt_u64_e32 vcc, s[56:57], v[14:15]
	v_and_b32_sdwa v21, v12, s48 dst_sel:DWORD dst_unused:UNUSED_PAD src0_sel:BYTE_3 src1_sel:DWORD
                                        ; implicit-def: $vgpr20
	s_and_saveexec_b64 s[20:21], vcc
	s_xor_b64 s[88:89], exec, s[20:21]
	s_cbranch_execz .LBB4_9238
; %bb.9225:                             ;   in Loop: Header=BB4_9082 Depth=2
	v_cmp_ne_u32_e32 vcc, 0, v12
	v_mov_b32_e32 v20, 0
	s_and_saveexec_b64 s[90:91], vcc
	s_cbranch_execz .LBB4_9237
; %bb.9226:                             ;   in Loop: Header=BB4_9082 Depth=2
	v_bfe_u32 v20, v12, 23, 8
	v_and_b32_e32 v13, 0x7fffff, v12
	v_cmp_gt_u32_e64 s[20:21], s49, v20
	v_sub_u32_e32 v12, 0x79, v20
	v_cmp_eq_u32_e32 vcc, 0, v20
	v_cndmask_b32_e64 v12, 0, v12, s[20:21]
	v_cndmask_b32_e32 v22, v12, v47, vcc
	v_or_b32_e32 v14, 0x800000, v13
	v_add_u32_e32 v12, 20, v22
	v_cndmask_b32_e32 v14, v14, v13, vcc
	v_lshlrev_b64 v[12:13], v12, -1
	v_add_u32_e32 v23, 19, v22
	v_lshlrev_b64 v[23:24], v23, 1
	v_bfi_b32 v13, v13, 0, 0
	v_bfi_b32 v12, v12, 0, v14
	v_cmp_eq_u64_e64 s[20:21], v[12:13], v[23:24]
	v_lshrrev_b64 v[12:13], v22, v[14:15]
	v_mov_b32_e32 v14, v13
	v_mov_b32_e32 v13, v12
	s_and_saveexec_b64 s[92:93], s[20:21]
; %bb.9227:                             ;   in Loop: Header=BB4_9082 Depth=2
	v_bfe_u32 v13, v12, 20, 1
	v_add_co_u32_e64 v13, s[20:21], v12, v13
	v_add_co_u32_e64 v13, s[20:21], -1, v13
; %bb.9228:                             ;   in Loop: Header=BB4_9082 Depth=2
	s_or_b64 exec, exec, s[92:93]
	v_add_u32_e32 v14, 0xffffff81, v20
	v_cndmask_b32_e32 v14, v14, v44, vcc
	v_lshrrev_b32_e32 v20, 23, v12
	v_add3_u32 v23, v22, v14, v20
	v_add_u32_e32 v20, 6, v23
	v_and_b32_e32 v13, 0xfffff, v13
	v_add_u32_e32 v14, v13, v12
	v_cmp_ne_u32_e32 vcc, 0, v20
                                        ; implicit-def: $vgpr12_vgpr13
                                        ; implicit-def: $vgpr22
	s_and_saveexec_b64 s[20:21], vcc
	s_xor_b64 s[20:21], exec, s[20:21]
; %bb.9229:                             ;   in Loop: Header=BB4_9082 Depth=2
	v_cmp_lt_u64_e32 vcc, s[58:59], v[14:15]
	v_add_u32_e32 v12, 7, v23
	v_cndmask_b32_e32 v22, v20, v12, vcc
	v_cndmask_b32_e64 v12, 0, 1, vcc
	v_lshrrev_b64 v[12:13], v12, v[14:15]
; %bb.9230:                             ;   in Loop: Header=BB4_9082 Depth=2
	s_andn2_saveexec_b64 s[20:21], s[20:21]
; %bb.9231:                             ;   in Loop: Header=BB4_9082 Depth=2
	v_mov_b32_e32 v12, v14
	v_bfe_u32 v22, v14, 23, 1
	v_mov_b32_e32 v13, v15
; %bb.9232:                             ;   in Loop: Header=BB4_9082 Depth=2
	s_or_b64 exec, exec, s[20:21]
	v_lshrrev_b64 v[12:13], 20, v[12:13]
	v_cmp_gt_i32_e32 vcc, 16, v22
	v_cndmask_b32_e32 v13, 0, v13, vcc
	v_cndmask_b32_e32 v12, 7, v12, vcc
	v_cmp_ne_u64_e32 vcc, 0, v[12:13]
	v_cmp_ne_u32_e64 s[20:21], 0, v22
	s_or_b64 s[20:21], s[20:21], vcc
                                        ; implicit-def: $vgpr20
	s_and_saveexec_b64 s[92:93], s[20:21]
	s_xor_b64 s[20:21], exec, s[92:93]
; %bb.9233:                             ;   in Loop: Header=BB4_9082 Depth=2
	v_min_i32_e32 v13, 15, v22
	v_lshl_or_b32 v13, v13, 3, v21
	v_and_or_b32 v20, v12, 7, v13
                                        ; implicit-def: $vgpr21
; %bb.9234:                             ;   in Loop: Header=BB4_9082 Depth=2
	s_andn2_saveexec_b64 s[20:21], s[20:21]
; %bb.9235:                             ;   in Loop: Header=BB4_9082 Depth=2
	v_mov_b32_e32 v20, v21
; %bb.9236:                             ;   in Loop: Header=BB4_9082 Depth=2
	s_or_b64 exec, exec, s[20:21]
.LBB4_9237:                             ;   in Loop: Header=BB4_9082 Depth=2
	s_or_b64 exec, exec, s[90:91]
                                        ; implicit-def: $vgpr21
.LBB4_9238:                             ;   in Loop: Header=BB4_9082 Depth=2
	s_andn2_saveexec_b64 s[20:21], s[88:89]
; %bb.9239:                             ;   in Loop: Header=BB4_9082 Depth=2
	v_or_b32_e32 v20, 0x7e, v21
; %bb.9240:                             ;   in Loop: Header=BB4_9082 Depth=2
	s_or_b64 exec, exec, s[20:21]
                                        ; implicit-def: $vgpr12
.LBB4_9241:                             ;   in Loop: Header=BB4_9082 Depth=2
	s_andn2_saveexec_b64 s[20:21], s[78:79]
; %bb.9242:                             ;   in Loop: Header=BB4_9082 Depth=2
	v_or_b32_sdwa v20, v12, s39 dst_sel:DWORD dst_unused:UNUSED_PAD src0_sel:BYTE_3 src1_sel:DWORD
; %bb.9243:                             ;   in Loop: Header=BB4_9082 Depth=2
	s_or_b64 exec, exec, s[20:21]
	flat_load_ubyte v13, v[10:11] offset:384 glc slc
	v_mov_b32_e32 v14, 0
	s_waitcnt vmcnt(0) lgkmcnt(0)
	v_cmp_ne_u16_e32 vcc, 0, v13
	s_and_saveexec_b64 s[20:21], vcc
	s_cbranch_execz .LBB4_9249
; %bb.9244:                             ;   in Loop: Header=BB4_9082 Depth=2
	v_cmp_ne_u16_e32 vcc, s48, v13
	v_bfrev_b32_e32 v14, 1
	s_and_saveexec_b64 s[78:79], vcc
	s_cbranch_execz .LBB4_9248
; %bb.9245:                             ;   in Loop: Header=BB4_9082 Depth=2
	v_and_b32_e32 v12, 0xffff, v13
	v_and_b32_e32 v21, 0x7f, v12
	v_cmp_ne_u32_e32 vcc, s39, v21
	v_mov_b32_e32 v14, 0x7f800001
	s_and_saveexec_b64 s[88:89], vcc
	s_cbranch_execz .LBB4_9247
; %bb.9246:                             ;   in Loop: Header=BB4_9082 Depth=2
	v_and_b32_e32 v14, 7, v12
	v_lshrrev_b32_e32 v23, 3, v21
	v_cmp_gt_u32_e32 vcc, 8, v21
	v_ffbh_u32_e32 v21, v14
	v_min_u32_e32 v24, 32, v21
	v_subrev_u32_e32 v21, 28, v24
	v_lshlrev_b64 v[21:22], v21, v[12:13]
	v_sub_u32_e32 v12, 29, v24
	v_and_b32_e32 v21, 7, v21
	v_cndmask_b32_e32 v12, v23, v12, vcc
	v_cndmask_b32_e32 v14, v14, v21, vcc
	v_lshlrev_b32_e32 v13, 24, v13
	v_bfrev_b32_e32 v21, 60
	v_lshlrev_b32_e32 v14, 20, v14
	v_and_b32_e32 v13, 0x80000000, v13
	v_lshl_add_u32 v12, v12, 23, v21
	v_or3_b32 v14, v13, v12, v14
.LBB4_9247:                             ;   in Loop: Header=BB4_9082 Depth=2
	s_or_b64 exec, exec, s[88:89]
.LBB4_9248:                             ;   in Loop: Header=BB4_9082 Depth=2
	s_or_b64 exec, exec, s[78:79]
.LBB4_9249:                             ;   in Loop: Header=BB4_9082 Depth=2
	s_or_b64 exec, exec, s[20:21]
	v_mul_f32_e32 v12, s94, v14
	v_and_b32_e32 v14, 0x7f800000, v12
	v_cmp_ne_u64_e32 vcc, s[46:47], v[14:15]
                                        ; implicit-def: $vgpr21
	s_and_saveexec_b64 s[20:21], vcc
	s_xor_b64 s[78:79], exec, s[20:21]
	s_cbranch_execz .LBB4_9267
; %bb.9250:                             ;   in Loop: Header=BB4_9082 Depth=2
	v_and_b32_e32 v14, 0x7fffffff, v12
	v_cmp_gt_u64_e32 vcc, s[56:57], v[14:15]
	v_and_b32_sdwa v22, v12, s48 dst_sel:DWORD dst_unused:UNUSED_PAD src0_sel:BYTE_3 src1_sel:DWORD
                                        ; implicit-def: $vgpr21
	s_and_saveexec_b64 s[20:21], vcc
	s_xor_b64 s[88:89], exec, s[20:21]
	s_cbranch_execz .LBB4_9264
; %bb.9251:                             ;   in Loop: Header=BB4_9082 Depth=2
	v_cmp_ne_u32_e32 vcc, 0, v12
	v_mov_b32_e32 v21, 0
	s_and_saveexec_b64 s[90:91], vcc
	s_cbranch_execz .LBB4_9263
; %bb.9252:                             ;   in Loop: Header=BB4_9082 Depth=2
	v_bfe_u32 v21, v12, 23, 8
	v_and_b32_e32 v13, 0x7fffff, v12
	v_cmp_gt_u32_e64 s[20:21], s49, v21
	v_sub_u32_e32 v12, 0x79, v21
	v_cmp_eq_u32_e32 vcc, 0, v21
	v_cndmask_b32_e64 v12, 0, v12, s[20:21]
	v_cndmask_b32_e32 v23, v12, v47, vcc
	v_or_b32_e32 v14, 0x800000, v13
	v_add_u32_e32 v12, 20, v23
	v_cndmask_b32_e32 v14, v14, v13, vcc
	v_lshlrev_b64 v[12:13], v12, -1
	v_add_u32_e32 v24, 19, v23
	v_lshlrev_b64 v[24:25], v24, 1
	v_bfi_b32 v13, v13, 0, 0
	v_bfi_b32 v12, v12, 0, v14
	v_cmp_eq_u64_e64 s[20:21], v[12:13], v[24:25]
	v_lshrrev_b64 v[12:13], v23, v[14:15]
	v_mov_b32_e32 v14, v13
	v_mov_b32_e32 v13, v12
	s_and_saveexec_b64 s[92:93], s[20:21]
; %bb.9253:                             ;   in Loop: Header=BB4_9082 Depth=2
	v_bfe_u32 v13, v12, 20, 1
	v_add_co_u32_e64 v13, s[20:21], v12, v13
	v_add_co_u32_e64 v13, s[20:21], -1, v13
; %bb.9254:                             ;   in Loop: Header=BB4_9082 Depth=2
	s_or_b64 exec, exec, s[92:93]
	v_add_u32_e32 v14, 0xffffff81, v21
	v_cndmask_b32_e32 v14, v14, v44, vcc
	v_lshrrev_b32_e32 v21, 23, v12
	v_add3_u32 v24, v23, v14, v21
	v_add_u32_e32 v21, 6, v24
	v_and_b32_e32 v13, 0xfffff, v13
	v_add_u32_e32 v14, v13, v12
	v_cmp_ne_u32_e32 vcc, 0, v21
                                        ; implicit-def: $vgpr12_vgpr13
                                        ; implicit-def: $vgpr23
	s_and_saveexec_b64 s[20:21], vcc
	s_xor_b64 s[20:21], exec, s[20:21]
; %bb.9255:                             ;   in Loop: Header=BB4_9082 Depth=2
	v_cmp_lt_u64_e32 vcc, s[58:59], v[14:15]
	v_add_u32_e32 v12, 7, v24
	v_cndmask_b32_e32 v23, v21, v12, vcc
	v_cndmask_b32_e64 v12, 0, 1, vcc
	v_lshrrev_b64 v[12:13], v12, v[14:15]
; %bb.9256:                             ;   in Loop: Header=BB4_9082 Depth=2
	s_andn2_saveexec_b64 s[20:21], s[20:21]
; %bb.9257:                             ;   in Loop: Header=BB4_9082 Depth=2
	v_mov_b32_e32 v12, v14
	v_bfe_u32 v23, v14, 23, 1
	v_mov_b32_e32 v13, v15
; %bb.9258:                             ;   in Loop: Header=BB4_9082 Depth=2
	s_or_b64 exec, exec, s[20:21]
	v_lshrrev_b64 v[12:13], 20, v[12:13]
	v_cmp_gt_i32_e32 vcc, 16, v23
	v_cndmask_b32_e32 v13, 0, v13, vcc
	v_cndmask_b32_e32 v12, 7, v12, vcc
	v_cmp_ne_u64_e32 vcc, 0, v[12:13]
	v_cmp_ne_u32_e64 s[20:21], 0, v23
	s_or_b64 s[20:21], s[20:21], vcc
                                        ; implicit-def: $vgpr21
	s_and_saveexec_b64 s[92:93], s[20:21]
	s_xor_b64 s[20:21], exec, s[92:93]
; %bb.9259:                             ;   in Loop: Header=BB4_9082 Depth=2
	v_min_i32_e32 v13, 15, v23
	v_lshl_or_b32 v13, v13, 3, v22
	v_and_or_b32 v21, v12, 7, v13
                                        ; implicit-def: $vgpr22
; %bb.9260:                             ;   in Loop: Header=BB4_9082 Depth=2
	s_andn2_saveexec_b64 s[20:21], s[20:21]
; %bb.9261:                             ;   in Loop: Header=BB4_9082 Depth=2
	v_mov_b32_e32 v21, v22
; %bb.9262:                             ;   in Loop: Header=BB4_9082 Depth=2
	s_or_b64 exec, exec, s[20:21]
.LBB4_9263:                             ;   in Loop: Header=BB4_9082 Depth=2
	s_or_b64 exec, exec, s[90:91]
                                        ; implicit-def: $vgpr22
.LBB4_9264:                             ;   in Loop: Header=BB4_9082 Depth=2
	s_andn2_saveexec_b64 s[20:21], s[88:89]
; %bb.9265:                             ;   in Loop: Header=BB4_9082 Depth=2
	v_or_b32_e32 v21, 0x7e, v22
; %bb.9266:                             ;   in Loop: Header=BB4_9082 Depth=2
	s_or_b64 exec, exec, s[20:21]
                                        ; implicit-def: $vgpr12
.LBB4_9267:                             ;   in Loop: Header=BB4_9082 Depth=2
	s_andn2_saveexec_b64 s[20:21], s[78:79]
; %bb.9268:                             ;   in Loop: Header=BB4_9082 Depth=2
	v_or_b32_sdwa v21, v12, s39 dst_sel:DWORD dst_unused:UNUSED_PAD src0_sel:BYTE_3 src1_sel:DWORD
; %bb.9269:                             ;   in Loop: Header=BB4_9082 Depth=2
	s_or_b64 exec, exec, s[20:21]
	flat_load_ubyte v13, v[10:11] offset:448 glc slc
	v_mov_b32_e32 v14, 0
	s_waitcnt vmcnt(0) lgkmcnt(0)
	v_cmp_ne_u16_e32 vcc, 0, v13
	s_and_saveexec_b64 s[20:21], vcc
	s_cbranch_execz .LBB4_9275
; %bb.9270:                             ;   in Loop: Header=BB4_9082 Depth=2
	v_cmp_ne_u16_e32 vcc, s48, v13
	v_bfrev_b32_e32 v14, 1
	s_and_saveexec_b64 s[78:79], vcc
	s_cbranch_execz .LBB4_9274
; %bb.9271:                             ;   in Loop: Header=BB4_9082 Depth=2
	v_and_b32_e32 v12, 0xffff, v13
	v_and_b32_e32 v22, 0x7f, v12
	v_cmp_ne_u32_e32 vcc, s39, v22
	v_mov_b32_e32 v14, 0x7f800001
	s_and_saveexec_b64 s[88:89], vcc
	s_cbranch_execz .LBB4_9273
; %bb.9272:                             ;   in Loop: Header=BB4_9082 Depth=2
	v_and_b32_e32 v14, 7, v12
	v_lshrrev_b32_e32 v24, 3, v22
	v_cmp_gt_u32_e32 vcc, 8, v22
	v_ffbh_u32_e32 v22, v14
	v_min_u32_e32 v25, 32, v22
	v_subrev_u32_e32 v22, 28, v25
	v_lshlrev_b64 v[22:23], v22, v[12:13]
	v_sub_u32_e32 v12, 29, v25
	v_and_b32_e32 v22, 7, v22
	v_cndmask_b32_e32 v12, v24, v12, vcc
	v_cndmask_b32_e32 v14, v14, v22, vcc
	v_lshlrev_b32_e32 v13, 24, v13
	v_bfrev_b32_e32 v22, 60
	v_lshlrev_b32_e32 v14, 20, v14
	v_and_b32_e32 v13, 0x80000000, v13
	v_lshl_add_u32 v12, v12, 23, v22
	v_or3_b32 v14, v13, v12, v14
.LBB4_9273:                             ;   in Loop: Header=BB4_9082 Depth=2
	s_or_b64 exec, exec, s[88:89]
.LBB4_9274:                             ;   in Loop: Header=BB4_9082 Depth=2
	s_or_b64 exec, exec, s[78:79]
.LBB4_9275:                             ;   in Loop: Header=BB4_9082 Depth=2
	s_or_b64 exec, exec, s[20:21]
	v_mul_f32_e32 v12, s94, v14
	v_and_b32_e32 v14, 0x7f800000, v12
	v_cmp_ne_u64_e32 vcc, s[46:47], v[14:15]
                                        ; implicit-def: $vgpr22
	s_and_saveexec_b64 s[20:21], vcc
	s_xor_b64 s[78:79], exec, s[20:21]
	s_cbranch_execz .LBB4_9293
; %bb.9276:                             ;   in Loop: Header=BB4_9082 Depth=2
	v_and_b32_e32 v14, 0x7fffffff, v12
	v_cmp_gt_u64_e32 vcc, s[56:57], v[14:15]
	v_and_b32_sdwa v23, v12, s48 dst_sel:DWORD dst_unused:UNUSED_PAD src0_sel:BYTE_3 src1_sel:DWORD
                                        ; implicit-def: $vgpr22
	s_and_saveexec_b64 s[20:21], vcc
	s_xor_b64 s[88:89], exec, s[20:21]
	s_cbranch_execz .LBB4_9290
; %bb.9277:                             ;   in Loop: Header=BB4_9082 Depth=2
	v_cmp_ne_u32_e32 vcc, 0, v12
	v_mov_b32_e32 v22, 0
	s_and_saveexec_b64 s[90:91], vcc
	s_cbranch_execz .LBB4_9289
; %bb.9278:                             ;   in Loop: Header=BB4_9082 Depth=2
	v_bfe_u32 v22, v12, 23, 8
	v_and_b32_e32 v13, 0x7fffff, v12
	v_cmp_gt_u32_e64 s[20:21], s49, v22
	v_sub_u32_e32 v12, 0x79, v22
	v_cmp_eq_u32_e32 vcc, 0, v22
	v_cndmask_b32_e64 v12, 0, v12, s[20:21]
	v_cndmask_b32_e32 v24, v12, v47, vcc
	v_or_b32_e32 v14, 0x800000, v13
	v_add_u32_e32 v12, 20, v24
	v_cndmask_b32_e32 v14, v14, v13, vcc
	v_lshlrev_b64 v[12:13], v12, -1
	v_add_u32_e32 v25, 19, v24
	v_lshlrev_b64 v[25:26], v25, 1
	v_bfi_b32 v13, v13, 0, 0
	v_bfi_b32 v12, v12, 0, v14
	v_cmp_eq_u64_e64 s[20:21], v[12:13], v[25:26]
	v_lshrrev_b64 v[12:13], v24, v[14:15]
	v_mov_b32_e32 v14, v13
	v_mov_b32_e32 v13, v12
	s_and_saveexec_b64 s[92:93], s[20:21]
; %bb.9279:                             ;   in Loop: Header=BB4_9082 Depth=2
	v_bfe_u32 v13, v12, 20, 1
	v_add_co_u32_e64 v13, s[20:21], v12, v13
	v_add_co_u32_e64 v13, s[20:21], -1, v13
; %bb.9280:                             ;   in Loop: Header=BB4_9082 Depth=2
	s_or_b64 exec, exec, s[92:93]
	v_add_u32_e32 v14, 0xffffff81, v22
	v_cndmask_b32_e32 v14, v14, v44, vcc
	v_lshrrev_b32_e32 v22, 23, v12
	v_add3_u32 v25, v24, v14, v22
	v_add_u32_e32 v22, 6, v25
	v_and_b32_e32 v13, 0xfffff, v13
	v_add_u32_e32 v14, v13, v12
	v_cmp_ne_u32_e32 vcc, 0, v22
                                        ; implicit-def: $vgpr12_vgpr13
                                        ; implicit-def: $vgpr24
	s_and_saveexec_b64 s[20:21], vcc
	s_xor_b64 s[20:21], exec, s[20:21]
; %bb.9281:                             ;   in Loop: Header=BB4_9082 Depth=2
	v_cmp_lt_u64_e32 vcc, s[58:59], v[14:15]
	v_add_u32_e32 v12, 7, v25
	v_cndmask_b32_e32 v24, v22, v12, vcc
	v_cndmask_b32_e64 v12, 0, 1, vcc
	v_lshrrev_b64 v[12:13], v12, v[14:15]
; %bb.9282:                             ;   in Loop: Header=BB4_9082 Depth=2
	s_andn2_saveexec_b64 s[20:21], s[20:21]
; %bb.9283:                             ;   in Loop: Header=BB4_9082 Depth=2
	v_mov_b32_e32 v12, v14
	v_bfe_u32 v24, v14, 23, 1
	v_mov_b32_e32 v13, v15
; %bb.9284:                             ;   in Loop: Header=BB4_9082 Depth=2
	s_or_b64 exec, exec, s[20:21]
	v_lshrrev_b64 v[12:13], 20, v[12:13]
	v_cmp_gt_i32_e32 vcc, 16, v24
	v_cndmask_b32_e32 v13, 0, v13, vcc
	v_cndmask_b32_e32 v12, 7, v12, vcc
	v_cmp_ne_u64_e32 vcc, 0, v[12:13]
	v_cmp_ne_u32_e64 s[20:21], 0, v24
	s_or_b64 s[20:21], s[20:21], vcc
                                        ; implicit-def: $vgpr22
	s_and_saveexec_b64 s[92:93], s[20:21]
	s_xor_b64 s[20:21], exec, s[92:93]
; %bb.9285:                             ;   in Loop: Header=BB4_9082 Depth=2
	v_min_i32_e32 v13, 15, v24
	v_lshl_or_b32 v13, v13, 3, v23
	v_and_or_b32 v22, v12, 7, v13
                                        ; implicit-def: $vgpr23
; %bb.9286:                             ;   in Loop: Header=BB4_9082 Depth=2
	s_andn2_saveexec_b64 s[20:21], s[20:21]
; %bb.9287:                             ;   in Loop: Header=BB4_9082 Depth=2
	v_mov_b32_e32 v22, v23
; %bb.9288:                             ;   in Loop: Header=BB4_9082 Depth=2
	s_or_b64 exec, exec, s[20:21]
.LBB4_9289:                             ;   in Loop: Header=BB4_9082 Depth=2
	s_or_b64 exec, exec, s[90:91]
                                        ; implicit-def: $vgpr23
.LBB4_9290:                             ;   in Loop: Header=BB4_9082 Depth=2
	s_andn2_saveexec_b64 s[20:21], s[88:89]
; %bb.9291:                             ;   in Loop: Header=BB4_9082 Depth=2
	v_or_b32_e32 v22, 0x7e, v23
; %bb.9292:                             ;   in Loop: Header=BB4_9082 Depth=2
	s_or_b64 exec, exec, s[20:21]
                                        ; implicit-def: $vgpr12
.LBB4_9293:                             ;   in Loop: Header=BB4_9082 Depth=2
	s_andn2_saveexec_b64 s[20:21], s[78:79]
; %bb.9294:                             ;   in Loop: Header=BB4_9082 Depth=2
	v_or_b32_sdwa v22, v12, s39 dst_sel:DWORD dst_unused:UNUSED_PAD src0_sel:BYTE_3 src1_sel:DWORD
; %bb.9295:                             ;   in Loop: Header=BB4_9082 Depth=2
	s_or_b64 exec, exec, s[20:21]
	flat_load_ubyte v13, v[10:11] offset:512 glc slc
	v_mov_b32_e32 v14, 0
	s_waitcnt vmcnt(0) lgkmcnt(0)
	v_cmp_ne_u16_e32 vcc, 0, v13
	s_and_saveexec_b64 s[20:21], vcc
	s_cbranch_execz .LBB4_9301
; %bb.9296:                             ;   in Loop: Header=BB4_9082 Depth=2
	v_cmp_ne_u16_e32 vcc, s48, v13
	v_bfrev_b32_e32 v14, 1
	s_and_saveexec_b64 s[78:79], vcc
	s_cbranch_execz .LBB4_9300
; %bb.9297:                             ;   in Loop: Header=BB4_9082 Depth=2
	v_and_b32_e32 v12, 0xffff, v13
	v_and_b32_e32 v23, 0x7f, v12
	v_cmp_ne_u32_e32 vcc, s39, v23
	v_mov_b32_e32 v14, 0x7f800001
	s_and_saveexec_b64 s[88:89], vcc
	s_cbranch_execz .LBB4_9299
; %bb.9298:                             ;   in Loop: Header=BB4_9082 Depth=2
	v_and_b32_e32 v14, 7, v12
	v_lshrrev_b32_e32 v25, 3, v23
	v_cmp_gt_u32_e32 vcc, 8, v23
	v_ffbh_u32_e32 v23, v14
	v_min_u32_e32 v26, 32, v23
	v_subrev_u32_e32 v23, 28, v26
	v_lshlrev_b64 v[23:24], v23, v[12:13]
	v_sub_u32_e32 v12, 29, v26
	v_and_b32_e32 v23, 7, v23
	v_cndmask_b32_e32 v12, v25, v12, vcc
	v_cndmask_b32_e32 v14, v14, v23, vcc
	v_lshlrev_b32_e32 v13, 24, v13
	v_bfrev_b32_e32 v23, 60
	v_lshlrev_b32_e32 v14, 20, v14
	v_and_b32_e32 v13, 0x80000000, v13
	v_lshl_add_u32 v12, v12, 23, v23
	v_or3_b32 v14, v13, v12, v14
.LBB4_9299:                             ;   in Loop: Header=BB4_9082 Depth=2
	s_or_b64 exec, exec, s[88:89]
.LBB4_9300:                             ;   in Loop: Header=BB4_9082 Depth=2
	s_or_b64 exec, exec, s[78:79]
.LBB4_9301:                             ;   in Loop: Header=BB4_9082 Depth=2
	s_or_b64 exec, exec, s[20:21]
	v_mul_f32_e32 v12, s94, v14
	v_and_b32_e32 v14, 0x7f800000, v12
	v_cmp_ne_u64_e32 vcc, s[46:47], v[14:15]
                                        ; implicit-def: $vgpr23
	s_and_saveexec_b64 s[20:21], vcc
	s_xor_b64 s[78:79], exec, s[20:21]
	s_cbranch_execz .LBB4_9319
; %bb.9302:                             ;   in Loop: Header=BB4_9082 Depth=2
	v_and_b32_e32 v14, 0x7fffffff, v12
	v_cmp_gt_u64_e32 vcc, s[56:57], v[14:15]
	v_and_b32_sdwa v24, v12, s48 dst_sel:DWORD dst_unused:UNUSED_PAD src0_sel:BYTE_3 src1_sel:DWORD
                                        ; implicit-def: $vgpr23
	s_and_saveexec_b64 s[20:21], vcc
	s_xor_b64 s[88:89], exec, s[20:21]
	s_cbranch_execz .LBB4_9316
; %bb.9303:                             ;   in Loop: Header=BB4_9082 Depth=2
	v_cmp_ne_u32_e32 vcc, 0, v12
	v_mov_b32_e32 v23, 0
	s_and_saveexec_b64 s[90:91], vcc
	s_cbranch_execz .LBB4_9315
; %bb.9304:                             ;   in Loop: Header=BB4_9082 Depth=2
	v_bfe_u32 v23, v12, 23, 8
	v_and_b32_e32 v13, 0x7fffff, v12
	v_cmp_gt_u32_e64 s[20:21], s49, v23
	v_sub_u32_e32 v12, 0x79, v23
	v_cmp_eq_u32_e32 vcc, 0, v23
	v_cndmask_b32_e64 v12, 0, v12, s[20:21]
	v_cndmask_b32_e32 v25, v12, v47, vcc
	v_or_b32_e32 v14, 0x800000, v13
	v_add_u32_e32 v12, 20, v25
	v_cndmask_b32_e32 v14, v14, v13, vcc
	v_lshlrev_b64 v[12:13], v12, -1
	v_add_u32_e32 v26, 19, v25
	v_lshlrev_b64 v[26:27], v26, 1
	v_bfi_b32 v13, v13, 0, 0
	v_bfi_b32 v12, v12, 0, v14
	v_cmp_eq_u64_e64 s[20:21], v[12:13], v[26:27]
	v_lshrrev_b64 v[12:13], v25, v[14:15]
	v_mov_b32_e32 v14, v13
	v_mov_b32_e32 v13, v12
	s_and_saveexec_b64 s[92:93], s[20:21]
; %bb.9305:                             ;   in Loop: Header=BB4_9082 Depth=2
	v_bfe_u32 v13, v12, 20, 1
	v_add_co_u32_e64 v13, s[20:21], v12, v13
	v_add_co_u32_e64 v13, s[20:21], -1, v13
; %bb.9306:                             ;   in Loop: Header=BB4_9082 Depth=2
	s_or_b64 exec, exec, s[92:93]
	v_add_u32_e32 v14, 0xffffff81, v23
	v_cndmask_b32_e32 v14, v14, v44, vcc
	v_lshrrev_b32_e32 v23, 23, v12
	v_add3_u32 v26, v25, v14, v23
	v_add_u32_e32 v23, 6, v26
	v_and_b32_e32 v13, 0xfffff, v13
	v_add_u32_e32 v14, v13, v12
	v_cmp_ne_u32_e32 vcc, 0, v23
                                        ; implicit-def: $vgpr12_vgpr13
                                        ; implicit-def: $vgpr25
	s_and_saveexec_b64 s[20:21], vcc
	s_xor_b64 s[20:21], exec, s[20:21]
; %bb.9307:                             ;   in Loop: Header=BB4_9082 Depth=2
	v_cmp_lt_u64_e32 vcc, s[58:59], v[14:15]
	v_add_u32_e32 v12, 7, v26
	v_cndmask_b32_e32 v25, v23, v12, vcc
	v_cndmask_b32_e64 v12, 0, 1, vcc
	v_lshrrev_b64 v[12:13], v12, v[14:15]
; %bb.9308:                             ;   in Loop: Header=BB4_9082 Depth=2
	s_andn2_saveexec_b64 s[20:21], s[20:21]
; %bb.9309:                             ;   in Loop: Header=BB4_9082 Depth=2
	v_mov_b32_e32 v12, v14
	v_bfe_u32 v25, v14, 23, 1
	v_mov_b32_e32 v13, v15
; %bb.9310:                             ;   in Loop: Header=BB4_9082 Depth=2
	s_or_b64 exec, exec, s[20:21]
	v_lshrrev_b64 v[12:13], 20, v[12:13]
	v_cmp_gt_i32_e32 vcc, 16, v25
	v_cndmask_b32_e32 v13, 0, v13, vcc
	v_cndmask_b32_e32 v12, 7, v12, vcc
	v_cmp_ne_u64_e32 vcc, 0, v[12:13]
	v_cmp_ne_u32_e64 s[20:21], 0, v25
	s_or_b64 s[20:21], s[20:21], vcc
                                        ; implicit-def: $vgpr23
	s_and_saveexec_b64 s[92:93], s[20:21]
	s_xor_b64 s[20:21], exec, s[92:93]
; %bb.9311:                             ;   in Loop: Header=BB4_9082 Depth=2
	v_min_i32_e32 v13, 15, v25
	v_lshl_or_b32 v13, v13, 3, v24
	v_and_or_b32 v23, v12, 7, v13
                                        ; implicit-def: $vgpr24
; %bb.9312:                             ;   in Loop: Header=BB4_9082 Depth=2
	s_andn2_saveexec_b64 s[20:21], s[20:21]
; %bb.9313:                             ;   in Loop: Header=BB4_9082 Depth=2
	v_mov_b32_e32 v23, v24
; %bb.9314:                             ;   in Loop: Header=BB4_9082 Depth=2
	s_or_b64 exec, exec, s[20:21]
.LBB4_9315:                             ;   in Loop: Header=BB4_9082 Depth=2
	s_or_b64 exec, exec, s[90:91]
                                        ; implicit-def: $vgpr24
.LBB4_9316:                             ;   in Loop: Header=BB4_9082 Depth=2
	s_andn2_saveexec_b64 s[20:21], s[88:89]
; %bb.9317:                             ;   in Loop: Header=BB4_9082 Depth=2
	v_or_b32_e32 v23, 0x7e, v24
; %bb.9318:                             ;   in Loop: Header=BB4_9082 Depth=2
	s_or_b64 exec, exec, s[20:21]
                                        ; implicit-def: $vgpr12
.LBB4_9319:                             ;   in Loop: Header=BB4_9082 Depth=2
	s_andn2_saveexec_b64 s[20:21], s[78:79]
; %bb.9320:                             ;   in Loop: Header=BB4_9082 Depth=2
	v_or_b32_sdwa v23, v12, s39 dst_sel:DWORD dst_unused:UNUSED_PAD src0_sel:BYTE_3 src1_sel:DWORD
; %bb.9321:                             ;   in Loop: Header=BB4_9082 Depth=2
	s_or_b64 exec, exec, s[20:21]
	flat_load_ubyte v13, v[10:11] offset:576 glc slc
	v_mov_b32_e32 v14, 0
	s_waitcnt vmcnt(0) lgkmcnt(0)
	v_cmp_ne_u16_e32 vcc, 0, v13
	s_and_saveexec_b64 s[20:21], vcc
	s_cbranch_execz .LBB4_9327
; %bb.9322:                             ;   in Loop: Header=BB4_9082 Depth=2
	v_cmp_ne_u16_e32 vcc, s48, v13
	v_bfrev_b32_e32 v14, 1
	s_and_saveexec_b64 s[78:79], vcc
	s_cbranch_execz .LBB4_9326
; %bb.9323:                             ;   in Loop: Header=BB4_9082 Depth=2
	v_and_b32_e32 v12, 0xffff, v13
	v_and_b32_e32 v24, 0x7f, v12
	v_cmp_ne_u32_e32 vcc, s39, v24
	v_mov_b32_e32 v14, 0x7f800001
	s_and_saveexec_b64 s[88:89], vcc
	s_cbranch_execz .LBB4_9325
; %bb.9324:                             ;   in Loop: Header=BB4_9082 Depth=2
	v_and_b32_e32 v14, 7, v12
	v_lshrrev_b32_e32 v26, 3, v24
	v_cmp_gt_u32_e32 vcc, 8, v24
	v_ffbh_u32_e32 v24, v14
	v_min_u32_e32 v27, 32, v24
	v_subrev_u32_e32 v24, 28, v27
	v_lshlrev_b64 v[24:25], v24, v[12:13]
	v_sub_u32_e32 v12, 29, v27
	v_and_b32_e32 v24, 7, v24
	v_cndmask_b32_e32 v12, v26, v12, vcc
	v_cndmask_b32_e32 v14, v14, v24, vcc
	v_lshlrev_b32_e32 v13, 24, v13
	v_bfrev_b32_e32 v24, 60
	v_lshlrev_b32_e32 v14, 20, v14
	v_and_b32_e32 v13, 0x80000000, v13
	v_lshl_add_u32 v12, v12, 23, v24
	v_or3_b32 v14, v13, v12, v14
.LBB4_9325:                             ;   in Loop: Header=BB4_9082 Depth=2
	s_or_b64 exec, exec, s[88:89]
.LBB4_9326:                             ;   in Loop: Header=BB4_9082 Depth=2
	s_or_b64 exec, exec, s[78:79]
.LBB4_9327:                             ;   in Loop: Header=BB4_9082 Depth=2
	s_or_b64 exec, exec, s[20:21]
	v_mul_f32_e32 v12, s94, v14
	v_and_b32_e32 v14, 0x7f800000, v12
	v_cmp_ne_u64_e32 vcc, s[46:47], v[14:15]
                                        ; implicit-def: $vgpr24
	s_and_saveexec_b64 s[20:21], vcc
	s_xor_b64 s[78:79], exec, s[20:21]
	s_cbranch_execz .LBB4_9345
; %bb.9328:                             ;   in Loop: Header=BB4_9082 Depth=2
	v_and_b32_e32 v14, 0x7fffffff, v12
	v_cmp_gt_u64_e32 vcc, s[56:57], v[14:15]
	v_and_b32_sdwa v25, v12, s48 dst_sel:DWORD dst_unused:UNUSED_PAD src0_sel:BYTE_3 src1_sel:DWORD
                                        ; implicit-def: $vgpr24
	s_and_saveexec_b64 s[20:21], vcc
	s_xor_b64 s[88:89], exec, s[20:21]
	s_cbranch_execz .LBB4_9342
; %bb.9329:                             ;   in Loop: Header=BB4_9082 Depth=2
	v_cmp_ne_u32_e32 vcc, 0, v12
	v_mov_b32_e32 v24, 0
	s_and_saveexec_b64 s[90:91], vcc
	s_cbranch_execz .LBB4_9341
; %bb.9330:                             ;   in Loop: Header=BB4_9082 Depth=2
	v_bfe_u32 v24, v12, 23, 8
	v_and_b32_e32 v13, 0x7fffff, v12
	v_cmp_gt_u32_e64 s[20:21], s49, v24
	v_sub_u32_e32 v12, 0x79, v24
	v_cmp_eq_u32_e32 vcc, 0, v24
	v_cndmask_b32_e64 v12, 0, v12, s[20:21]
	v_cndmask_b32_e32 v26, v12, v47, vcc
	v_or_b32_e32 v14, 0x800000, v13
	v_add_u32_e32 v12, 20, v26
	v_cndmask_b32_e32 v14, v14, v13, vcc
	v_lshlrev_b64 v[12:13], v12, -1
	v_add_u32_e32 v27, 19, v26
	v_lshlrev_b64 v[27:28], v27, 1
	v_bfi_b32 v13, v13, 0, 0
	v_bfi_b32 v12, v12, 0, v14
	v_cmp_eq_u64_e64 s[20:21], v[12:13], v[27:28]
	v_lshrrev_b64 v[12:13], v26, v[14:15]
	v_mov_b32_e32 v14, v13
	v_mov_b32_e32 v13, v12
	s_and_saveexec_b64 s[92:93], s[20:21]
; %bb.9331:                             ;   in Loop: Header=BB4_9082 Depth=2
	v_bfe_u32 v13, v12, 20, 1
	v_add_co_u32_e64 v13, s[20:21], v12, v13
	v_add_co_u32_e64 v13, s[20:21], -1, v13
; %bb.9332:                             ;   in Loop: Header=BB4_9082 Depth=2
	s_or_b64 exec, exec, s[92:93]
	v_add_u32_e32 v14, 0xffffff81, v24
	v_cndmask_b32_e32 v14, v14, v44, vcc
	v_lshrrev_b32_e32 v24, 23, v12
	v_add3_u32 v27, v26, v14, v24
	v_add_u32_e32 v24, 6, v27
	v_and_b32_e32 v13, 0xfffff, v13
	v_add_u32_e32 v14, v13, v12
	v_cmp_ne_u32_e32 vcc, 0, v24
                                        ; implicit-def: $vgpr12_vgpr13
                                        ; implicit-def: $vgpr26
	s_and_saveexec_b64 s[20:21], vcc
	s_xor_b64 s[20:21], exec, s[20:21]
; %bb.9333:                             ;   in Loop: Header=BB4_9082 Depth=2
	v_cmp_lt_u64_e32 vcc, s[58:59], v[14:15]
	v_add_u32_e32 v12, 7, v27
	v_cndmask_b32_e32 v26, v24, v12, vcc
	v_cndmask_b32_e64 v12, 0, 1, vcc
	v_lshrrev_b64 v[12:13], v12, v[14:15]
; %bb.9334:                             ;   in Loop: Header=BB4_9082 Depth=2
	s_andn2_saveexec_b64 s[20:21], s[20:21]
; %bb.9335:                             ;   in Loop: Header=BB4_9082 Depth=2
	v_mov_b32_e32 v12, v14
	v_bfe_u32 v26, v14, 23, 1
	v_mov_b32_e32 v13, v15
; %bb.9336:                             ;   in Loop: Header=BB4_9082 Depth=2
	s_or_b64 exec, exec, s[20:21]
	v_lshrrev_b64 v[12:13], 20, v[12:13]
	v_cmp_gt_i32_e32 vcc, 16, v26
	v_cndmask_b32_e32 v13, 0, v13, vcc
	v_cndmask_b32_e32 v12, 7, v12, vcc
	v_cmp_ne_u64_e32 vcc, 0, v[12:13]
	v_cmp_ne_u32_e64 s[20:21], 0, v26
	s_or_b64 s[20:21], s[20:21], vcc
                                        ; implicit-def: $vgpr24
	s_and_saveexec_b64 s[92:93], s[20:21]
	s_xor_b64 s[20:21], exec, s[92:93]
; %bb.9337:                             ;   in Loop: Header=BB4_9082 Depth=2
	v_min_i32_e32 v13, 15, v26
	v_lshl_or_b32 v13, v13, 3, v25
	v_and_or_b32 v24, v12, 7, v13
                                        ; implicit-def: $vgpr25
; %bb.9338:                             ;   in Loop: Header=BB4_9082 Depth=2
	s_andn2_saveexec_b64 s[20:21], s[20:21]
; %bb.9339:                             ;   in Loop: Header=BB4_9082 Depth=2
	v_mov_b32_e32 v24, v25
; %bb.9340:                             ;   in Loop: Header=BB4_9082 Depth=2
	s_or_b64 exec, exec, s[20:21]
.LBB4_9341:                             ;   in Loop: Header=BB4_9082 Depth=2
	s_or_b64 exec, exec, s[90:91]
                                        ; implicit-def: $vgpr25
.LBB4_9342:                             ;   in Loop: Header=BB4_9082 Depth=2
	s_andn2_saveexec_b64 s[20:21], s[88:89]
; %bb.9343:                             ;   in Loop: Header=BB4_9082 Depth=2
	v_or_b32_e32 v24, 0x7e, v25
; %bb.9344:                             ;   in Loop: Header=BB4_9082 Depth=2
	s_or_b64 exec, exec, s[20:21]
                                        ; implicit-def: $vgpr12
.LBB4_9345:                             ;   in Loop: Header=BB4_9082 Depth=2
	s_andn2_saveexec_b64 s[20:21], s[78:79]
; %bb.9346:                             ;   in Loop: Header=BB4_9082 Depth=2
	v_or_b32_sdwa v24, v12, s39 dst_sel:DWORD dst_unused:UNUSED_PAD src0_sel:BYTE_3 src1_sel:DWORD
; %bb.9347:                             ;   in Loop: Header=BB4_9082 Depth=2
	s_or_b64 exec, exec, s[20:21]
	flat_load_ubyte v13, v[10:11] offset:640 glc slc
	v_mov_b32_e32 v14, 0
	s_waitcnt vmcnt(0) lgkmcnt(0)
	v_cmp_ne_u16_e32 vcc, 0, v13
	s_and_saveexec_b64 s[20:21], vcc
	s_cbranch_execz .LBB4_9353
; %bb.9348:                             ;   in Loop: Header=BB4_9082 Depth=2
	v_cmp_ne_u16_e32 vcc, s48, v13
	v_bfrev_b32_e32 v14, 1
	s_and_saveexec_b64 s[78:79], vcc
	s_cbranch_execz .LBB4_9352
; %bb.9349:                             ;   in Loop: Header=BB4_9082 Depth=2
	v_and_b32_e32 v12, 0xffff, v13
	v_and_b32_e32 v25, 0x7f, v12
	v_cmp_ne_u32_e32 vcc, s39, v25
	v_mov_b32_e32 v14, 0x7f800001
	s_and_saveexec_b64 s[88:89], vcc
	s_cbranch_execz .LBB4_9351
; %bb.9350:                             ;   in Loop: Header=BB4_9082 Depth=2
	v_and_b32_e32 v14, 7, v12
	v_lshrrev_b32_e32 v27, 3, v25
	v_cmp_gt_u32_e32 vcc, 8, v25
	v_ffbh_u32_e32 v25, v14
	v_min_u32_e32 v28, 32, v25
	v_subrev_u32_e32 v25, 28, v28
	v_lshlrev_b64 v[25:26], v25, v[12:13]
	v_sub_u32_e32 v12, 29, v28
	v_and_b32_e32 v25, 7, v25
	v_cndmask_b32_e32 v12, v27, v12, vcc
	v_cndmask_b32_e32 v14, v14, v25, vcc
	v_lshlrev_b32_e32 v13, 24, v13
	v_bfrev_b32_e32 v25, 60
	v_lshlrev_b32_e32 v14, 20, v14
	v_and_b32_e32 v13, 0x80000000, v13
	v_lshl_add_u32 v12, v12, 23, v25
	v_or3_b32 v14, v13, v12, v14
.LBB4_9351:                             ;   in Loop: Header=BB4_9082 Depth=2
	s_or_b64 exec, exec, s[88:89]
.LBB4_9352:                             ;   in Loop: Header=BB4_9082 Depth=2
	s_or_b64 exec, exec, s[78:79]
.LBB4_9353:                             ;   in Loop: Header=BB4_9082 Depth=2
	s_or_b64 exec, exec, s[20:21]
	v_mul_f32_e32 v12, s94, v14
	v_and_b32_e32 v14, 0x7f800000, v12
	v_cmp_ne_u64_e32 vcc, s[46:47], v[14:15]
                                        ; implicit-def: $vgpr25
	s_and_saveexec_b64 s[20:21], vcc
	s_xor_b64 s[78:79], exec, s[20:21]
	s_cbranch_execz .LBB4_9371
; %bb.9354:                             ;   in Loop: Header=BB4_9082 Depth=2
	v_and_b32_e32 v14, 0x7fffffff, v12
	v_cmp_gt_u64_e32 vcc, s[56:57], v[14:15]
	v_and_b32_sdwa v26, v12, s48 dst_sel:DWORD dst_unused:UNUSED_PAD src0_sel:BYTE_3 src1_sel:DWORD
                                        ; implicit-def: $vgpr25
	s_and_saveexec_b64 s[20:21], vcc
	s_xor_b64 s[88:89], exec, s[20:21]
	s_cbranch_execz .LBB4_9368
; %bb.9355:                             ;   in Loop: Header=BB4_9082 Depth=2
	v_cmp_ne_u32_e32 vcc, 0, v12
	v_mov_b32_e32 v25, 0
	s_and_saveexec_b64 s[90:91], vcc
	s_cbranch_execz .LBB4_9367
; %bb.9356:                             ;   in Loop: Header=BB4_9082 Depth=2
	v_bfe_u32 v25, v12, 23, 8
	v_and_b32_e32 v13, 0x7fffff, v12
	v_cmp_gt_u32_e64 s[20:21], s49, v25
	v_sub_u32_e32 v12, 0x79, v25
	v_cmp_eq_u32_e32 vcc, 0, v25
	v_cndmask_b32_e64 v12, 0, v12, s[20:21]
	v_cndmask_b32_e32 v27, v12, v47, vcc
	v_or_b32_e32 v14, 0x800000, v13
	v_add_u32_e32 v12, 20, v27
	v_cndmask_b32_e32 v14, v14, v13, vcc
	v_lshlrev_b64 v[12:13], v12, -1
	v_add_u32_e32 v28, 19, v27
	v_lshlrev_b64 v[28:29], v28, 1
	v_bfi_b32 v13, v13, 0, 0
	v_bfi_b32 v12, v12, 0, v14
	v_cmp_eq_u64_e64 s[20:21], v[12:13], v[28:29]
	v_lshrrev_b64 v[12:13], v27, v[14:15]
	v_mov_b32_e32 v14, v13
	v_mov_b32_e32 v13, v12
	s_and_saveexec_b64 s[92:93], s[20:21]
; %bb.9357:                             ;   in Loop: Header=BB4_9082 Depth=2
	v_bfe_u32 v13, v12, 20, 1
	v_add_co_u32_e64 v13, s[20:21], v12, v13
	v_add_co_u32_e64 v13, s[20:21], -1, v13
; %bb.9358:                             ;   in Loop: Header=BB4_9082 Depth=2
	s_or_b64 exec, exec, s[92:93]
	v_add_u32_e32 v14, 0xffffff81, v25
	v_cndmask_b32_e32 v14, v14, v44, vcc
	v_lshrrev_b32_e32 v25, 23, v12
	v_add3_u32 v28, v27, v14, v25
	v_add_u32_e32 v25, 6, v28
	v_and_b32_e32 v13, 0xfffff, v13
	v_add_u32_e32 v14, v13, v12
	v_cmp_ne_u32_e32 vcc, 0, v25
                                        ; implicit-def: $vgpr12_vgpr13
                                        ; implicit-def: $vgpr27
	s_and_saveexec_b64 s[20:21], vcc
	s_xor_b64 s[20:21], exec, s[20:21]
; %bb.9359:                             ;   in Loop: Header=BB4_9082 Depth=2
	v_cmp_lt_u64_e32 vcc, s[58:59], v[14:15]
	v_add_u32_e32 v12, 7, v28
	v_cndmask_b32_e32 v27, v25, v12, vcc
	v_cndmask_b32_e64 v12, 0, 1, vcc
	v_lshrrev_b64 v[12:13], v12, v[14:15]
; %bb.9360:                             ;   in Loop: Header=BB4_9082 Depth=2
	s_andn2_saveexec_b64 s[20:21], s[20:21]
; %bb.9361:                             ;   in Loop: Header=BB4_9082 Depth=2
	v_mov_b32_e32 v12, v14
	v_bfe_u32 v27, v14, 23, 1
	v_mov_b32_e32 v13, v15
; %bb.9362:                             ;   in Loop: Header=BB4_9082 Depth=2
	s_or_b64 exec, exec, s[20:21]
	v_lshrrev_b64 v[12:13], 20, v[12:13]
	v_cmp_gt_i32_e32 vcc, 16, v27
	v_cndmask_b32_e32 v13, 0, v13, vcc
	v_cndmask_b32_e32 v12, 7, v12, vcc
	v_cmp_ne_u64_e32 vcc, 0, v[12:13]
	v_cmp_ne_u32_e64 s[20:21], 0, v27
	s_or_b64 s[20:21], s[20:21], vcc
                                        ; implicit-def: $vgpr25
	s_and_saveexec_b64 s[92:93], s[20:21]
	s_xor_b64 s[20:21], exec, s[92:93]
; %bb.9363:                             ;   in Loop: Header=BB4_9082 Depth=2
	v_min_i32_e32 v13, 15, v27
	v_lshl_or_b32 v13, v13, 3, v26
	v_and_or_b32 v25, v12, 7, v13
                                        ; implicit-def: $vgpr26
; %bb.9364:                             ;   in Loop: Header=BB4_9082 Depth=2
	s_andn2_saveexec_b64 s[20:21], s[20:21]
; %bb.9365:                             ;   in Loop: Header=BB4_9082 Depth=2
	v_mov_b32_e32 v25, v26
; %bb.9366:                             ;   in Loop: Header=BB4_9082 Depth=2
	s_or_b64 exec, exec, s[20:21]
.LBB4_9367:                             ;   in Loop: Header=BB4_9082 Depth=2
	s_or_b64 exec, exec, s[90:91]
                                        ; implicit-def: $vgpr26
.LBB4_9368:                             ;   in Loop: Header=BB4_9082 Depth=2
	s_andn2_saveexec_b64 s[20:21], s[88:89]
; %bb.9369:                             ;   in Loop: Header=BB4_9082 Depth=2
	v_or_b32_e32 v25, 0x7e, v26
; %bb.9370:                             ;   in Loop: Header=BB4_9082 Depth=2
	s_or_b64 exec, exec, s[20:21]
                                        ; implicit-def: $vgpr12
.LBB4_9371:                             ;   in Loop: Header=BB4_9082 Depth=2
	s_andn2_saveexec_b64 s[20:21], s[78:79]
; %bb.9372:                             ;   in Loop: Header=BB4_9082 Depth=2
	v_or_b32_sdwa v25, v12, s39 dst_sel:DWORD dst_unused:UNUSED_PAD src0_sel:BYTE_3 src1_sel:DWORD
; %bb.9373:                             ;   in Loop: Header=BB4_9082 Depth=2
	s_or_b64 exec, exec, s[20:21]
	flat_load_ubyte v13, v[10:11] offset:704 glc slc
	v_mov_b32_e32 v14, 0
	s_waitcnt vmcnt(0) lgkmcnt(0)
	v_cmp_ne_u16_e32 vcc, 0, v13
	s_and_saveexec_b64 s[20:21], vcc
	s_cbranch_execz .LBB4_9379
; %bb.9374:                             ;   in Loop: Header=BB4_9082 Depth=2
	v_cmp_ne_u16_e32 vcc, s48, v13
	v_bfrev_b32_e32 v14, 1
	s_and_saveexec_b64 s[78:79], vcc
	s_cbranch_execz .LBB4_9378
; %bb.9375:                             ;   in Loop: Header=BB4_9082 Depth=2
	v_and_b32_e32 v12, 0xffff, v13
	v_and_b32_e32 v26, 0x7f, v12
	v_cmp_ne_u32_e32 vcc, s39, v26
	v_mov_b32_e32 v14, 0x7f800001
	s_and_saveexec_b64 s[88:89], vcc
	s_cbranch_execz .LBB4_9377
; %bb.9376:                             ;   in Loop: Header=BB4_9082 Depth=2
	v_and_b32_e32 v14, 7, v12
	v_lshrrev_b32_e32 v28, 3, v26
	v_cmp_gt_u32_e32 vcc, 8, v26
	v_ffbh_u32_e32 v26, v14
	v_min_u32_e32 v29, 32, v26
	v_subrev_u32_e32 v26, 28, v29
	v_lshlrev_b64 v[26:27], v26, v[12:13]
	v_sub_u32_e32 v12, 29, v29
	v_and_b32_e32 v26, 7, v26
	v_cndmask_b32_e32 v12, v28, v12, vcc
	v_cndmask_b32_e32 v14, v14, v26, vcc
	v_lshlrev_b32_e32 v13, 24, v13
	v_bfrev_b32_e32 v26, 60
	v_lshlrev_b32_e32 v14, 20, v14
	v_and_b32_e32 v13, 0x80000000, v13
	v_lshl_add_u32 v12, v12, 23, v26
	v_or3_b32 v14, v13, v12, v14
.LBB4_9377:                             ;   in Loop: Header=BB4_9082 Depth=2
	s_or_b64 exec, exec, s[88:89]
.LBB4_9378:                             ;   in Loop: Header=BB4_9082 Depth=2
	s_or_b64 exec, exec, s[78:79]
.LBB4_9379:                             ;   in Loop: Header=BB4_9082 Depth=2
	s_or_b64 exec, exec, s[20:21]
	v_mul_f32_e32 v12, s94, v14
	v_and_b32_e32 v14, 0x7f800000, v12
	v_cmp_ne_u64_e32 vcc, s[46:47], v[14:15]
                                        ; implicit-def: $vgpr26
	s_and_saveexec_b64 s[20:21], vcc
	s_xor_b64 s[78:79], exec, s[20:21]
	s_cbranch_execz .LBB4_9397
; %bb.9380:                             ;   in Loop: Header=BB4_9082 Depth=2
	v_and_b32_e32 v14, 0x7fffffff, v12
	v_cmp_gt_u64_e32 vcc, s[56:57], v[14:15]
	v_and_b32_sdwa v27, v12, s48 dst_sel:DWORD dst_unused:UNUSED_PAD src0_sel:BYTE_3 src1_sel:DWORD
                                        ; implicit-def: $vgpr26
	s_and_saveexec_b64 s[20:21], vcc
	s_xor_b64 s[88:89], exec, s[20:21]
	s_cbranch_execz .LBB4_9394
; %bb.9381:                             ;   in Loop: Header=BB4_9082 Depth=2
	v_cmp_ne_u32_e32 vcc, 0, v12
	v_mov_b32_e32 v26, 0
	s_and_saveexec_b64 s[90:91], vcc
	s_cbranch_execz .LBB4_9393
; %bb.9382:                             ;   in Loop: Header=BB4_9082 Depth=2
	v_bfe_u32 v26, v12, 23, 8
	v_and_b32_e32 v13, 0x7fffff, v12
	v_cmp_gt_u32_e64 s[20:21], s49, v26
	v_sub_u32_e32 v12, 0x79, v26
	v_cmp_eq_u32_e32 vcc, 0, v26
	v_cndmask_b32_e64 v12, 0, v12, s[20:21]
	v_cndmask_b32_e32 v28, v12, v47, vcc
	v_or_b32_e32 v14, 0x800000, v13
	v_add_u32_e32 v12, 20, v28
	v_cndmask_b32_e32 v14, v14, v13, vcc
	v_lshlrev_b64 v[12:13], v12, -1
	v_add_u32_e32 v29, 19, v28
	v_lshlrev_b64 v[29:30], v29, 1
	v_bfi_b32 v13, v13, 0, 0
	v_bfi_b32 v12, v12, 0, v14
	v_cmp_eq_u64_e64 s[20:21], v[12:13], v[29:30]
	v_lshrrev_b64 v[12:13], v28, v[14:15]
	v_mov_b32_e32 v14, v13
	v_mov_b32_e32 v13, v12
	s_and_saveexec_b64 s[92:93], s[20:21]
; %bb.9383:                             ;   in Loop: Header=BB4_9082 Depth=2
	v_bfe_u32 v13, v12, 20, 1
	v_add_co_u32_e64 v13, s[20:21], v12, v13
	v_add_co_u32_e64 v13, s[20:21], -1, v13
; %bb.9384:                             ;   in Loop: Header=BB4_9082 Depth=2
	s_or_b64 exec, exec, s[92:93]
	v_add_u32_e32 v14, 0xffffff81, v26
	v_cndmask_b32_e32 v14, v14, v44, vcc
	v_lshrrev_b32_e32 v26, 23, v12
	v_add3_u32 v29, v28, v14, v26
	v_add_u32_e32 v26, 6, v29
	v_and_b32_e32 v13, 0xfffff, v13
	v_add_u32_e32 v14, v13, v12
	v_cmp_ne_u32_e32 vcc, 0, v26
                                        ; implicit-def: $vgpr12_vgpr13
                                        ; implicit-def: $vgpr28
	s_and_saveexec_b64 s[20:21], vcc
	s_xor_b64 s[20:21], exec, s[20:21]
; %bb.9385:                             ;   in Loop: Header=BB4_9082 Depth=2
	v_cmp_lt_u64_e32 vcc, s[58:59], v[14:15]
	v_add_u32_e32 v12, 7, v29
	v_cndmask_b32_e32 v28, v26, v12, vcc
	v_cndmask_b32_e64 v12, 0, 1, vcc
	v_lshrrev_b64 v[12:13], v12, v[14:15]
; %bb.9386:                             ;   in Loop: Header=BB4_9082 Depth=2
	s_andn2_saveexec_b64 s[20:21], s[20:21]
; %bb.9387:                             ;   in Loop: Header=BB4_9082 Depth=2
	v_mov_b32_e32 v12, v14
	v_bfe_u32 v28, v14, 23, 1
	v_mov_b32_e32 v13, v15
; %bb.9388:                             ;   in Loop: Header=BB4_9082 Depth=2
	s_or_b64 exec, exec, s[20:21]
	v_lshrrev_b64 v[12:13], 20, v[12:13]
	v_cmp_gt_i32_e32 vcc, 16, v28
	v_cndmask_b32_e32 v13, 0, v13, vcc
	v_cndmask_b32_e32 v12, 7, v12, vcc
	v_cmp_ne_u64_e32 vcc, 0, v[12:13]
	v_cmp_ne_u32_e64 s[20:21], 0, v28
	s_or_b64 s[20:21], s[20:21], vcc
                                        ; implicit-def: $vgpr26
	s_and_saveexec_b64 s[92:93], s[20:21]
	s_xor_b64 s[20:21], exec, s[92:93]
; %bb.9389:                             ;   in Loop: Header=BB4_9082 Depth=2
	v_min_i32_e32 v13, 15, v28
	v_lshl_or_b32 v13, v13, 3, v27
	v_and_or_b32 v26, v12, 7, v13
                                        ; implicit-def: $vgpr27
; %bb.9390:                             ;   in Loop: Header=BB4_9082 Depth=2
	s_andn2_saveexec_b64 s[20:21], s[20:21]
; %bb.9391:                             ;   in Loop: Header=BB4_9082 Depth=2
	v_mov_b32_e32 v26, v27
; %bb.9392:                             ;   in Loop: Header=BB4_9082 Depth=2
	s_or_b64 exec, exec, s[20:21]
.LBB4_9393:                             ;   in Loop: Header=BB4_9082 Depth=2
	s_or_b64 exec, exec, s[90:91]
                                        ; implicit-def: $vgpr27
.LBB4_9394:                             ;   in Loop: Header=BB4_9082 Depth=2
	s_andn2_saveexec_b64 s[20:21], s[88:89]
; %bb.9395:                             ;   in Loop: Header=BB4_9082 Depth=2
	v_or_b32_e32 v26, 0x7e, v27
; %bb.9396:                             ;   in Loop: Header=BB4_9082 Depth=2
	s_or_b64 exec, exec, s[20:21]
                                        ; implicit-def: $vgpr12
.LBB4_9397:                             ;   in Loop: Header=BB4_9082 Depth=2
	s_andn2_saveexec_b64 s[20:21], s[78:79]
; %bb.9398:                             ;   in Loop: Header=BB4_9082 Depth=2
	v_or_b32_sdwa v26, v12, s39 dst_sel:DWORD dst_unused:UNUSED_PAD src0_sel:BYTE_3 src1_sel:DWORD
; %bb.9399:                             ;   in Loop: Header=BB4_9082 Depth=2
	s_or_b64 exec, exec, s[20:21]
	flat_load_ubyte v13, v[10:11] offset:768 glc slc
	v_mov_b32_e32 v14, 0
	s_waitcnt vmcnt(0) lgkmcnt(0)
	v_cmp_ne_u16_e32 vcc, 0, v13
	s_and_saveexec_b64 s[20:21], vcc
	s_cbranch_execz .LBB4_9405
; %bb.9400:                             ;   in Loop: Header=BB4_9082 Depth=2
	v_cmp_ne_u16_e32 vcc, s48, v13
	v_bfrev_b32_e32 v14, 1
	s_and_saveexec_b64 s[78:79], vcc
	s_cbranch_execz .LBB4_9404
; %bb.9401:                             ;   in Loop: Header=BB4_9082 Depth=2
	v_and_b32_e32 v12, 0xffff, v13
	v_and_b32_e32 v27, 0x7f, v12
	v_cmp_ne_u32_e32 vcc, s39, v27
	v_mov_b32_e32 v14, 0x7f800001
	s_and_saveexec_b64 s[88:89], vcc
	s_cbranch_execz .LBB4_9403
; %bb.9402:                             ;   in Loop: Header=BB4_9082 Depth=2
	v_and_b32_e32 v14, 7, v12
	v_lshrrev_b32_e32 v29, 3, v27
	v_cmp_gt_u32_e32 vcc, 8, v27
	v_ffbh_u32_e32 v27, v14
	v_min_u32_e32 v30, 32, v27
	v_subrev_u32_e32 v27, 28, v30
	v_lshlrev_b64 v[27:28], v27, v[12:13]
	v_sub_u32_e32 v12, 29, v30
	v_and_b32_e32 v27, 7, v27
	v_cndmask_b32_e32 v12, v29, v12, vcc
	v_cndmask_b32_e32 v14, v14, v27, vcc
	v_lshlrev_b32_e32 v13, 24, v13
	v_bfrev_b32_e32 v27, 60
	v_lshlrev_b32_e32 v14, 20, v14
	v_and_b32_e32 v13, 0x80000000, v13
	v_lshl_add_u32 v12, v12, 23, v27
	v_or3_b32 v14, v13, v12, v14
.LBB4_9403:                             ;   in Loop: Header=BB4_9082 Depth=2
	s_or_b64 exec, exec, s[88:89]
.LBB4_9404:                             ;   in Loop: Header=BB4_9082 Depth=2
	s_or_b64 exec, exec, s[78:79]
.LBB4_9405:                             ;   in Loop: Header=BB4_9082 Depth=2
	s_or_b64 exec, exec, s[20:21]
	v_mul_f32_e32 v12, s94, v14
	v_and_b32_e32 v14, 0x7f800000, v12
	v_cmp_ne_u64_e32 vcc, s[46:47], v[14:15]
                                        ; implicit-def: $vgpr27
	s_and_saveexec_b64 s[20:21], vcc
	s_xor_b64 s[78:79], exec, s[20:21]
	s_cbranch_execz .LBB4_9423
; %bb.9406:                             ;   in Loop: Header=BB4_9082 Depth=2
	v_and_b32_e32 v14, 0x7fffffff, v12
	v_cmp_gt_u64_e32 vcc, s[56:57], v[14:15]
	v_and_b32_sdwa v28, v12, s48 dst_sel:DWORD dst_unused:UNUSED_PAD src0_sel:BYTE_3 src1_sel:DWORD
                                        ; implicit-def: $vgpr27
	s_and_saveexec_b64 s[20:21], vcc
	s_xor_b64 s[88:89], exec, s[20:21]
	s_cbranch_execz .LBB4_9420
; %bb.9407:                             ;   in Loop: Header=BB4_9082 Depth=2
	v_cmp_ne_u32_e32 vcc, 0, v12
	v_mov_b32_e32 v27, 0
	s_and_saveexec_b64 s[90:91], vcc
	s_cbranch_execz .LBB4_9419
; %bb.9408:                             ;   in Loop: Header=BB4_9082 Depth=2
	v_bfe_u32 v27, v12, 23, 8
	v_and_b32_e32 v13, 0x7fffff, v12
	v_cmp_gt_u32_e64 s[20:21], s49, v27
	v_sub_u32_e32 v12, 0x79, v27
	v_cmp_eq_u32_e32 vcc, 0, v27
	v_cndmask_b32_e64 v12, 0, v12, s[20:21]
	v_cndmask_b32_e32 v29, v12, v47, vcc
	v_or_b32_e32 v14, 0x800000, v13
	v_add_u32_e32 v12, 20, v29
	v_cndmask_b32_e32 v14, v14, v13, vcc
	v_lshlrev_b64 v[12:13], v12, -1
	v_add_u32_e32 v30, 19, v29
	v_lshlrev_b64 v[30:31], v30, 1
	v_bfi_b32 v13, v13, 0, 0
	v_bfi_b32 v12, v12, 0, v14
	v_cmp_eq_u64_e64 s[20:21], v[12:13], v[30:31]
	v_lshrrev_b64 v[12:13], v29, v[14:15]
	v_mov_b32_e32 v14, v13
	v_mov_b32_e32 v13, v12
	s_and_saveexec_b64 s[92:93], s[20:21]
; %bb.9409:                             ;   in Loop: Header=BB4_9082 Depth=2
	v_bfe_u32 v13, v12, 20, 1
	v_add_co_u32_e64 v13, s[20:21], v12, v13
	v_add_co_u32_e64 v13, s[20:21], -1, v13
; %bb.9410:                             ;   in Loop: Header=BB4_9082 Depth=2
	s_or_b64 exec, exec, s[92:93]
	v_add_u32_e32 v14, 0xffffff81, v27
	v_cndmask_b32_e32 v14, v14, v44, vcc
	v_lshrrev_b32_e32 v27, 23, v12
	v_add3_u32 v30, v29, v14, v27
	v_add_u32_e32 v27, 6, v30
	v_and_b32_e32 v13, 0xfffff, v13
	v_add_u32_e32 v14, v13, v12
	v_cmp_ne_u32_e32 vcc, 0, v27
                                        ; implicit-def: $vgpr12_vgpr13
                                        ; implicit-def: $vgpr29
	s_and_saveexec_b64 s[20:21], vcc
	s_xor_b64 s[20:21], exec, s[20:21]
; %bb.9411:                             ;   in Loop: Header=BB4_9082 Depth=2
	v_cmp_lt_u64_e32 vcc, s[58:59], v[14:15]
	v_add_u32_e32 v12, 7, v30
	v_cndmask_b32_e32 v29, v27, v12, vcc
	v_cndmask_b32_e64 v12, 0, 1, vcc
	v_lshrrev_b64 v[12:13], v12, v[14:15]
; %bb.9412:                             ;   in Loop: Header=BB4_9082 Depth=2
	s_andn2_saveexec_b64 s[20:21], s[20:21]
; %bb.9413:                             ;   in Loop: Header=BB4_9082 Depth=2
	v_mov_b32_e32 v12, v14
	v_bfe_u32 v29, v14, 23, 1
	v_mov_b32_e32 v13, v15
; %bb.9414:                             ;   in Loop: Header=BB4_9082 Depth=2
	s_or_b64 exec, exec, s[20:21]
	v_lshrrev_b64 v[12:13], 20, v[12:13]
	v_cmp_gt_i32_e32 vcc, 16, v29
	v_cndmask_b32_e32 v13, 0, v13, vcc
	v_cndmask_b32_e32 v12, 7, v12, vcc
	v_cmp_ne_u64_e32 vcc, 0, v[12:13]
	v_cmp_ne_u32_e64 s[20:21], 0, v29
	s_or_b64 s[20:21], s[20:21], vcc
                                        ; implicit-def: $vgpr27
	s_and_saveexec_b64 s[92:93], s[20:21]
	s_xor_b64 s[20:21], exec, s[92:93]
; %bb.9415:                             ;   in Loop: Header=BB4_9082 Depth=2
	v_min_i32_e32 v13, 15, v29
	v_lshl_or_b32 v13, v13, 3, v28
	v_and_or_b32 v27, v12, 7, v13
                                        ; implicit-def: $vgpr28
; %bb.9416:                             ;   in Loop: Header=BB4_9082 Depth=2
	s_andn2_saveexec_b64 s[20:21], s[20:21]
; %bb.9417:                             ;   in Loop: Header=BB4_9082 Depth=2
	v_mov_b32_e32 v27, v28
; %bb.9418:                             ;   in Loop: Header=BB4_9082 Depth=2
	s_or_b64 exec, exec, s[20:21]
.LBB4_9419:                             ;   in Loop: Header=BB4_9082 Depth=2
	s_or_b64 exec, exec, s[90:91]
                                        ; implicit-def: $vgpr28
.LBB4_9420:                             ;   in Loop: Header=BB4_9082 Depth=2
	s_andn2_saveexec_b64 s[20:21], s[88:89]
; %bb.9421:                             ;   in Loop: Header=BB4_9082 Depth=2
	v_or_b32_e32 v27, 0x7e, v28
; %bb.9422:                             ;   in Loop: Header=BB4_9082 Depth=2
	s_or_b64 exec, exec, s[20:21]
                                        ; implicit-def: $vgpr12
.LBB4_9423:                             ;   in Loop: Header=BB4_9082 Depth=2
	s_andn2_saveexec_b64 s[20:21], s[78:79]
; %bb.9424:                             ;   in Loop: Header=BB4_9082 Depth=2
	v_or_b32_sdwa v27, v12, s39 dst_sel:DWORD dst_unused:UNUSED_PAD src0_sel:BYTE_3 src1_sel:DWORD
; %bb.9425:                             ;   in Loop: Header=BB4_9082 Depth=2
	s_or_b64 exec, exec, s[20:21]
	flat_load_ubyte v13, v[10:11] offset:832 glc slc
	v_mov_b32_e32 v14, 0
	s_waitcnt vmcnt(0) lgkmcnt(0)
	v_cmp_ne_u16_e32 vcc, 0, v13
	s_and_saveexec_b64 s[20:21], vcc
	s_cbranch_execz .LBB4_9431
; %bb.9426:                             ;   in Loop: Header=BB4_9082 Depth=2
	v_cmp_ne_u16_e32 vcc, s48, v13
	v_bfrev_b32_e32 v14, 1
	s_and_saveexec_b64 s[78:79], vcc
	s_cbranch_execz .LBB4_9430
; %bb.9427:                             ;   in Loop: Header=BB4_9082 Depth=2
	v_and_b32_e32 v12, 0xffff, v13
	v_and_b32_e32 v28, 0x7f, v12
	v_cmp_ne_u32_e32 vcc, s39, v28
	v_mov_b32_e32 v14, 0x7f800001
	s_and_saveexec_b64 s[88:89], vcc
	s_cbranch_execz .LBB4_9429
; %bb.9428:                             ;   in Loop: Header=BB4_9082 Depth=2
	v_and_b32_e32 v14, 7, v12
	v_lshrrev_b32_e32 v30, 3, v28
	v_cmp_gt_u32_e32 vcc, 8, v28
	v_ffbh_u32_e32 v28, v14
	v_min_u32_e32 v31, 32, v28
	v_subrev_u32_e32 v28, 28, v31
	v_lshlrev_b64 v[28:29], v28, v[12:13]
	v_sub_u32_e32 v12, 29, v31
	v_and_b32_e32 v28, 7, v28
	v_cndmask_b32_e32 v12, v30, v12, vcc
	v_cndmask_b32_e32 v14, v14, v28, vcc
	v_lshlrev_b32_e32 v13, 24, v13
	v_bfrev_b32_e32 v28, 60
	v_lshlrev_b32_e32 v14, 20, v14
	v_and_b32_e32 v13, 0x80000000, v13
	v_lshl_add_u32 v12, v12, 23, v28
	v_or3_b32 v14, v13, v12, v14
.LBB4_9429:                             ;   in Loop: Header=BB4_9082 Depth=2
	s_or_b64 exec, exec, s[88:89]
.LBB4_9430:                             ;   in Loop: Header=BB4_9082 Depth=2
	s_or_b64 exec, exec, s[78:79]
.LBB4_9431:                             ;   in Loop: Header=BB4_9082 Depth=2
	s_or_b64 exec, exec, s[20:21]
	v_mul_f32_e32 v12, s94, v14
	v_and_b32_e32 v14, 0x7f800000, v12
	v_cmp_ne_u64_e32 vcc, s[46:47], v[14:15]
                                        ; implicit-def: $vgpr28
	s_and_saveexec_b64 s[20:21], vcc
	s_xor_b64 s[78:79], exec, s[20:21]
	s_cbranch_execz .LBB4_9449
; %bb.9432:                             ;   in Loop: Header=BB4_9082 Depth=2
	v_and_b32_e32 v14, 0x7fffffff, v12
	v_cmp_gt_u64_e32 vcc, s[56:57], v[14:15]
	v_and_b32_sdwa v29, v12, s48 dst_sel:DWORD dst_unused:UNUSED_PAD src0_sel:BYTE_3 src1_sel:DWORD
                                        ; implicit-def: $vgpr28
	s_and_saveexec_b64 s[20:21], vcc
	s_xor_b64 s[88:89], exec, s[20:21]
	s_cbranch_execz .LBB4_9446
; %bb.9433:                             ;   in Loop: Header=BB4_9082 Depth=2
	v_cmp_ne_u32_e32 vcc, 0, v12
	v_mov_b32_e32 v28, 0
	s_and_saveexec_b64 s[90:91], vcc
	s_cbranch_execz .LBB4_9445
; %bb.9434:                             ;   in Loop: Header=BB4_9082 Depth=2
	v_bfe_u32 v28, v12, 23, 8
	v_and_b32_e32 v13, 0x7fffff, v12
	v_cmp_gt_u32_e64 s[20:21], s49, v28
	v_sub_u32_e32 v12, 0x79, v28
	v_cmp_eq_u32_e32 vcc, 0, v28
	v_cndmask_b32_e64 v12, 0, v12, s[20:21]
	v_cndmask_b32_e32 v30, v12, v47, vcc
	v_or_b32_e32 v14, 0x800000, v13
	v_add_u32_e32 v12, 20, v30
	v_cndmask_b32_e32 v14, v14, v13, vcc
	v_lshlrev_b64 v[12:13], v12, -1
	v_add_u32_e32 v31, 19, v30
	v_lshlrev_b64 v[31:32], v31, 1
	v_bfi_b32 v13, v13, 0, 0
	v_bfi_b32 v12, v12, 0, v14
	v_cmp_eq_u64_e64 s[20:21], v[12:13], v[31:32]
	v_lshrrev_b64 v[12:13], v30, v[14:15]
	v_mov_b32_e32 v14, v13
	v_mov_b32_e32 v13, v12
	s_and_saveexec_b64 s[92:93], s[20:21]
; %bb.9435:                             ;   in Loop: Header=BB4_9082 Depth=2
	v_bfe_u32 v13, v12, 20, 1
	v_add_co_u32_e64 v13, s[20:21], v12, v13
	v_add_co_u32_e64 v13, s[20:21], -1, v13
; %bb.9436:                             ;   in Loop: Header=BB4_9082 Depth=2
	s_or_b64 exec, exec, s[92:93]
	v_add_u32_e32 v14, 0xffffff81, v28
	v_cndmask_b32_e32 v14, v14, v44, vcc
	v_lshrrev_b32_e32 v28, 23, v12
	v_add3_u32 v31, v30, v14, v28
	v_add_u32_e32 v28, 6, v31
	v_and_b32_e32 v13, 0xfffff, v13
	v_add_u32_e32 v14, v13, v12
	v_cmp_ne_u32_e32 vcc, 0, v28
                                        ; implicit-def: $vgpr12_vgpr13
                                        ; implicit-def: $vgpr30
	s_and_saveexec_b64 s[20:21], vcc
	s_xor_b64 s[20:21], exec, s[20:21]
; %bb.9437:                             ;   in Loop: Header=BB4_9082 Depth=2
	v_cmp_lt_u64_e32 vcc, s[58:59], v[14:15]
	v_add_u32_e32 v12, 7, v31
	v_cndmask_b32_e32 v30, v28, v12, vcc
	v_cndmask_b32_e64 v12, 0, 1, vcc
	v_lshrrev_b64 v[12:13], v12, v[14:15]
; %bb.9438:                             ;   in Loop: Header=BB4_9082 Depth=2
	s_andn2_saveexec_b64 s[20:21], s[20:21]
; %bb.9439:                             ;   in Loop: Header=BB4_9082 Depth=2
	v_mov_b32_e32 v12, v14
	v_bfe_u32 v30, v14, 23, 1
	v_mov_b32_e32 v13, v15
; %bb.9440:                             ;   in Loop: Header=BB4_9082 Depth=2
	s_or_b64 exec, exec, s[20:21]
	v_lshrrev_b64 v[12:13], 20, v[12:13]
	v_cmp_gt_i32_e32 vcc, 16, v30
	v_cndmask_b32_e32 v13, 0, v13, vcc
	v_cndmask_b32_e32 v12, 7, v12, vcc
	v_cmp_ne_u64_e32 vcc, 0, v[12:13]
	v_cmp_ne_u32_e64 s[20:21], 0, v30
	s_or_b64 s[20:21], s[20:21], vcc
                                        ; implicit-def: $vgpr28
	s_and_saveexec_b64 s[92:93], s[20:21]
	s_xor_b64 s[20:21], exec, s[92:93]
; %bb.9441:                             ;   in Loop: Header=BB4_9082 Depth=2
	v_min_i32_e32 v13, 15, v30
	v_lshl_or_b32 v13, v13, 3, v29
	v_and_or_b32 v28, v12, 7, v13
                                        ; implicit-def: $vgpr29
; %bb.9442:                             ;   in Loop: Header=BB4_9082 Depth=2
	s_andn2_saveexec_b64 s[20:21], s[20:21]
; %bb.9443:                             ;   in Loop: Header=BB4_9082 Depth=2
	v_mov_b32_e32 v28, v29
; %bb.9444:                             ;   in Loop: Header=BB4_9082 Depth=2
	s_or_b64 exec, exec, s[20:21]
.LBB4_9445:                             ;   in Loop: Header=BB4_9082 Depth=2
	s_or_b64 exec, exec, s[90:91]
                                        ; implicit-def: $vgpr29
.LBB4_9446:                             ;   in Loop: Header=BB4_9082 Depth=2
	s_andn2_saveexec_b64 s[20:21], s[88:89]
; %bb.9447:                             ;   in Loop: Header=BB4_9082 Depth=2
	v_or_b32_e32 v28, 0x7e, v29
; %bb.9448:                             ;   in Loop: Header=BB4_9082 Depth=2
	s_or_b64 exec, exec, s[20:21]
                                        ; implicit-def: $vgpr12
.LBB4_9449:                             ;   in Loop: Header=BB4_9082 Depth=2
	s_andn2_saveexec_b64 s[20:21], s[78:79]
; %bb.9450:                             ;   in Loop: Header=BB4_9082 Depth=2
	v_or_b32_sdwa v28, v12, s39 dst_sel:DWORD dst_unused:UNUSED_PAD src0_sel:BYTE_3 src1_sel:DWORD
; %bb.9451:                             ;   in Loop: Header=BB4_9082 Depth=2
	s_or_b64 exec, exec, s[20:21]
	flat_load_ubyte v13, v[10:11] offset:896 glc slc
	v_mov_b32_e32 v14, 0
	s_waitcnt vmcnt(0) lgkmcnt(0)
	v_cmp_ne_u16_e32 vcc, 0, v13
	s_and_saveexec_b64 s[20:21], vcc
	s_cbranch_execz .LBB4_9457
; %bb.9452:                             ;   in Loop: Header=BB4_9082 Depth=2
	v_cmp_ne_u16_e32 vcc, s48, v13
	v_bfrev_b32_e32 v14, 1
	s_and_saveexec_b64 s[78:79], vcc
	s_cbranch_execz .LBB4_9456
; %bb.9453:                             ;   in Loop: Header=BB4_9082 Depth=2
	v_and_b32_e32 v12, 0xffff, v13
	v_and_b32_e32 v29, 0x7f, v12
	v_cmp_ne_u32_e32 vcc, s39, v29
	v_mov_b32_e32 v14, 0x7f800001
	s_and_saveexec_b64 s[88:89], vcc
	s_cbranch_execz .LBB4_9455
; %bb.9454:                             ;   in Loop: Header=BB4_9082 Depth=2
	v_and_b32_e32 v14, 7, v12
	v_lshrrev_b32_e32 v31, 3, v29
	v_cmp_gt_u32_e32 vcc, 8, v29
	v_ffbh_u32_e32 v29, v14
	v_min_u32_e32 v32, 32, v29
	v_subrev_u32_e32 v29, 28, v32
	v_lshlrev_b64 v[29:30], v29, v[12:13]
	v_sub_u32_e32 v12, 29, v32
	v_and_b32_e32 v29, 7, v29
	v_cndmask_b32_e32 v12, v31, v12, vcc
	v_cndmask_b32_e32 v14, v14, v29, vcc
	v_lshlrev_b32_e32 v13, 24, v13
	v_bfrev_b32_e32 v29, 60
	v_lshlrev_b32_e32 v14, 20, v14
	v_and_b32_e32 v13, 0x80000000, v13
	v_lshl_add_u32 v12, v12, 23, v29
	v_or3_b32 v14, v13, v12, v14
.LBB4_9455:                             ;   in Loop: Header=BB4_9082 Depth=2
	s_or_b64 exec, exec, s[88:89]
.LBB4_9456:                             ;   in Loop: Header=BB4_9082 Depth=2
	s_or_b64 exec, exec, s[78:79]
.LBB4_9457:                             ;   in Loop: Header=BB4_9082 Depth=2
	s_or_b64 exec, exec, s[20:21]
	v_mul_f32_e32 v12, s94, v14
	v_and_b32_e32 v14, 0x7f800000, v12
	v_cmp_ne_u64_e32 vcc, s[46:47], v[14:15]
                                        ; implicit-def: $vgpr13
	s_and_saveexec_b64 s[20:21], vcc
	s_xor_b64 s[78:79], exec, s[20:21]
	s_cbranch_execz .LBB4_9475
; %bb.9458:                             ;   in Loop: Header=BB4_9082 Depth=2
	v_and_b32_e32 v14, 0x7fffffff, v12
	v_cmp_gt_u64_e32 vcc, s[56:57], v[14:15]
	v_and_b32_sdwa v29, v12, s48 dst_sel:DWORD dst_unused:UNUSED_PAD src0_sel:BYTE_3 src1_sel:DWORD
                                        ; implicit-def: $vgpr13
	s_and_saveexec_b64 s[20:21], vcc
	s_xor_b64 s[88:89], exec, s[20:21]
	s_cbranch_execz .LBB4_9472
; %bb.9459:                             ;   in Loop: Header=BB4_9082 Depth=2
	v_cmp_ne_u32_e32 vcc, 0, v12
	v_mov_b32_e32 v13, 0
	s_and_saveexec_b64 s[90:91], vcc
	s_cbranch_execz .LBB4_9471
; %bb.9460:                             ;   in Loop: Header=BB4_9082 Depth=2
	v_bfe_u32 v30, v12, 23, 8
	v_and_b32_e32 v13, 0x7fffff, v12
	v_cmp_gt_u32_e64 s[20:21], s49, v30
	v_sub_u32_e32 v12, 0x79, v30
	v_cmp_eq_u32_e32 vcc, 0, v30
	v_cndmask_b32_e64 v12, 0, v12, s[20:21]
	v_cndmask_b32_e32 v31, v12, v47, vcc
	v_or_b32_e32 v14, 0x800000, v13
	v_add_u32_e32 v12, 20, v31
	v_cndmask_b32_e32 v14, v14, v13, vcc
	v_lshlrev_b64 v[12:13], v12, -1
	v_add_u32_e32 v32, 19, v31
	v_lshlrev_b64 v[32:33], v32, 1
	v_bfi_b32 v13, v13, 0, 0
	v_bfi_b32 v12, v12, 0, v14
	v_cmp_eq_u64_e64 s[20:21], v[12:13], v[32:33]
	v_lshrrev_b64 v[12:13], v31, v[14:15]
	v_mov_b32_e32 v14, v13
	v_mov_b32_e32 v13, v12
	s_and_saveexec_b64 s[92:93], s[20:21]
; %bb.9461:                             ;   in Loop: Header=BB4_9082 Depth=2
	v_bfe_u32 v13, v12, 20, 1
	v_add_co_u32_e64 v13, s[20:21], v12, v13
	v_add_co_u32_e64 v13, s[20:21], -1, v13
; %bb.9462:                             ;   in Loop: Header=BB4_9082 Depth=2
	s_or_b64 exec, exec, s[92:93]
	v_add_u32_e32 v14, 0xffffff81, v30
	v_cndmask_b32_e32 v14, v14, v44, vcc
	v_lshrrev_b32_e32 v30, 23, v12
	v_add3_u32 v32, v31, v14, v30
	v_add_u32_e32 v31, 6, v32
	v_and_b32_e32 v13, 0xfffff, v13
	v_add_u32_e32 v14, v13, v12
	v_cmp_ne_u32_e32 vcc, 0, v31
                                        ; implicit-def: $vgpr12_vgpr13
                                        ; implicit-def: $vgpr30
	s_and_saveexec_b64 s[20:21], vcc
	s_xor_b64 s[20:21], exec, s[20:21]
; %bb.9463:                             ;   in Loop: Header=BB4_9082 Depth=2
	v_cmp_lt_u64_e32 vcc, s[58:59], v[14:15]
	v_add_u32_e32 v12, 7, v32
	v_cndmask_b32_e32 v30, v31, v12, vcc
	v_cndmask_b32_e64 v12, 0, 1, vcc
	v_lshrrev_b64 v[12:13], v12, v[14:15]
; %bb.9464:                             ;   in Loop: Header=BB4_9082 Depth=2
	s_andn2_saveexec_b64 s[20:21], s[20:21]
; %bb.9465:                             ;   in Loop: Header=BB4_9082 Depth=2
	v_mov_b32_e32 v12, v14
	v_bfe_u32 v30, v14, 23, 1
	v_mov_b32_e32 v13, v15
; %bb.9466:                             ;   in Loop: Header=BB4_9082 Depth=2
	s_or_b64 exec, exec, s[20:21]
	v_lshrrev_b64 v[12:13], 20, v[12:13]
	v_cmp_gt_i32_e32 vcc, 16, v30
	v_cndmask_b32_e32 v13, 0, v13, vcc
	v_cndmask_b32_e32 v12, 7, v12, vcc
	v_cmp_ne_u64_e32 vcc, 0, v[12:13]
	v_cmp_ne_u32_e64 s[20:21], 0, v30
	s_or_b64 s[20:21], s[20:21], vcc
                                        ; implicit-def: $vgpr13
	s_and_saveexec_b64 s[92:93], s[20:21]
	s_xor_b64 s[20:21], exec, s[92:93]
; %bb.9467:                             ;   in Loop: Header=BB4_9082 Depth=2
	v_min_i32_e32 v13, 15, v30
	v_lshl_or_b32 v13, v13, 3, v29
	v_and_or_b32 v13, v12, 7, v13
                                        ; implicit-def: $vgpr29
; %bb.9468:                             ;   in Loop: Header=BB4_9082 Depth=2
	s_andn2_saveexec_b64 s[20:21], s[20:21]
; %bb.9469:                             ;   in Loop: Header=BB4_9082 Depth=2
	v_mov_b32_e32 v13, v29
; %bb.9470:                             ;   in Loop: Header=BB4_9082 Depth=2
	s_or_b64 exec, exec, s[20:21]
.LBB4_9471:                             ;   in Loop: Header=BB4_9082 Depth=2
	s_or_b64 exec, exec, s[90:91]
                                        ; implicit-def: $vgpr29
.LBB4_9472:                             ;   in Loop: Header=BB4_9082 Depth=2
	s_andn2_saveexec_b64 s[20:21], s[88:89]
; %bb.9473:                             ;   in Loop: Header=BB4_9082 Depth=2
	v_or_b32_e32 v13, 0x7e, v29
; %bb.9474:                             ;   in Loop: Header=BB4_9082 Depth=2
	s_or_b64 exec, exec, s[20:21]
                                        ; implicit-def: $vgpr12
.LBB4_9475:                             ;   in Loop: Header=BB4_9082 Depth=2
	s_andn2_saveexec_b64 s[20:21], s[78:79]
; %bb.9476:                             ;   in Loop: Header=BB4_9082 Depth=2
	v_or_b32_sdwa v13, v12, s39 dst_sel:DWORD dst_unused:UNUSED_PAD src0_sel:BYTE_3 src1_sel:DWORD
; %bb.9477:                             ;   in Loop: Header=BB4_9082 Depth=2
	s_or_b64 exec, exec, s[20:21]
	flat_load_ubyte v11, v[10:11] offset:960 glc slc
	v_mov_b32_e32 v12, 0
	s_waitcnt vmcnt(0) lgkmcnt(0)
	v_cmp_ne_u16_e32 vcc, 0, v11
	s_and_saveexec_b64 s[20:21], vcc
	s_cbranch_execz .LBB4_9483
; %bb.9478:                             ;   in Loop: Header=BB4_9082 Depth=2
	v_cmp_ne_u16_e32 vcc, s48, v11
	v_bfrev_b32_e32 v12, 1
	s_and_saveexec_b64 s[78:79], vcc
	s_cbranch_execz .LBB4_9482
; %bb.9479:                             ;   in Loop: Header=BB4_9082 Depth=2
	v_and_b32_e32 v10, 0xffff, v11
	v_and_b32_e32 v14, 0x7f, v10
	v_cmp_ne_u32_e32 vcc, s39, v14
	v_mov_b32_e32 v12, 0x7f800001
	s_and_saveexec_b64 s[88:89], vcc
	s_cbranch_execz .LBB4_9481
; %bb.9480:                             ;   in Loop: Header=BB4_9082 Depth=2
	v_and_b32_e32 v12, 7, v10
	v_lshrrev_b32_e32 v31, 3, v14
	v_cmp_gt_u32_e32 vcc, 8, v14
	v_ffbh_u32_e32 v14, v12
	v_min_u32_e32 v14, 32, v14
	v_subrev_u32_e32 v29, 28, v14
	v_lshlrev_b64 v[29:30], v29, v[10:11]
	v_sub_u32_e32 v10, 29, v14
	v_and_b32_e32 v14, 7, v29
	v_cndmask_b32_e32 v10, v31, v10, vcc
	v_cndmask_b32_e32 v12, v12, v14, vcc
	v_lshlrev_b32_e32 v11, 24, v11
	v_bfrev_b32_e32 v14, 60
	v_lshlrev_b32_e32 v12, 20, v12
	v_and_b32_e32 v11, 0x80000000, v11
	v_lshl_add_u32 v10, v10, 23, v14
	v_or3_b32 v12, v11, v10, v12
.LBB4_9481:                             ;   in Loop: Header=BB4_9082 Depth=2
	s_or_b64 exec, exec, s[88:89]
.LBB4_9482:                             ;   in Loop: Header=BB4_9082 Depth=2
	s_or_b64 exec, exec, s[78:79]
.LBB4_9483:                             ;   in Loop: Header=BB4_9082 Depth=2
	s_or_b64 exec, exec, s[20:21]
	v_mul_f32_e32 v10, s94, v12
	v_and_b32_e32 v14, 0x7f800000, v10
	v_cmp_ne_u64_e32 vcc, s[46:47], v[14:15]
                                        ; implicit-def: $vgpr11
	s_and_saveexec_b64 s[20:21], vcc
	s_xor_b64 s[78:79], exec, s[20:21]
	s_cbranch_execz .LBB4_9501
; %bb.9484:                             ;   in Loop: Header=BB4_9082 Depth=2
	v_and_b32_e32 v14, 0x7fffffff, v10
	v_cmp_gt_u64_e32 vcc, s[56:57], v[14:15]
	v_and_b32_sdwa v29, v10, s48 dst_sel:DWORD dst_unused:UNUSED_PAD src0_sel:BYTE_3 src1_sel:DWORD
                                        ; implicit-def: $vgpr11
	s_and_saveexec_b64 s[20:21], vcc
	s_xor_b64 s[88:89], exec, s[20:21]
	s_cbranch_execz .LBB4_9498
; %bb.9485:                             ;   in Loop: Header=BB4_9082 Depth=2
	v_cmp_ne_u32_e32 vcc, 0, v10
	v_mov_b32_e32 v11, 0
	s_and_saveexec_b64 s[90:91], vcc
	s_cbranch_execz .LBB4_9497
; %bb.9486:                             ;   in Loop: Header=BB4_9082 Depth=2
	v_bfe_u32 v30, v10, 23, 8
	v_and_b32_e32 v11, 0x7fffff, v10
	v_cmp_gt_u32_e64 s[20:21], s49, v30
	v_sub_u32_e32 v10, 0x79, v30
	v_cmp_eq_u32_e32 vcc, 0, v30
	v_cndmask_b32_e64 v10, 0, v10, s[20:21]
	v_cndmask_b32_e32 v31, v10, v47, vcc
	v_or_b32_e32 v12, 0x800000, v11
	v_add_u32_e32 v10, 20, v31
	v_cndmask_b32_e32 v14, v12, v11, vcc
	v_lshlrev_b64 v[10:11], v10, -1
	v_add_u32_e32 v12, 19, v31
	v_lshlrev_b64 v[32:33], v12, 1
	v_bfi_b32 v11, v11, 0, 0
	v_bfi_b32 v10, v10, 0, v14
	v_cmp_eq_u64_e64 s[20:21], v[10:11], v[32:33]
	v_lshrrev_b64 v[10:11], v31, v[14:15]
	v_mov_b32_e32 v12, v11
	v_mov_b32_e32 v11, v10
	s_and_saveexec_b64 s[92:93], s[20:21]
; %bb.9487:                             ;   in Loop: Header=BB4_9082 Depth=2
	v_bfe_u32 v11, v10, 20, 1
	v_add_co_u32_e64 v11, s[20:21], v10, v11
	v_add_co_u32_e64 v11, s[20:21], -1, v11
; %bb.9488:                             ;   in Loop: Header=BB4_9082 Depth=2
	s_or_b64 exec, exec, s[92:93]
	v_add_u32_e32 v12, 0xffffff81, v30
	v_cndmask_b32_e32 v12, v12, v44, vcc
	v_lshrrev_b32_e32 v14, 23, v10
	v_add3_u32 v31, v31, v12, v14
	v_add_u32_e32 v30, 6, v31
	v_and_b32_e32 v11, 0xfffff, v11
	v_add_u32_e32 v14, v11, v10
	v_cmp_ne_u32_e32 vcc, 0, v30
                                        ; implicit-def: $vgpr10_vgpr11
                                        ; implicit-def: $vgpr12
	s_and_saveexec_b64 s[20:21], vcc
	s_xor_b64 s[20:21], exec, s[20:21]
; %bb.9489:                             ;   in Loop: Header=BB4_9082 Depth=2
	v_cmp_lt_u64_e32 vcc, s[58:59], v[14:15]
	v_add_u32_e32 v10, 7, v31
	v_cndmask_b32_e32 v12, v30, v10, vcc
	v_cndmask_b32_e64 v10, 0, 1, vcc
	v_lshrrev_b64 v[10:11], v10, v[14:15]
; %bb.9490:                             ;   in Loop: Header=BB4_9082 Depth=2
	s_andn2_saveexec_b64 s[20:21], s[20:21]
; %bb.9491:                             ;   in Loop: Header=BB4_9082 Depth=2
	v_mov_b32_e32 v10, v14
	v_bfe_u32 v12, v14, 23, 1
	v_mov_b32_e32 v11, v15
; %bb.9492:                             ;   in Loop: Header=BB4_9082 Depth=2
	s_or_b64 exec, exec, s[20:21]
	v_lshrrev_b64 v[10:11], 20, v[10:11]
	v_cmp_gt_i32_e32 vcc, 16, v12
	v_cndmask_b32_e32 v11, 0, v11, vcc
	v_cndmask_b32_e32 v10, 7, v10, vcc
	v_cmp_ne_u64_e32 vcc, 0, v[10:11]
	v_cmp_ne_u32_e64 s[20:21], 0, v12
	s_or_b64 s[20:21], s[20:21], vcc
                                        ; implicit-def: $vgpr11
	s_and_saveexec_b64 s[92:93], s[20:21]
	s_xor_b64 s[20:21], exec, s[92:93]
; %bb.9493:                             ;   in Loop: Header=BB4_9082 Depth=2
	v_min_i32_e32 v11, 15, v12
	v_lshl_or_b32 v11, v11, 3, v29
	v_and_or_b32 v11, v10, 7, v11
                                        ; implicit-def: $vgpr29
; %bb.9494:                             ;   in Loop: Header=BB4_9082 Depth=2
	s_andn2_saveexec_b64 s[20:21], s[20:21]
; %bb.9495:                             ;   in Loop: Header=BB4_9082 Depth=2
	v_mov_b32_e32 v11, v29
; %bb.9496:                             ;   in Loop: Header=BB4_9082 Depth=2
	s_or_b64 exec, exec, s[20:21]
.LBB4_9497:                             ;   in Loop: Header=BB4_9082 Depth=2
	s_or_b64 exec, exec, s[90:91]
                                        ; implicit-def: $vgpr29
.LBB4_9498:                             ;   in Loop: Header=BB4_9082 Depth=2
	s_andn2_saveexec_b64 s[20:21], s[88:89]
; %bb.9499:                             ;   in Loop: Header=BB4_9082 Depth=2
	v_or_b32_e32 v11, 0x7e, v29
; %bb.9500:                             ;   in Loop: Header=BB4_9082 Depth=2
	s_or_b64 exec, exec, s[20:21]
                                        ; implicit-def: $vgpr10
.LBB4_9501:                             ;   in Loop: Header=BB4_9082 Depth=2
	s_andn2_saveexec_b64 s[20:21], s[78:79]
	s_cbranch_execz .LBB4_9081
; %bb.9502:                             ;   in Loop: Header=BB4_9082 Depth=2
	v_or_b32_sdwa v11, v10, s39 dst_sel:DWORD dst_unused:UNUSED_PAD src0_sel:BYTE_3 src1_sel:DWORD
	s_branch .LBB4_9081
.LBB4_9503:                             ;   in Loop: Header=BB4_7219 Depth=1
	s_or_b64 exec, exec, s[76:77]
.LBB4_9504:                             ;   in Loop: Header=BB4_7219 Depth=1
	s_or_b64 exec, exec, s[74:75]
	v_and_b32_e32 v5, 0xfffffc00, v1
	v_cmp_ne_u32_e32 vcc, v1, v5
	s_and_b64 exec, exec, vcc
	s_cbranch_execz .LBB4_9539
; %bb.9505:                             ;   in Loop: Header=BB4_7219 Depth=1
	v_lshlrev_b32_e32 v3, 6, v3
	v_sub_u32_e32 v2, v2, v3
	v_lshlrev_b32_e32 v3, 6, v4
	v_sub_u32_e32 v2, v2, v3
	v_and_b32_e32 v1, 0x3ff, v1
	v_sub_u32_e32 v1, v1, v2
	v_cmp_lt_i32_e32 vcc, 0, v1
	s_and_b64 exec, exec, vcc
	s_cbranch_execz .LBB4_9539
; %bb.9506:                             ;   in Loop: Header=BB4_7219 Depth=1
	s_trap 2
	ds_read_b64 v[10:11], v0
	v_add3_u32 v0, v5, v0, v2
	v_ashrrev_i32_e32 v2, 31, v0
	s_mov_b64 s[74:75], 0
	s_branch .LBB4_9508
.LBB4_9507:                             ;   in Loop: Header=BB4_9508 Depth=2
	s_or_b64 exec, exec, s[20:21]
	buffer_load_dword v3, off, s[0:3], s33 offset:280 ; 4-byte Folded Reload
	s_waitcnt vmcnt(0)
	v_sub_u32_e32 v1, v1, v3
	v_cmp_gt_i32_e32 vcc, 1, v1
	s_or_b64 s[74:75], vcc, s[74:75]
	v_add_co_u32_e32 v0, vcc, v0, v3
	v_addc_co_u32_e32 v2, vcc, 0, v2, vcc
	flat_store_byte v[12:13], v4 glc slc
	s_andn2_b64 exec, exec, s[74:75]
	s_cbranch_execz .LBB4_9539
.LBB4_9508:                             ;   Parent Loop BB4_7219 Depth=1
                                        ; =>  This Inner Loop Header: Depth=2
	s_trap 2
	ds_read_b64 v[12:13], v0
	s_waitcnt lgkmcnt(0)
	v_cmp_eq_u32_sdwa s[76:77], v12, v15 src0_sel:BYTE_0 src1_sel:DWORD
	v_readfirstlane_b32 s20, v12
	s_and_b64 vcc, exec, s[76:77]
	v_readfirstlane_b32 s21, v13
	s_cbranch_vccnz .LBB4_9512
; %bb.9509:                             ;   in Loop: Header=BB4_9508 Depth=2
	v_cmp_eq_u32_sdwa s[76:77], v12, s48 src0_sel:BYTE_0 src1_sel:DWORD
	s_and_b64 vcc, exec, s[76:77]
	s_brev_b32 s88, 1
	s_cbranch_vccnz .LBB4_9513
; %bb.9510:                             ;   in Loop: Header=BB4_9508 Depth=2
	s_and_b32 s76, s20, 0x7f
	s_cmpk_eq_i32 s76, 0x7f
	s_mov_b32 s88, 0x7f800001
	s_cbranch_scc1 .LBB4_9513
; %bb.9511:                             ;   in Loop: Header=BB4_9508 Depth=2
	s_and_b32 s77, s20, 7
	s_flbit_i32_b32 s77, s77
	s_min_u32 s77, s77, 32
	s_lshr_b32 s78, s76, 3
	s_sub_i32 s79, s77, 28
	s_sub_i32 s77, 29, s77
	s_cmp_lt_u32 s76, 8
	s_cselect_b32 s76, s79, 0
	s_cselect_b32 s78, s77, s78
	s_lshl_b64 s[76:77], s[20:21], s76
	s_lshl_b32 s21, s76, 20
	s_lshl_b32 s20, s20, 24
	;; [unrolled: 1-line block ×3, first 2 shown]
	s_and_b32 s20, s20, 0x80000000
	s_add_i32 s76, s76, 0x3c000000
	s_and_b32 s21, s21, 0x700000
	s_or_b32 s20, s20, s76
	s_or_b32 s88, s20, s21
	s_branch .LBB4_9513
.LBB4_9512:                             ;   in Loop: Header=BB4_9508 Depth=2
	s_mov_b32 s88, 0
.LBB4_9513:                             ;   in Loop: Header=BB4_9508 Depth=2
	v_add_co_u32_e32 v12, vcc, v10, v0
	v_addc_co_u32_e32 v13, vcc, v11, v2, vcc
	flat_load_ubyte v3, v[12:13] glc slc
	v_mov_b32_e32 v4, 0
	s_waitcnt vmcnt(0) lgkmcnt(0)
	v_cmp_ne_u16_e32 vcc, 0, v3
	s_and_saveexec_b64 s[20:21], vcc
	s_cbranch_execz .LBB4_9519
; %bb.9514:                             ;   in Loop: Header=BB4_9508 Depth=2
	v_cmp_ne_u16_e32 vcc, s48, v3
	v_bfrev_b32_e32 v4, 1
	s_and_saveexec_b64 s[76:77], vcc
	s_cbranch_execz .LBB4_9518
; %bb.9515:                             ;   in Loop: Header=BB4_9508 Depth=2
	v_and_b32_e32 v14, 0xffff, v3
	v_and_b32_e32 v5, 0x7f, v14
	v_cmp_ne_u32_e32 vcc, s39, v5
	v_mov_b32_e32 v4, 0x7f800001
	s_and_saveexec_b64 s[78:79], vcc
	s_cbranch_execz .LBB4_9517
; %bb.9516:                             ;   in Loop: Header=BB4_9508 Depth=2
	v_and_b32_e32 v4, 7, v14
	v_ffbh_u32_e32 v6, v4
	v_min_u32_e32 v9, 32, v6
	v_subrev_u32_e32 v6, 28, v9
	v_lshlrev_b64 v[6:7], v6, v[14:15]
	v_lshrrev_b32_e32 v8, 3, v5
	v_sub_u32_e32 v7, 29, v9
	v_and_b32_e32 v6, 7, v6
	v_cmp_gt_u32_e32 vcc, 8, v5
	v_cndmask_b32_e32 v5, v8, v7, vcc
	v_cndmask_b32_e32 v4, v4, v6, vcc
	v_lshlrev_b32_e32 v3, 24, v3
	v_bfrev_b32_e32 v6, 60
	v_lshlrev_b32_e32 v4, 20, v4
	v_and_b32_e32 v3, 0x80000000, v3
	v_lshl_add_u32 v5, v5, 23, v6
	v_or3_b32 v4, v3, v5, v4
.LBB4_9517:                             ;   in Loop: Header=BB4_9508 Depth=2
	s_or_b64 exec, exec, s[78:79]
.LBB4_9518:                             ;   in Loop: Header=BB4_9508 Depth=2
	s_or_b64 exec, exec, s[76:77]
.LBB4_9519:                             ;   in Loop: Header=BB4_9508 Depth=2
	s_or_b64 exec, exec, s[20:21]
	v_mul_f32_e32 v5, s88, v4
	v_and_b32_e32 v14, 0x7f800000, v5
	v_cmp_ne_u64_e32 vcc, s[46:47], v[14:15]
                                        ; implicit-def: $vgpr4
	s_and_saveexec_b64 s[20:21], vcc
	s_xor_b64 s[76:77], exec, s[20:21]
	s_cbranch_execz .LBB4_9537
; %bb.9520:                             ;   in Loop: Header=BB4_9508 Depth=2
	v_and_b32_e32 v14, 0x7fffffff, v5
	v_cmp_gt_u64_e32 vcc, s[56:57], v[14:15]
	v_and_b32_sdwa v3, v5, s48 dst_sel:DWORD dst_unused:UNUSED_PAD src0_sel:BYTE_3 src1_sel:DWORD
                                        ; implicit-def: $vgpr4
	s_and_saveexec_b64 s[20:21], vcc
	s_xor_b64 s[78:79], exec, s[20:21]
	s_cbranch_execz .LBB4_9534
; %bb.9521:                             ;   in Loop: Header=BB4_9508 Depth=2
	v_cmp_ne_u32_e32 vcc, 0, v5
	v_mov_b32_e32 v4, 0
	s_and_saveexec_b64 s[88:89], vcc
	s_cbranch_execz .LBB4_9533
; %bb.9522:                             ;   in Loop: Header=BB4_9508 Depth=2
	v_bfe_u32 v4, v5, 23, 8
	v_and_b32_e32 v6, 0x7fffff, v5
	v_cmp_gt_u32_e64 s[20:21], s49, v4
	v_sub_u32_e32 v5, 0x79, v4
	v_cmp_eq_u32_e32 vcc, 0, v4
	v_cndmask_b32_e64 v5, 0, v5, s[20:21]
	v_or_b32_e32 v7, 0x800000, v6
	v_cndmask_b32_e32 v5, v5, v47, vcc
	v_cndmask_b32_e32 v14, v7, v6, vcc
	v_add_u32_e32 v6, 20, v5
	v_lshlrev_b64 v[6:7], v6, -1
	v_add_u32_e32 v8, 19, v5
	v_lshlrev_b64 v[8:9], v8, 1
	v_lshrrev_b64 v[38:39], v5, v[14:15]
	v_bfi_b32 v7, v7, 0, 0
	v_bfi_b32 v6, v6, 0, v14
	v_cmp_eq_u64_e64 s[20:21], v[6:7], v[8:9]
	v_mov_b32_e32 v49, v39
	v_mov_b32_e32 v48, v38
	s_and_saveexec_b64 s[90:91], s[20:21]
; %bb.9523:                             ;   in Loop: Header=BB4_9508 Depth=2
	v_bfe_u32 v6, v38, 20, 1
	v_add_co_u32_e64 v6, s[20:21], v38, v6
	v_add_co_u32_e64 v48, s[20:21], -1, v6
; %bb.9524:                             ;   in Loop: Header=BB4_9508 Depth=2
	s_or_b64 exec, exec, s[90:91]
	v_add_u32_e32 v4, 0xffffff81, v4
	v_cndmask_b32_e32 v4, v4, v44, vcc
	v_lshrrev_b32_e32 v6, 23, v38
	v_add3_u32 v6, v5, v4, v6
	v_add_u32_e32 v4, 6, v6
	v_and_b32_e32 v5, 0xfffff, v48
	v_add_u32_e32 v14, v5, v38
	v_cmp_ne_u32_e32 vcc, 0, v4
                                        ; implicit-def: $vgpr38_vgpr39
                                        ; implicit-def: $vgpr5
	s_and_saveexec_b64 s[20:21], vcc
	s_xor_b64 s[20:21], exec, s[20:21]
; %bb.9525:                             ;   in Loop: Header=BB4_9508 Depth=2
	v_cmp_lt_u64_e32 vcc, s[58:59], v[14:15]
	v_add_u32_e32 v5, 7, v6
	v_cndmask_b32_e32 v5, v4, v5, vcc
	v_cndmask_b32_e64 v4, 0, 1, vcc
	v_lshrrev_b64 v[38:39], v4, v[14:15]
; %bb.9526:                             ;   in Loop: Header=BB4_9508 Depth=2
	s_andn2_saveexec_b64 s[20:21], s[20:21]
; %bb.9527:                             ;   in Loop: Header=BB4_9508 Depth=2
	v_mov_b32_e32 v39, v15
	v_bfe_u32 v5, v14, 23, 1
	v_mov_b32_e32 v38, v14
; %bb.9528:                             ;   in Loop: Header=BB4_9508 Depth=2
	s_or_b64 exec, exec, s[20:21]
	v_lshrrev_b64 v[6:7], 20, v[38:39]
	v_cmp_gt_i32_e32 vcc, 16, v5
	v_cndmask_b32_e32 v39, 0, v7, vcc
	v_cndmask_b32_e32 v38, 7, v6, vcc
	v_cmp_ne_u64_e32 vcc, 0, v[38:39]
	v_cmp_ne_u32_e64 s[20:21], 0, v5
	s_or_b64 s[20:21], s[20:21], vcc
                                        ; implicit-def: $vgpr4
	s_and_saveexec_b64 s[90:91], s[20:21]
	s_xor_b64 s[20:21], exec, s[90:91]
; %bb.9529:                             ;   in Loop: Header=BB4_9508 Depth=2
	v_min_i32_e32 v4, 15, v5
	v_lshl_or_b32 v3, v4, 3, v3
	v_and_or_b32 v4, v38, 7, v3
                                        ; implicit-def: $vgpr3
; %bb.9530:                             ;   in Loop: Header=BB4_9508 Depth=2
	s_andn2_saveexec_b64 s[20:21], s[20:21]
; %bb.9531:                             ;   in Loop: Header=BB4_9508 Depth=2
	v_mov_b32_e32 v4, v3
; %bb.9532:                             ;   in Loop: Header=BB4_9508 Depth=2
	s_or_b64 exec, exec, s[20:21]
.LBB4_9533:                             ;   in Loop: Header=BB4_9508 Depth=2
	s_or_b64 exec, exec, s[88:89]
                                        ; implicit-def: $vgpr3
.LBB4_9534:                             ;   in Loop: Header=BB4_9508 Depth=2
	s_andn2_saveexec_b64 s[20:21], s[78:79]
; %bb.9535:                             ;   in Loop: Header=BB4_9508 Depth=2
	v_or_b32_e32 v4, 0x7e, v3
; %bb.9536:                             ;   in Loop: Header=BB4_9508 Depth=2
	s_or_b64 exec, exec, s[20:21]
                                        ; implicit-def: $vgpr5
.LBB4_9537:                             ;   in Loop: Header=BB4_9508 Depth=2
	s_andn2_saveexec_b64 s[20:21], s[76:77]
	s_cbranch_execz .LBB4_9507
; %bb.9538:                             ;   in Loop: Header=BB4_9508 Depth=2
	v_or_b32_sdwa v4, v5, s39 dst_sel:DWORD dst_unused:UNUSED_PAD src0_sel:BYTE_3 src1_sel:DWORD
	s_branch .LBB4_9507
.LBB4_9539:                             ;   in Loop: Header=BB4_7219 Depth=1
	s_or_b64 exec, exec, s[22:23]
	buffer_load_dword v0, off, s[0:3], s33 offset:304 ; 4-byte Folded Reload
	s_waitcnt vmcnt(0)
	v_cmp_ne_u32_e64 s[20:21], 0, v0
.LBB4_9540:                             ;   in Loop: Header=BB4_7219 Depth=1
	buffer_load_dword v5, off, s[0:3], s33 offset:292 ; 4-byte Folded Reload
	buffer_load_dword v6, off, s[0:3], s33 offset:296 ; 4-byte Folded Reload
	;; [unrolled: 1-line block ×4, first 2 shown]
	s_and_saveexec_b64 s[22:23], s[10:11]
	s_cbranch_execz .LBB4_9559
.LBB4_9541:                             ;   in Loop: Header=BB4_7219 Depth=1
	s_and_saveexec_b64 s[74:75], s[40:41]
	s_xor_b64 s[74:75], exec, s[74:75]
	s_cbranch_execz .LBB4_9556
; %bb.9542:                             ;   in Loop: Header=BB4_7219 Depth=1
	s_and_saveexec_b64 s[76:77], s[12:13]
	s_cbranch_execz .LBB4_9555
; %bb.9543:                             ;   in Loop: Header=BB4_7219 Depth=1
	s_mov_b64 s[88:89], exec
	v_mbcnt_lo_u32_b32 v0, s88, 0
	v_mbcnt_hi_u32_b32 v0, s89, v0
	v_cmp_eq_u32_e32 vcc, 0, v0
	s_waitcnt vmcnt(0) lgkmcnt(0)
	buffer_wbinvl1_vol
	s_and_saveexec_b64 s[78:79], vcc
	s_cbranch_execz .LBB4_9545
; %bb.9544:                             ;   in Loop: Header=BB4_7219 Depth=1
	s_bcnt1_i32_b64 s88, s[88:89]
	v_mov_b32_e32 v14, s88
	ds_add_u64 v0, v[14:15]
	s_trap 2
.LBB4_9545:                             ;   in Loop: Header=BB4_7219 Depth=1
	s_or_b64 exec, exec, s[78:79]
	s_trap 2
	ds_read_b64 v[0:1], v0
	s_waitcnt lgkmcnt(0)
	buffer_load_dword v2, off, s[0:3], s33 offset:80 ; 4-byte Folded Reload
	buffer_load_dword v3, off, s[0:3], s33 offset:84 ; 4-byte Folded Reload
	s_waitcnt vmcnt(1)
	v_add_co_u32_e32 v2, vcc, v2, v59
	s_waitcnt vmcnt(0)
	v_addc_co_u32_e32 v3, vcc, 0, v3, vcc
	buffer_store_dword v2, off, s[0:3], s33 offset:80 ; 4-byte Folded Spill
	s_nop 0
	buffer_store_dword v3, off, s[0:3], s33 offset:84 ; 4-byte Folded Spill
	v_cmp_lt_u64_e32 vcc, v[0:1], v[2:3]
	s_and_saveexec_b64 s[78:79], vcc
	s_cbranch_execz .LBB4_9554
; %bb.9546:                             ;   in Loop: Header=BB4_7219 Depth=1
	s_mov_b32 s34, 0
	s_mov_b64 s[88:89], 0
                                        ; implicit-def: $sgpr90_sgpr91
                                        ; implicit-def: $sgpr92_sgpr93
	s_branch .LBB4_9548
.LBB4_9547:                             ;   in Loop: Header=BB4_9548 Depth=2
	s_or_b64 exec, exec, s[30:31]
	s_and_b64 s[94:95], exec, vcc
	s_or_b64 s[88:89], s[94:95], s[88:89]
	s_andn2_b64 s[90:91], s[90:91], exec
	s_and_b64 s[94:95], s[92:93], exec
	s_or_b64 s[90:91], s[90:91], s[94:95]
	s_andn2_b64 exec, exec, s[88:89]
	s_cbranch_execz .LBB4_9552
.LBB4_9548:                             ;   Parent Loop BB4_7219 Depth=1
                                        ; =>  This Inner Loop Header: Depth=2
	s_add_i32 s34, s34, 1
	s_cmpk_lg_i32 s34, 0x2710
	s_cselect_b64 s[94:95], -1, 0
	s_and_b64 vcc, exec, s[94:95]
	s_cbranch_vccz .LBB4_9550
; %bb.9549:                             ;   in Loop: Header=BB4_9548 Depth=2
	s_mov_b64 vcc, -1
	s_or_b64 s[92:93], s[92:93], exec
	s_and_saveexec_b64 s[30:31], s[94:95]
	s_cbranch_execz .LBB4_9547
	s_branch .LBB4_9551
.LBB4_9550:                             ;   in Loop: Header=BB4_9548 Depth=2
	s_trap 2
	ds_read_b64 v[0:1], v0
	s_andn2_b64 s[94:95], s[94:95], exec
	s_mov_b32 s34, 0
	s_waitcnt vmcnt(0) lgkmcnt(0)
	flat_load_dword v0, v[0:1] glc
	s_waitcnt vmcnt(0) lgkmcnt(0)
	buffer_wbinvl1_vol
	v_cmp_eq_u32_e32 vcc, 0, v0
	s_and_b64 vcc, vcc, exec
	s_or_b64 s[94:95], s[94:95], vcc
	s_mov_b64 vcc, -1
	s_or_b64 s[92:93], s[92:93], exec
	s_and_saveexec_b64 s[30:31], s[94:95]
	s_cbranch_execz .LBB4_9547
.LBB4_9551:                             ;   in Loop: Header=BB4_9548 Depth=2
	s_sleep 1
	s_trap 2
	ds_read_b64 v[0:1], v0
	s_waitcnt lgkmcnt(0)
	buffer_load_dword v2, off, s[0:3], s33 offset:80 ; 4-byte Folded Reload
	buffer_load_dword v3, off, s[0:3], s33 offset:84 ; 4-byte Folded Reload
	s_andn2_b64 s[92:93], s[92:93], exec
	s_waitcnt vmcnt(0)
	v_cmp_ge_u64_e32 vcc, v[0:1], v[2:3]
	s_orn2_b64 vcc, vcc, exec
	s_branch .LBB4_9547
.LBB4_9552:                             ;   in Loop: Header=BB4_7219 Depth=1
	s_or_b64 exec, exec, s[88:89]
	s_and_saveexec_b64 s[88:89], s[90:91]
	s_xor_b64 s[88:89], exec, s[88:89]
	s_cbranch_execz .LBB4_9554
; %bb.9553:                             ;   in Loop: Header=BB4_7219 Depth=1
	v_mov_b32_e32 v0, 1
	ds_write_b32 v0, v0
	s_trap 2
.LBB4_9554:                             ;   in Loop: Header=BB4_7219 Depth=1
	s_or_b64 exec, exec, s[78:79]
	;;#ASMSTART
	s_wakeup
	;;#ASMEND
.LBB4_9555:                             ;   in Loop: Header=BB4_7219 Depth=1
	s_or_b64 exec, exec, s[76:77]
.LBB4_9556:                             ;   in Loop: Header=BB4_7219 Depth=1
	s_andn2_saveexec_b64 s[74:75], s[74:75]
	s_cbranch_execz .LBB4_9558
; %bb.9557:                             ;   in Loop: Header=BB4_7219 Depth=1
	s_waitcnt vmcnt(0) lgkmcnt(0)
	buffer_wbinvl1_vol
	s_barrier
.LBB4_9558:                             ;   in Loop: Header=BB4_7219 Depth=1
	s_or_b64 exec, exec, s[74:75]
.LBB4_9559:                             ;   in Loop: Header=BB4_7219 Depth=1
	s_or_b64 exec, exec, s[22:23]
	buffer_load_dword v0, off, s[0:3], s33 offset:76 ; 4-byte Folded Reload
	s_waitcnt vmcnt(0)
	v_and_b32_e32 v0, 16, v0
	v_cmp_ne_u32_e32 vcc, 0, v0
	s_and_b64 s[22:23], vcc, s[20:21]
	s_and_saveexec_b64 s[20:21], s[22:23]
	s_cbranch_execz .LBB4_9561
; %bb.9560:                             ;   in Loop: Header=BB4_7219 Depth=1
	s_waitcnt lgkmcnt(0)
	buffer_wbinvl1_vol
.LBB4_9561:                             ;   in Loop: Header=BB4_7219 Depth=1
	s_or_b64 exec, exec, s[20:21]
	v_cmp_ne_u32_e32 vcc, 0, v0
	s_and_saveexec_b64 s[20:21], vcc
	s_cbranch_execz .LBB4_9565
; %bb.9562:                             ;   in Loop: Header=BB4_7219 Depth=1
	s_and_saveexec_b64 s[22:23], s[18:19]
	s_cbranch_execz .LBB4_9564
; %bb.9563:                             ;   in Loop: Header=BB4_7219 Depth=1
	buffer_load_dword v0, off, s[0:3], s33 offset:316 ; 4-byte Folded Reload
	buffer_load_dword v1, off, s[0:3], s33 offset:320 ; 4-byte Folded Reload
	v_mov_b32_e32 v2, 1
	s_waitcnt vmcnt(0)
	flat_store_dword v[0:1], v2
.LBB4_9564:                             ;   in Loop: Header=BB4_7219 Depth=1
	s_or_b64 exec, exec, s[22:23]
	buffer_load_dword v0, off, s[0:3], s33 offset:60 ; 4-byte Folded Reload
	buffer_load_dword v1, off, s[0:3], s33 offset:64 ; 4-byte Folded Reload
	v_add_co_u32_e32 v36, vcc, 1, v36
	v_addc_co_u32_e32 v37, vcc, 0, v37, vcc
	s_waitcnt vmcnt(0)
	flat_store_dwordx2 v[0:1], v[36:37]
.LBB4_9565:                             ;   in Loop: Header=BB4_7219 Depth=1
	s_or_b64 exec, exec, s[20:21]
	v_mov_b32_e32 v0, v6
.LBB4_9566:                             ;   in Loop: Header=BB4_7219 Depth=1
	s_or_b64 exec, exec, s[72:73]
	s_and_saveexec_b64 s[22:23], s[62:63]
	s_cbranch_execz .LBB4_7218
; %bb.9567:                             ;   in Loop: Header=BB4_7219 Depth=1
	v_sub_u32_e32 v0, v5, v0
	v_min_i32_e32 v10, v6, v0
	buffer_load_dword v0, off, s[0:3], s33 offset:76 ; 4-byte Folded Reload
	s_waitcnt vmcnt(0)
	v_and_b32_e32 v0, 8, v0
	v_cmp_ne_u32_e32 vcc, 0, v0
	s_and_saveexec_b64 s[62:63], vcc
	s_cbranch_execz .LBB4_9589
; %bb.9568:                             ;   in Loop: Header=BB4_7219 Depth=1
	buffer_load_dword v0, off, s[0:3], s33 offset:68 ; 4-byte Folded Reload
	buffer_load_dword v1, off, s[0:3], s33 offset:72 ; 4-byte Folded Reload
	s_waitcnt vmcnt(0)
	v_add_co_u32_e32 v0, vcc, 8, v0
	v_addc_co_u32_e32 v1, vcc, 0, v1, vcc
	v_add_co_u32_e32 v12, vcc, 1, v36
	v_addc_co_u32_e32 v13, vcc, 0, v37, vcc
	v_cmp_lt_u64_e32 vcc, v[0:1], v[12:13]
	s_and_saveexec_b64 s[72:73], vcc
	s_cbranch_execz .LBB4_9580
; %bb.9569:                             ;   in Loop: Header=BB4_7219 Depth=1
	buffer_load_dword v0, off, s[0:3], s33 offset:76 ; 4-byte Folded Reload
	s_mov_b32 s36, 0
	s_mov_b64 s[74:75], 0
                                        ; implicit-def: $sgpr76_sgpr77
                                        ; implicit-def: $sgpr78_sgpr79
                                        ; implicit-def: $sgpr88_sgpr89
	s_waitcnt vmcnt(0)
	v_and_b32_e32 v0, 64, v0
	v_cmp_eq_u32_e32 vcc, 0, v0
	s_branch .LBB4_9572
.LBB4_9570:                             ;   in Loop: Header=BB4_9572 Depth=2
	s_or_b64 exec, exec, s[34:35]
	s_andn2_b64 s[20:21], s[88:89], exec
	s_and_b64 s[88:89], s[94:95], exec
	s_or_b64 s[88:89], s[20:21], s[88:89]
	s_andn2_b64 s[20:21], s[78:79], exec
	s_and_b64 s[78:79], s[92:93], exec
	s_or_b64 s[78:79], s[20:21], s[78:79]
.LBB4_9571:                             ;   in Loop: Header=BB4_9572 Depth=2
	s_or_b64 exec, exec, s[90:91]
	s_and_b64 s[20:21], exec, s[78:79]
	s_or_b64 s[74:75], s[20:21], s[74:75]
	s_andn2_b64 s[20:21], s[76:77], exec
	s_and_b64 s[76:77], s[88:89], exec
	s_or_b64 s[76:77], s[20:21], s[76:77]
	s_andn2_b64 exec, exec, s[74:75]
	s_cbranch_execz .LBB4_9577
.LBB4_9572:                             ;   Parent Loop BB4_7219 Depth=1
                                        ; =>  This Inner Loop Header: Depth=2
	s_sleep 1
	buffer_load_dword v0, off, s[0:3], s33 offset:60 ; 4-byte Folded Reload
	buffer_load_dword v1, off, s[0:3], s33 offset:64 ; 4-byte Folded Reload
	s_or_b64 s[88:89], s[88:89], exec
	s_or_b64 s[78:79], s[78:79], exec
	s_waitcnt vmcnt(0) lgkmcnt(0)
	flat_load_dwordx2 v[3:4], v[0:1] glc
                                        ; implicit-def: $vgpr0
	s_and_saveexec_b64 s[90:91], vcc
	s_cbranch_execz .LBB4_9571
; %bb.9573:                             ;   in Loop: Header=BB4_9572 Depth=2
	s_cmpk_lt_i32 s36, 0x270f
	s_cselect_b64 s[30:31], -1, 0
	s_cmpk_gt_i32 s36, 0x270e
	s_mov_b64 s[92:93], -1
	s_cbranch_scc0 .LBB4_9575
; %bb.9574:                             ;   in Loop: Header=BB4_9572 Depth=2
	s_trap 2
	ds_read_b64 v[0:1], v0
	s_andn2_b64 s[30:31], s[30:31], exec
	s_mov_b32 s36, 0
	s_mov_b64 s[94:95], 0
	s_waitcnt vmcnt(0) lgkmcnt(0)
	flat_load_dword v0, v[0:1] glc
	s_waitcnt vmcnt(0) lgkmcnt(0)
	buffer_wbinvl1_vol
	v_cmp_eq_u32_e64 s[20:21], 0, v0
	s_and_b64 s[20:21], s[20:21], exec
	s_or_b64 s[30:31], s[30:31], s[20:21]
	s_and_saveexec_b64 s[34:35], s[30:31]
	s_cbranch_execz .LBB4_9570
	s_branch .LBB4_9576
.LBB4_9575:                             ;   in Loop: Header=BB4_9572 Depth=2
	s_add_i32 s36, s36, 1
	s_mov_b64 s[94:95], -1
                                        ; implicit-def: $vgpr0
	s_and_saveexec_b64 s[34:35], s[30:31]
	s_cbranch_execz .LBB4_9570
.LBB4_9576:                             ;   in Loop: Header=BB4_9572 Depth=2
	s_waitcnt vmcnt(0) lgkmcnt(0)
	v_add_co_u32_e64 v1, s[20:21], 8, v3
	v_addc_co_u32_e64 v2, s[20:21], 0, v4, s[20:21]
	v_cmp_ge_u64_e64 s[20:21], v[1:2], v[12:13]
	s_or_b64 s[94:95], s[94:95], exec
	s_orn2_b64 s[92:93], s[20:21], exec
	s_branch .LBB4_9570
.LBB4_9577:                             ;   in Loop: Header=BB4_7219 Depth=1
	s_or_b64 exec, exec, s[74:75]
	s_xor_b64 s[20:21], s[76:77], -1
	s_waitcnt vmcnt(0) lgkmcnt(0)
	buffer_store_dword v3, off, s[0:3], s33 offset:68 ; 4-byte Folded Spill
	s_nop 0
	buffer_store_dword v4, off, s[0:3], s33 offset:72 ; 4-byte Folded Spill
	s_and_saveexec_b64 s[74:75], s[20:21]
	s_xor_b64 s[20:21], exec, s[74:75]
	s_cbranch_execz .LBB4_9579
; %bb.9578:                             ;   in Loop: Header=BB4_7219 Depth=1
	ds_write_b32 v0, v0
	s_trap 2
	buffer_load_dword v0, off, s[0:3], s33 offset:76 ; 4-byte Folded Reload
	s_waitcnt vmcnt(0)
	v_or_b32_e32 v0, 64, v0
	buffer_store_dword v0, off, s[0:3], s33 offset:76 ; 4-byte Folded Spill
.LBB4_9579:                             ;   in Loop: Header=BB4_7219 Depth=1
	s_or_b64 exec, exec, s[20:21]
.LBB4_9580:                             ;   in Loop: Header=BB4_7219 Depth=1
	s_or_b64 exec, exec, s[72:73]
	;;#ASMSTART
	s_wakeup
	;;#ASMEND
	buffer_load_dword v0, off, s[0:3], s33 offset:76 ; 4-byte Folded Reload
	s_mov_b64 s[20:21], -1
                                        ; implicit-def: $vgpr8_vgpr9
	s_waitcnt vmcnt(0)
	v_and_b32_e32 v0, 0x100, v0
	v_cmp_ne_u32_e32 vcc, 0, v0
	v_and_b32_e32 v0, 7, v36
	s_and_saveexec_b64 s[72:73], vcc
	s_cbranch_execz .LBB4_9584
; %bb.9581:                             ;   in Loop: Header=BB4_7219 Depth=1
	v_mad_u64_u32 v[36:37], s[20:21], v0, 24, v[34:35]
	v_mov_b32_e32 v2, v34
	v_mov_b32_e32 v3, v35
	flat_load_dword v1, v[36:37]
	v_ashrrev_i32_e32 v11, 31, v10
	flat_store_dwordx2 v[36:37], v[10:11] offset:8
                                        ; implicit-def: $vgpr8_vgpr9
	s_waitcnt vmcnt(0) lgkmcnt(0)
	v_cmp_ne_u32_e32 vcc, 1, v1
	v_cmp_eq_u32_e64 s[20:21], 1, v1
	s_and_saveexec_b64 s[74:75], s[20:21]
	s_cbranch_execz .LBB4_9583
; %bb.9582:                             ;   in Loop: Header=BB4_7219 Depth=1
	flat_load_dword v8, v[36:37] offset:4 glc
	s_waitcnt vmcnt(0) lgkmcnt(0)
	v_ashrrev_i32_e32 v9, 31, v8
.LBB4_9583:                             ;   in Loop: Header=BB4_7219 Depth=1
	s_or_b64 exec, exec, s[74:75]
	v_mov_b32_e32 v35, v3
	s_orn2_b64 s[20:21], vcc, exec
	v_mov_b32_e32 v34, v2
.LBB4_9584:                             ;   in Loop: Header=BB4_7219 Depth=1
	s_or_b64 exec, exec, s[72:73]
	s_and_saveexec_b64 s[72:73], s[20:21]
	s_cbranch_execz .LBB4_9586
; %bb.9585:                             ;   in Loop: Header=BB4_7219 Depth=1
	buffer_load_dword v1, off, s[0:3], s33 offset:312 ; 4-byte Folded Reload
	s_waitcnt vmcnt(0)
	v_mad_i64_i32 v[8:9], s[20:21], v0, v1, 0
.LBB4_9586:                             ;   in Loop: Header=BB4_7219 Depth=1
	s_or_b64 exec, exec, s[72:73]
	buffer_load_dword v0, off, s[0:3], s33 offset:260 ; 4-byte Folded Reload
	buffer_load_dword v1, off, s[0:3], s33 offset:264 ; 4-byte Folded Reload
	s_waitcnt vmcnt(0)
	v_add_co_u32_e32 v0, vcc, v0, v8
	v_addc_co_u32_e32 v1, vcc, v1, v9, vcc
	ds_write_b64 v0, v[0:1] offset:784
	buffer_load_dword v0, off, s[0:3], s33 offset:76 ; 4-byte Folded Reload
	s_waitcnt vmcnt(0)
	v_and_b32_e32 v0, 0x2000, v0
	v_cmp_ne_u32_e32 vcc, 0, v0
	s_and_saveexec_b64 s[20:21], vcc
	s_cbranch_execz .LBB4_9588
; %bb.9587:                             ;   in Loop: Header=BB4_7219 Depth=1
	ds_read_b64 v[0:1], v0 offset:872
	s_waitcnt lgkmcnt(0)
	v_add_co_u32_e32 v0, vcc, 1, v0
	v_addc_co_u32_e32 v1, vcc, 0, v1, vcc
	ds_write_b64 v0, v[0:1] offset:872
.LBB4_9588:                             ;   in Loop: Header=BB4_7219 Depth=1
	s_or_b64 exec, exec, s[20:21]
	v_mov_b32_e32 v37, v13
	v_mov_b32_e32 v36, v12
.LBB4_9589:                             ;   in Loop: Header=BB4_7219 Depth=1
	s_or_b64 exec, exec, s[62:63]
	s_and_saveexec_b64 s[20:21], s[10:11]
	s_cbranch_execz .LBB4_9608
; %bb.9590:                             ;   in Loop: Header=BB4_7219 Depth=1
	s_and_saveexec_b64 s[62:63], s[40:41]
	s_xor_b64 s[62:63], exec, s[62:63]
	s_cbranch_execz .LBB4_9605
; %bb.9591:                             ;   in Loop: Header=BB4_7219 Depth=1
	s_and_saveexec_b64 s[72:73], s[12:13]
	s_cbranch_execz .LBB4_9604
; %bb.9592:                             ;   in Loop: Header=BB4_7219 Depth=1
	s_mov_b64 s[76:77], exec
	v_mbcnt_lo_u32_b32 v0, s76, 0
	v_mbcnt_hi_u32_b32 v0, s77, v0
	v_cmp_eq_u32_e32 vcc, 0, v0
	s_waitcnt lgkmcnt(0)
	buffer_wbinvl1_vol
	s_and_saveexec_b64 s[74:75], vcc
	s_cbranch_execz .LBB4_9594
; %bb.9593:                             ;   in Loop: Header=BB4_7219 Depth=1
	s_bcnt1_i32_b64 s76, s[76:77]
	v_mov_b32_e32 v14, s76
	ds_add_u64 v0, v[14:15]
	s_trap 2
.LBB4_9594:                             ;   in Loop: Header=BB4_7219 Depth=1
	s_or_b64 exec, exec, s[74:75]
	s_trap 2
	ds_read_b64 v[0:1], v0
	s_waitcnt lgkmcnt(0)
	buffer_load_dword v2, off, s[0:3], s33 offset:80 ; 4-byte Folded Reload
	buffer_load_dword v3, off, s[0:3], s33 offset:84 ; 4-byte Folded Reload
	s_waitcnt vmcnt(1)
	v_add_co_u32_e32 v2, vcc, v2, v59
	s_waitcnt vmcnt(0)
	v_addc_co_u32_e32 v3, vcc, 0, v3, vcc
	buffer_store_dword v2, off, s[0:3], s33 offset:80 ; 4-byte Folded Spill
	s_nop 0
	buffer_store_dword v3, off, s[0:3], s33 offset:84 ; 4-byte Folded Spill
	v_cmp_lt_u64_e32 vcc, v[0:1], v[2:3]
	s_and_saveexec_b64 s[74:75], vcc
	s_cbranch_execz .LBB4_9603
; %bb.9595:                             ;   in Loop: Header=BB4_7219 Depth=1
	s_mov_b32 s30, 0
	s_mov_b64 s[76:77], 0
                                        ; implicit-def: $sgpr78_sgpr79
                                        ; implicit-def: $sgpr88_sgpr89
	s_branch .LBB4_9597
.LBB4_9596:                             ;   in Loop: Header=BB4_9597 Depth=2
	s_or_b64 exec, exec, s[92:93]
	s_and_b64 s[90:91], exec, s[94:95]
	s_or_b64 s[76:77], s[90:91], s[76:77]
	s_andn2_b64 s[78:79], s[78:79], exec
	s_and_b64 s[90:91], s[88:89], exec
	s_or_b64 s[78:79], s[78:79], s[90:91]
	s_andn2_b64 exec, exec, s[76:77]
	s_cbranch_execz .LBB4_9601
.LBB4_9597:                             ;   Parent Loop BB4_7219 Depth=1
                                        ; =>  This Inner Loop Header: Depth=2
	s_add_i32 s30, s30, 1
	s_cmpk_lg_i32 s30, 0x2710
	s_cselect_b64 s[90:91], -1, 0
	s_and_b64 vcc, exec, s[90:91]
	s_cbranch_vccz .LBB4_9599
; %bb.9598:                             ;   in Loop: Header=BB4_9597 Depth=2
	s_mov_b64 s[94:95], -1
	s_or_b64 s[88:89], s[88:89], exec
	s_and_saveexec_b64 s[92:93], s[90:91]
	s_cbranch_execz .LBB4_9596
	s_branch .LBB4_9600
.LBB4_9599:                             ;   in Loop: Header=BB4_9597 Depth=2
	s_trap 2
	ds_read_b64 v[0:1], v0
	s_andn2_b64 s[90:91], s[90:91], exec
	s_mov_b32 s30, 0
	s_waitcnt vmcnt(0) lgkmcnt(0)
	flat_load_dword v0, v[0:1] glc
	s_waitcnt vmcnt(0) lgkmcnt(0)
	buffer_wbinvl1_vol
	v_cmp_eq_u32_e32 vcc, 0, v0
	s_and_b64 s[92:93], vcc, exec
	s_or_b64 s[90:91], s[90:91], s[92:93]
	s_mov_b64 s[94:95], -1
	s_or_b64 s[88:89], s[88:89], exec
	s_and_saveexec_b64 s[92:93], s[90:91]
	s_cbranch_execz .LBB4_9596
.LBB4_9600:                             ;   in Loop: Header=BB4_9597 Depth=2
	s_sleep 1
	s_trap 2
	ds_read_b64 v[0:1], v0
	s_waitcnt lgkmcnt(0)
	buffer_load_dword v2, off, s[0:3], s33 offset:80 ; 4-byte Folded Reload
	buffer_load_dword v3, off, s[0:3], s33 offset:84 ; 4-byte Folded Reload
	s_andn2_b64 s[88:89], s[88:89], exec
	s_waitcnt vmcnt(0)
	v_cmp_ge_u64_e32 vcc, v[0:1], v[2:3]
	s_orn2_b64 s[94:95], vcc, exec
	s_branch .LBB4_9596
.LBB4_9601:                             ;   in Loop: Header=BB4_7219 Depth=1
	s_or_b64 exec, exec, s[76:77]
	s_and_saveexec_b64 s[76:77], s[78:79]
	s_xor_b64 s[76:77], exec, s[76:77]
	s_cbranch_execz .LBB4_9603
; %bb.9602:                             ;   in Loop: Header=BB4_7219 Depth=1
	v_mov_b32_e32 v0, 1
	ds_write_b32 v0, v0
	s_trap 2
.LBB4_9603:                             ;   in Loop: Header=BB4_7219 Depth=1
	s_or_b64 exec, exec, s[74:75]
	;;#ASMSTART
	s_wakeup
	;;#ASMEND
.LBB4_9604:                             ;   in Loop: Header=BB4_7219 Depth=1
	s_or_b64 exec, exec, s[72:73]
.LBB4_9605:                             ;   in Loop: Header=BB4_7219 Depth=1
	s_andn2_saveexec_b64 s[62:63], s[62:63]
	s_cbranch_execz .LBB4_9607
; %bb.9606:                             ;   in Loop: Header=BB4_7219 Depth=1
	s_waitcnt vmcnt(0) lgkmcnt(0)
	buffer_wbinvl1_vol
	s_barrier
.LBB4_9607:                             ;   in Loop: Header=BB4_7219 Depth=1
	s_or_b64 exec, exec, s[62:63]
.LBB4_9608:                             ;   in Loop: Header=BB4_7219 Depth=1
	s_or_b64 exec, exec, s[20:21]
	s_trap 2
	ds_read_b32 v1, v0
	buffer_load_dword v0, off, s[0:3], s33 offset:76 ; 4-byte Folded Reload
	v_cmp_lt_i32_e32 vcc, 0, v10
	s_waitcnt lgkmcnt(0)
	v_readfirstlane_b32 s20, v1
	s_cmp_eq_u32 s20, 0
	s_cselect_b64 s[20:21], -1, 0
	s_and_b64 s[20:21], vcc, s[20:21]
	s_waitcnt vmcnt(0)
	v_and_b32_e32 v0, 16, v0
	v_cmp_ne_u32_e32 vcc, 0, v0
	s_and_b64 s[62:63], vcc, s[20:21]
	s_and_saveexec_b64 s[20:21], s[62:63]
	s_cbranch_execz .LBB4_9610
; %bb.9609:                             ;   in Loop: Header=BB4_7219 Depth=1
	buffer_wbinvl1_vol
.LBB4_9610:                             ;   in Loop: Header=BB4_7219 Depth=1
	s_or_b64 exec, exec, s[20:21]
	v_cmp_ne_u32_e32 vcc, 0, v0
	s_and_saveexec_b64 s[20:21], vcc
	s_cbranch_execz .LBB4_7217
; %bb.9611:                             ;   in Loop: Header=BB4_7219 Depth=1
	s_and_saveexec_b64 s[62:63], s[18:19]
	s_cbranch_execz .LBB4_7216
; %bb.9612:                             ;   in Loop: Header=BB4_7219 Depth=1
	buffer_load_dword v0, off, s[0:3], s33 offset:316 ; 4-byte Folded Reload
	buffer_load_dword v1, off, s[0:3], s33 offset:320 ; 4-byte Folded Reload
	v_mov_b32_e32 v2, 1
	s_waitcnt vmcnt(0)
	flat_store_dword v[0:1], v2
	s_branch .LBB4_7216
.LBB4_9613:
	s_or_b64 exec, exec, s[42:43]
	buffer_load_dword v18, off, s[0:3], s33 offset:344 ; 4-byte Folded Reload
.LBB4_9614:
	s_or_b64 exec, exec, s[28:29]
.LBB4_9615:
	s_or_b64 exec, exec, s[26:27]
	buffer_load_dword v1, off, s[0:3], s33 offset:76 ; 4-byte Folded Reload
	s_waitcnt vmcnt(0)
	v_and_b32_e32 v0, 0x800, v1
	v_cmp_eq_u32_e32 vcc, 0, v0
	s_and_saveexec_b64 s[6:7], vcc
	s_cbranch_execz .LBB4_9648
; %bb.9616:
	v_and_b32_e32 v0, 48, v1
	v_cmp_ne_u32_e32 vcc, 0, v0
	s_and_saveexec_b64 s[4:5], vcc
	s_cbranch_execz .LBB4_9618
; %bb.9617:
	buffer_load_dword v0, off, s[0:3], s33 offset:332 ; 4-byte Folded Reload
	buffer_load_dword v1, off, s[0:3], s33 offset:336 ; 4-byte Folded Reload
	s_waitcnt vmcnt(0)
	flat_store_dwordx2 v[0:1], v[36:37] offset:104
.LBB4_9618:
	s_or_b64 exec, exec, s[4:5]
	buffer_load_dword v3, off, s[0:3], s33 offset:76 ; 4-byte Folded Reload
	s_movk_i32 s4, 0x88
	s_waitcnt vmcnt(0)
	v_and_b32_e32 v0, 0x88, v3
	v_cmp_eq_u32_e32 vcc, s4, v0
	s_and_saveexec_b64 s[10:11], vcc
	s_cbranch_execz .LBB4_9628
; %bb.9619:
	v_add_u32_e32 v0, -1, v36
	v_and_b32_e32 v0, 7, v0
	v_mad_u64_u32 v[4:5], s[4:5], v0, 24, v[34:35]
	v_and_b32_e32 v2, 64, v3
	v_cmp_eq_u32_e64 s[4:5], 0, v2
	flat_load_dwordx2 v[0:1], v[4:5] offset:8 glc
	s_waitcnt vmcnt(0)
	s_mov_b32 s22, 0
	s_waitcnt lgkmcnt(0)
	v_cmp_ne_u64_e32 vcc, -1, v[0:1]
	s_and_b64 s[4:5], vcc, s[4:5]
	s_and_b64 exec, exec, s[4:5]
	s_cbranch_execz .LBB4_9628
; %bb.9620:
	s_mov_b64 s[4:5], 0
                                        ; implicit-def: $sgpr12_sgpr13
                                        ; implicit-def: $sgpr14_sgpr15
	s_branch .LBB4_9622
.LBB4_9621:                             ;   in Loop: Header=BB4_9622 Depth=1
	s_or_b64 exec, exec, s[20:21]
	s_and_b64 s[16:17], exec, s[18:19]
	s_or_b64 s[4:5], s[16:17], s[4:5]
	s_andn2_b64 s[12:13], s[12:13], exec
	s_and_b64 s[16:17], s[14:15], exec
	s_or_b64 s[12:13], s[12:13], s[16:17]
	s_andn2_b64 exec, exec, s[4:5]
	s_cbranch_execz .LBB4_9626
.LBB4_9622:                             ; =>This Inner Loop Header: Depth=1
	s_cmpk_lt_i32 s22, 0x270f
	s_cselect_b64 s[16:17], -1, 0
	s_and_b64 vcc, exec, s[16:17]
	s_cbranch_vccnz .LBB4_9624
; %bb.9623:                             ;   in Loop: Header=BB4_9622 Depth=1
	s_trap 2
	ds_read_b64 v[0:1], v0
	s_andn2_b64 s[16:17], s[16:17], exec
	s_mov_b32 s22, 0
	s_waitcnt lgkmcnt(0)
	flat_load_dword v0, v[0:1] glc
	s_waitcnt vmcnt(0) lgkmcnt(0)
	buffer_wbinvl1_vol
	v_cmp_eq_u32_e32 vcc, 0, v0
	s_and_b64 s[18:19], vcc, exec
	s_or_b64 s[16:17], s[16:17], s[18:19]
	s_mov_b64 s[18:19], -1
	s_or_b64 s[14:15], s[14:15], exec
	s_and_saveexec_b64 s[20:21], s[16:17]
	s_cbranch_execz .LBB4_9621
	s_branch .LBB4_9625
.LBB4_9624:                             ;   in Loop: Header=BB4_9622 Depth=1
	s_add_i32 s22, s22, 1
                                        ; implicit-def: $vgpr0
	s_mov_b64 s[18:19], -1
	s_or_b64 s[14:15], s[14:15], exec
	s_and_saveexec_b64 s[20:21], s[16:17]
	s_cbranch_execz .LBB4_9621
.LBB4_9625:                             ;   in Loop: Header=BB4_9622 Depth=1
	flat_load_dwordx2 v[1:2], v[4:5] offset:8 glc
	s_waitcnt vmcnt(0)
	s_andn2_b64 s[14:15], s[14:15], exec
	s_waitcnt lgkmcnt(0)
	v_cmp_eq_u64_e32 vcc, -1, v[1:2]
	s_orn2_b64 s[18:19], vcc, exec
	s_branch .LBB4_9621
.LBB4_9626:
	s_or_b64 exec, exec, s[4:5]
	s_mov_b64 s[4:5], exec
	buffer_load_dword v3, off, s[0:3], s33 offset:76 ; 4-byte Folded Reload
	s_and_b64 s[12:13], s[4:5], s[12:13]
	s_xor_b64 s[4:5], s[12:13], s[4:5]
	s_mov_b64 exec, s[12:13]
	s_cbranch_execz .LBB4_9628
; %bb.9627:
	ds_write_b32 v0, v0
	s_trap 2
.LBB4_9628:
	s_or_b64 exec, exec, s[10:11]
	s_waitcnt vmcnt(0)
	v_and_b32_e32 v0, 0x2000, v3
	v_cmp_ne_u32_e32 vcc, 0, v0
	s_and_saveexec_b64 s[4:5], vcc
	s_cbranch_execz .LBB4_9630
; %bb.9629:
	s_trap 2
	ds_read_b64 v[0:1], v0
	buffer_load_dword v2, off, s[0:3], s33 offset:356 ; 4-byte Folded Reload
	buffer_load_dword v3, off, s[0:3], s33 offset:360 ; 4-byte Folded Reload
	s_waitcnt vmcnt(0) lgkmcnt(0)
	flat_store_dwordx2 v[2:3], v[0:1] offset:16
.LBB4_9630:
	s_or_b64 exec, exec, s[4:5]
	v_cmp_ne_u32_e32 vcc, 64, v18
	s_and_b64 exec, exec, vcc
	s_cbranch_execz .LBB4_9648
; %bb.9631:
	buffer_load_dword v0, off, s[0:3], s33 offset:340 ; 4-byte Folded Reload
	s_waitcnt vmcnt(0)
	v_cmp_ne_u32_sdwa s[4:5], v18, v0 src0_sel:DWORD src1_sel:WORD_0
	s_and_saveexec_b64 s[10:11], s[4:5]
	s_xor_b64 s[4:5], exec, s[10:11]
	s_cbranch_execz .LBB4_9646
; %bb.9632:
	buffer_load_dword v0, off, s[0:3], s33 offset:324 ; 4-byte Folded Reload
	s_waitcnt vmcnt(0)
	v_and_b32_e32 v0, 63, v0
	v_cmp_eq_u32_e32 vcc, 0, v0
	s_and_saveexec_b64 s[10:11], vcc
	s_cbranch_execz .LBB4_9645
; %bb.9633:
	s_mov_b64 s[14:15], exec
	v_mbcnt_lo_u32_b32 v0, s14, 0
	v_mbcnt_hi_u32_b32 v0, s15, v0
	v_cmp_eq_u32_e32 vcc, 0, v0
	s_waitcnt lgkmcnt(0)
	buffer_wbinvl1_vol
	s_and_saveexec_b64 s[12:13], vcc
	s_cbranch_execz .LBB4_9635
; %bb.9634:
	s_bcnt1_i32_b64 s14, s[14:15]
	v_mov_b32_e32 v0, s14
	v_mov_b32_e32 v1, 0
	ds_add_u64 v0, v[0:1]
	s_trap 2
.LBB4_9635:
	s_or_b64 exec, exec, s[12:13]
	v_lshrrev_b32_e32 v0, 6, v18
	s_trap 2
	ds_read_b64 v[2:3], v0
	s_waitcnt lgkmcnt(0)
	buffer_load_dword v4, off, s[0:3], s33 offset:80 ; 4-byte Folded Reload
	buffer_load_dword v5, off, s[0:3], s33 offset:84 ; 4-byte Folded Reload
	s_waitcnt vmcnt(1)
	v_add_co_u32_e32 v0, vcc, v4, v0
	s_waitcnt vmcnt(0)
	v_addc_co_u32_e32 v1, vcc, 0, v5, vcc
	v_cmp_lt_u64_e32 vcc, v[2:3], v[0:1]
	s_and_saveexec_b64 s[12:13], vcc
	s_cbranch_execz .LBB4_9644
; %bb.9636:
	s_mov_b32 s28, 0
	s_mov_b64 s[14:15], 0
                                        ; implicit-def: $sgpr16_sgpr17
                                        ; implicit-def: $sgpr18_sgpr19
	s_branch .LBB4_9638
.LBB4_9637:                             ;   in Loop: Header=BB4_9638 Depth=1
	s_or_b64 exec, exec, s[22:23]
	s_and_b64 s[20:21], exec, s[26:27]
	s_or_b64 s[14:15], s[20:21], s[14:15]
	s_andn2_b64 s[16:17], s[16:17], exec
	s_and_b64 s[20:21], s[18:19], exec
	s_or_b64 s[16:17], s[16:17], s[20:21]
	s_andn2_b64 exec, exec, s[14:15]
	s_cbranch_execz .LBB4_9642
.LBB4_9638:                             ; =>This Inner Loop Header: Depth=1
	s_add_i32 s28, s28, 1
	s_cmpk_lg_i32 s28, 0x2710
	s_cselect_b64 s[20:21], -1, 0
	s_and_b64 vcc, exec, s[20:21]
	s_cbranch_vccz .LBB4_9640
; %bb.9639:                             ;   in Loop: Header=BB4_9638 Depth=1
	s_mov_b64 s[26:27], -1
	s_or_b64 s[18:19], s[18:19], exec
	s_and_saveexec_b64 s[22:23], s[20:21]
	s_cbranch_execz .LBB4_9637
	s_branch .LBB4_9641
.LBB4_9640:                             ;   in Loop: Header=BB4_9638 Depth=1
	s_trap 2
	ds_read_b64 v[2:3], v0
	s_andn2_b64 s[20:21], s[20:21], exec
	s_mov_b32 s28, 0
	s_waitcnt lgkmcnt(0)
	flat_load_dword v2, v[2:3] glc
	s_waitcnt vmcnt(0) lgkmcnt(0)
	buffer_wbinvl1_vol
	v_cmp_eq_u32_e32 vcc, 0, v2
	s_and_b64 s[22:23], vcc, exec
	s_or_b64 s[20:21], s[20:21], s[22:23]
	s_mov_b64 s[26:27], -1
	s_or_b64 s[18:19], s[18:19], exec
	s_and_saveexec_b64 s[22:23], s[20:21]
	s_cbranch_execz .LBB4_9637
.LBB4_9641:                             ;   in Loop: Header=BB4_9638 Depth=1
	s_sleep 1
	s_trap 2
	ds_read_b64 v[2:3], v0
	s_waitcnt lgkmcnt(0)
	s_andn2_b64 s[18:19], s[18:19], exec
	v_cmp_ge_u64_e32 vcc, v[2:3], v[0:1]
	s_orn2_b64 s[26:27], vcc, exec
	s_branch .LBB4_9637
.LBB4_9642:
	s_or_b64 exec, exec, s[14:15]
	s_and_saveexec_b64 s[14:15], s[16:17]
	s_xor_b64 s[14:15], exec, s[14:15]
	s_cbranch_execz .LBB4_9644
; %bb.9643:
	v_mov_b32_e32 v0, 1
	ds_write_b32 v0, v0
	s_trap 2
.LBB4_9644:
	s_or_b64 exec, exec, s[12:13]
	;;#ASMSTART
	s_wakeup
	;;#ASMEND
.LBB4_9645:
	s_or_b64 exec, exec, s[10:11]
.LBB4_9646:
	s_andn2_saveexec_b64 s[4:5], s[4:5]
	s_cbranch_execz .LBB4_9648
; %bb.9647:
	s_waitcnt lgkmcnt(0)
	buffer_wbinvl1_vol
	s_barrier
.LBB4_9648:
	s_or_b64 exec, exec, s[6:7]
.LBB4_9649:
	s_andn2_saveexec_b64 s[26:27], s[24:25]
	s_cbranch_execz .LBB4_9651
; %bb.9650:
	s_getpc_b64 s[4:5]
	s_add_u32 s4, s4, __PRETTY_FUNCTION__._ZN10PrimitivesI14__hip_fp8_e4m313FuncPreMulSumIS0_E12FanSymmetricILi1EELi0E11ProtoSimpleILi1ELi1ELi0ELi2ELi0ELi0EELi0ELb0ELi0ELi0ELi0EEC2EiiPKiS9_PKvPvmhhhP15ncclDevWorkCollP14ncclDevWorkP2pii@rel32@lo+4
	s_addc_u32 s5, s5, __PRETTY_FUNCTION__._ZN10PrimitivesI14__hip_fp8_e4m313FuncPreMulSumIS0_E12FanSymmetricILi1EELi0E11ProtoSimpleILi1ELi1ELi0ELi2ELi0ELi0EELi0ELb0ELi0ELi0ELi0EEC2EiiPKiS9_PKvPvmhhhP15ncclDevWorkCollP14ncclDevWorkP2pii@rel32@hi+12
	s_getpc_b64 s[6:7]
	s_add_u32 s6, s6, __assert_fail@rel32@lo+4
	s_addc_u32 s7, s7, __assert_fail@rel32@hi+12
	v_mov_b32_e32 v0, s4
	v_mov_b32_e32 v1, s5
	s_swappc_b64 s[30:31], s[6:7]
	; divergent unreachable
.LBB4_9651:
	s_or_b64 exec, exec, s[26:27]
	buffer_load_dword v62, off, s[0:3], s33 ; 4-byte Folded Reload
	buffer_load_dword v61, off, s[0:3], s33 offset:4 ; 4-byte Folded Reload
	buffer_load_dword v60, off, s[0:3], s33 offset:8 ; 4-byte Folded Reload
	;; [unrolled: 1-line block ×14, first 2 shown]
	v_readlane_b32 s30, v63, 16
	v_readlane_b32 s31, v63, 17
	;; [unrolled: 1-line block ×18, first 2 shown]
	s_mov_b32 s32, s33
	v_readlane_b32 s4, v63, 18
	s_or_saveexec_b64 s[6:7], -1
	buffer_load_dword v63, off, s[0:3], s33 offset:364 ; 4-byte Folded Reload
	s_mov_b64 exec, s[6:7]
	s_mov_b32 s33, s4
	s_waitcnt vmcnt(0) lgkmcnt(0)
	s_setpc_b64 s[30:31]
.Lfunc_end4:
	.size	_ZN12_GLOBAL__N_17runRingI14__hip_fp8_e4m313FuncPreMulSumIS1_E11ProtoSimpleILi1ELi1ELi0ELi2ELi0ELi0EELi0ELi2ELi0EEEviiP15ncclDevWorkColl, .Lfunc_end4-_ZN12_GLOBAL__N_17runRingI14__hip_fp8_e4m313FuncPreMulSumIS1_E11ProtoSimpleILi1ELi1ELi0ELi2ELi0ELi0EELi0ELi2ELi0EEEviiP15ncclDevWorkColl
                                        ; -- End function
	.set .L_ZN12_GLOBAL__N_17runRingI14__hip_fp8_e4m313FuncPreMulSumIS1_E11ProtoSimpleILi1ELi1ELi0ELi2ELi0ELi0EELi0ELi2ELi0EEEviiP15ncclDevWorkColl.num_vgpr, max(64, .L__assert_fail.num_vgpr)
	.set .L_ZN12_GLOBAL__N_17runRingI14__hip_fp8_e4m313FuncPreMulSumIS1_E11ProtoSimpleILi1ELi1ELi0ELi2ELi0ELi0EELi0ELi2ELi0EEEviiP15ncclDevWorkColl.num_agpr, max(0, .L__assert_fail.num_agpr)
	.set .L_ZN12_GLOBAL__N_17runRingI14__hip_fp8_e4m313FuncPreMulSumIS1_E11ProtoSimpleILi1ELi1ELi0ELi2ELi0ELi0EELi0ELi2ELi0EEEviiP15ncclDevWorkColl.numbered_sgpr, max(96, .L__assert_fail.numbered_sgpr)
	.set .L_ZN12_GLOBAL__N_17runRingI14__hip_fp8_e4m313FuncPreMulSumIS1_E11ProtoSimpleILi1ELi1ELi0ELi2ELi0ELi0EELi0ELi2ELi0EEEviiP15ncclDevWorkColl.num_named_barrier, max(0, .L__assert_fail.num_named_barrier)
	.set .L_ZN12_GLOBAL__N_17runRingI14__hip_fp8_e4m313FuncPreMulSumIS1_E11ProtoSimpleILi1ELi1ELi0ELi2ELi0ELi0EELi0ELi2ELi0EEEviiP15ncclDevWorkColl.private_seg_size, 384+max(.L__assert_fail.private_seg_size)
	.set .L_ZN12_GLOBAL__N_17runRingI14__hip_fp8_e4m313FuncPreMulSumIS1_E11ProtoSimpleILi1ELi1ELi0ELi2ELi0ELi0EELi0ELi2ELi0EEEviiP15ncclDevWorkColl.uses_vcc, or(1, .L__assert_fail.uses_vcc)
	.set .L_ZN12_GLOBAL__N_17runRingI14__hip_fp8_e4m313FuncPreMulSumIS1_E11ProtoSimpleILi1ELi1ELi0ELi2ELi0ELi0EELi0ELi2ELi0EEEviiP15ncclDevWorkColl.uses_flat_scratch, or(0, .L__assert_fail.uses_flat_scratch)
	.set .L_ZN12_GLOBAL__N_17runRingI14__hip_fp8_e4m313FuncPreMulSumIS1_E11ProtoSimpleILi1ELi1ELi0ELi2ELi0ELi0EELi0ELi2ELi0EEEviiP15ncclDevWorkColl.has_dyn_sized_stack, or(0, .L__assert_fail.has_dyn_sized_stack)
	.set .L_ZN12_GLOBAL__N_17runRingI14__hip_fp8_e4m313FuncPreMulSumIS1_E11ProtoSimpleILi1ELi1ELi0ELi2ELi0ELi0EELi0ELi2ELi0EEEviiP15ncclDevWorkColl.has_recursion, or(1, .L__assert_fail.has_recursion)
	.set .L_ZN12_GLOBAL__N_17runRingI14__hip_fp8_e4m313FuncPreMulSumIS1_E11ProtoSimpleILi1ELi1ELi0ELi2ELi0ELi0EELi0ELi2ELi0EEEviiP15ncclDevWorkColl.has_indirect_call, or(0, .L__assert_fail.has_indirect_call)
	.section	.AMDGPU.csdata,"",@progbits
; Function info:
; codeLenInByte = 270572
; TotalNumSgprs: 100
; NumVgprs: 64
; ScratchSize: 448
; MemoryBound: 1
	.text
	.p2align	2                               ; -- Begin function _Z53ncclDevFunc_Reduce_RING_SIMPLE_PreMulSum_f8e4m3_0_0_2v
	.type	_Z53ncclDevFunc_Reduce_RING_SIMPLE_PreMulSum_f8e4m3_0_0_2v,@function
_Z53ncclDevFunc_Reduce_RING_SIMPLE_PreMulSum_f8e4m3_0_0_2v: ; @_Z53ncclDevFunc_Reduce_RING_SIMPLE_PreMulSum_f8e4m3_0_0_2v
; %bb.0:
	s_waitcnt vmcnt(0) expcnt(0) lgkmcnt(0)
	s_mov_b32 s4, s33
	s_mov_b32 s33, s32
	s_or_saveexec_b64 s[6:7], -1
	buffer_store_dword v43, off, s[0:3], s33 offset:16 ; 4-byte Folded Spill
	s_mov_b64 exec, s[6:7]
	v_writelane_b32 v43, s4, 26
	s_addk_i32 s32, 0x800
	buffer_store_dword v40, off, s[0:3], s33 offset:12 ; 4-byte Folded Spill
	buffer_store_dword v41, off, s[0:3], s33 offset:8 ; 4-byte Folded Spill
	;; [unrolled: 1-line block ×3, first 2 shown]
	buffer_store_dword v63, off, s[0:3], s33 ; 4-byte Folded Spill
	v_writelane_b32 v43, s34, 0
	v_writelane_b32 v43, s35, 1
	v_writelane_b32 v43, s36, 2
	v_writelane_b32 v43, s37, 3
	v_writelane_b32 v43, s38, 4
	v_writelane_b32 v43, s39, 5
	v_writelane_b32 v43, s48, 6
	v_writelane_b32 v43, s49, 7
	v_writelane_b32 v43, s50, 8
	v_writelane_b32 v43, s51, 9
	v_writelane_b32 v43, s52, 10
	v_writelane_b32 v43, s53, 11
	v_writelane_b32 v43, s54, 12
	v_writelane_b32 v43, s55, 13
	v_writelane_b32 v43, s64, 14
	v_writelane_b32 v43, s65, 15
	v_writelane_b32 v43, s66, 16
	v_writelane_b32 v43, s67, 17
	v_writelane_b32 v43, s68, 18
	v_writelane_b32 v43, s69, 19
	v_writelane_b32 v43, s70, 20
	v_writelane_b32 v43, s71, 21
	v_writelane_b32 v43, s80, 22
	v_writelane_b32 v43, s81, 23
	v_writelane_b32 v43, s30, 24
	v_writelane_b32 v43, s31, 25
	s_trap 2
	ds_read_b32 v0, v0
	v_mov_b32_e32 v40, v31
	v_and_b32_e32 v41, 0x3ff, v40
	s_mov_b32 s70, s12
	s_mov_b64 s[68:69], s[8:9]
	s_waitcnt lgkmcnt(0)
	v_cmp_lt_i32_e32 vcc, v41, v0
	s_and_saveexec_b64 s[4:5], vcc
	s_cbranch_execz .LBB5_5
; %bb.1:
	s_load_dword s6, s[68:69], 0x0
	v_mov_b32_e32 v1, 0
	s_mov_b32 s10, 0
	v_mov_b32_e32 v4, v41
                                        ; implicit-def: $vgpr3
	s_waitcnt lgkmcnt(0)
	s_cmp_lt_u32 s70, s6
	s_cselect_b32 s6, 12, 18
	s_add_u32 s6, s68, s6
	s_addc_u32 s7, s69, 0
	global_load_ushort v1, v1, s[6:7]
	s_trap 2
	ds_read_b32 v2, v0
	s_mov_b64 s[6:7], 0
	s_waitcnt vmcnt(0) lgkmcnt(0)
	v_mul_lo_u32 v2, v2, v1
	s_branch .LBB5_3
.LBB5_2:                                ;   in Loop: Header=BB5_3 Depth=1
	s_or_b64 exec, exec, s[8:9]
	v_add_u32_e32 v4, v4, v1
	v_cmp_ge_i32_e32 vcc, v4, v0
	s_or_b64 s[6:7], vcc, s[6:7]
	v_add_u32_e32 v3, v3, v2
	s_andn2_b64 exec, exec, s[6:7]
	s_cbranch_execz .LBB5_5
.LBB5_3:                                ; =>This Inner Loop Header: Depth=1
	ds_read_b32 v5, v3
	s_waitcnt lgkmcnt(0)
	v_and_b32_e32 v5, 0x1000000, v5
	v_cmp_ne_u32_e32 vcc, 0, v5
	s_and_saveexec_b64 s[8:9], vcc
	s_cbranch_execz .LBB5_2
; %bb.4:                                ;   in Loop: Header=BB5_3 Depth=1
	ds_read_b64 v[5:6], v3 offset:104
	s_waitcnt lgkmcnt(0)
	flat_load_ubyte v5, v[5:6]
	v_mov_b32_e32 v6, s10
	s_waitcnt vmcnt(0) lgkmcnt(0)
	v_and_b32_e32 v5, 0xffff, v5
	ds_write_b64 v3, v[5:6] offset:104
	s_branch .LBB5_2
.LBB5_5:
	s_or_b64 exec, exec, s[4:5]
	s_waitcnt vmcnt(0) lgkmcnt(0)
	s_barrier
	s_trap 2
	ds_read_b32 v0, v0
	s_waitcnt lgkmcnt(0)
	v_cmp_gt_i32_e32 vcc, 1, v0
	s_cbranch_vccnz .LBB5_13
; %bb.6:
	s_mov_b32 s71, 0
	v_mov_b32_e32 v42, 6
	s_branch .LBB5_8
.LBB5_7:                                ;   in Loop: Header=BB5_8 Depth=1
	s_or_b64 exec, exec, s[80:81]
	s_trap 2
	ds_read_b32 v0, v0
	s_add_i32 s71, s71, 1
	s_waitcnt lgkmcnt(0)
	v_cmp_lt_i32_e32 vcc, s71, v0
	s_cbranch_vccz .LBB5_13
.LBB5_8:                                ; =>This Inner Loop Header: Depth=1
	s_trap 2
	ds_read_b32 v0, v0
	s_cmp_eq_u32 s71, 0
	s_cbranch_scc1 .LBB5_11
; %bb.9:                                ;   in Loop: Header=BB5_8 Depth=1
	s_trap 2
	s_waitcnt lgkmcnt(0)
	ds_read_b32 v1, v0
	s_waitcnt lgkmcnt(0)
	v_xor_b32_e32 v1, v1, v0
	v_and_b32_e32 v1, 0xff0000, v1
	v_cmp_eq_u32_e32 vcc, 0, v1
	s_cbranch_vccnz .LBB5_11
; %bb.10:                               ;   in Loop: Header=BB5_8 Depth=1
	s_barrier
	ds_read_b32 v0, v0
.LBB5_11:                               ;   in Loop: Header=BB5_8 Depth=1
	s_waitcnt lgkmcnt(0)
	v_lshlrev_b32_sdwa v1, v42, v0 dst_sel:DWORD dst_unused:UNUSED_PAD src0_sel:DWORD src1_sel:BYTE_2
	v_cmp_lt_u32_e32 vcc, v41, v1
	s_and_saveexec_b64 s[80:81], vcc
	s_cbranch_execz .LBB5_7
; %bb.12:                               ;   in Loop: Header=BB5_8 Depth=1
	s_mov_b64 s[4:5], src_shared_base
	s_getpc_b64 s[6:7]
	s_add_u32 s6, s6, _ZN12_GLOBAL__N_17runRingI14__hip_fp8_e4m313FuncPreMulSumIS1_E11ProtoSimpleILi1ELi1ELi0ELi2ELi0ELi0EELi0ELi2ELi0EEEviiP15ncclDevWorkColl@rel32@lo+4
	s_addc_u32 s7, s7, _ZN12_GLOBAL__N_17runRingI14__hip_fp8_e4m313FuncPreMulSumIS1_E11ProtoSimpleILi1ELi1ELi0ELi2ELi0ELi0EELi0ELi2ELi0EEEviiP15ncclDevWorkColl@rel32@hi+12
	s_mov_b64 s[8:9], s[68:69]
	s_mov_b32 s12, s70
	v_mov_b32_e32 v31, v40
	v_mov_b32_e32 v0, v41
	;; [unrolled: 1-line block ×3, first 2 shown]
	s_swappc_b64 s[30:31], s[6:7]
	s_branch .LBB5_7
.LBB5_13:
	buffer_load_dword v63, off, s[0:3], s33 ; 4-byte Folded Reload
	buffer_load_dword v42, off, s[0:3], s33 offset:4 ; 4-byte Folded Reload
	buffer_load_dword v41, off, s[0:3], s33 offset:8 ; 4-byte Folded Reload
	;; [unrolled: 1-line block ×3, first 2 shown]
	v_readlane_b32 s30, v43, 24
	v_readlane_b32 s31, v43, 25
	;; [unrolled: 1-line block ×26, first 2 shown]
	s_mov_b32 s32, s33
	v_readlane_b32 s4, v43, 26
	s_or_saveexec_b64 s[6:7], -1
	buffer_load_dword v43, off, s[0:3], s33 offset:16 ; 4-byte Folded Reload
	s_mov_b64 exec, s[6:7]
	s_mov_b32 s33, s4
	s_waitcnt vmcnt(0)
	s_setpc_b64 s[30:31]
.Lfunc_end5:
	.size	_Z53ncclDevFunc_Reduce_RING_SIMPLE_PreMulSum_f8e4m3_0_0_2v, .Lfunc_end5-_Z53ncclDevFunc_Reduce_RING_SIMPLE_PreMulSum_f8e4m3_0_0_2v
                                        ; -- End function
	.set .L_Z53ncclDevFunc_Reduce_RING_SIMPLE_PreMulSum_f8e4m3_0_0_2v.num_vgpr, max(64, .L_ZN12_GLOBAL__N_17runRingI14__hip_fp8_e4m313FuncPreMulSumIS1_E11ProtoSimpleILi1ELi1ELi0ELi2ELi0ELi0EELi0ELi2ELi0EEEviiP15ncclDevWorkColl.num_vgpr)
	.set .L_Z53ncclDevFunc_Reduce_RING_SIMPLE_PreMulSum_f8e4m3_0_0_2v.num_agpr, max(0, .L_ZN12_GLOBAL__N_17runRingI14__hip_fp8_e4m313FuncPreMulSumIS1_E11ProtoSimpleILi1ELi1ELi0ELi2ELi0ELi0EELi0ELi2ELi0EEEviiP15ncclDevWorkColl.num_agpr)
	.set .L_Z53ncclDevFunc_Reduce_RING_SIMPLE_PreMulSum_f8e4m3_0_0_2v.numbered_sgpr, max(82, .L_ZN12_GLOBAL__N_17runRingI14__hip_fp8_e4m313FuncPreMulSumIS1_E11ProtoSimpleILi1ELi1ELi0ELi2ELi0ELi0EELi0ELi2ELi0EEEviiP15ncclDevWorkColl.numbered_sgpr)
	.set .L_Z53ncclDevFunc_Reduce_RING_SIMPLE_PreMulSum_f8e4m3_0_0_2v.num_named_barrier, max(0, .L_ZN12_GLOBAL__N_17runRingI14__hip_fp8_e4m313FuncPreMulSumIS1_E11ProtoSimpleILi1ELi1ELi0ELi2ELi0ELi0EELi0ELi2ELi0EEEviiP15ncclDevWorkColl.num_named_barrier)
	.set .L_Z53ncclDevFunc_Reduce_RING_SIMPLE_PreMulSum_f8e4m3_0_0_2v.private_seg_size, 32+max(.L_ZN12_GLOBAL__N_17runRingI14__hip_fp8_e4m313FuncPreMulSumIS1_E11ProtoSimpleILi1ELi1ELi0ELi2ELi0ELi0EELi0ELi2ELi0EEEviiP15ncclDevWorkColl.private_seg_size)
	.set .L_Z53ncclDevFunc_Reduce_RING_SIMPLE_PreMulSum_f8e4m3_0_0_2v.uses_vcc, or(1, .L_ZN12_GLOBAL__N_17runRingI14__hip_fp8_e4m313FuncPreMulSumIS1_E11ProtoSimpleILi1ELi1ELi0ELi2ELi0ELi0EELi0ELi2ELi0EEEviiP15ncclDevWorkColl.uses_vcc)
	.set .L_Z53ncclDevFunc_Reduce_RING_SIMPLE_PreMulSum_f8e4m3_0_0_2v.uses_flat_scratch, or(0, .L_ZN12_GLOBAL__N_17runRingI14__hip_fp8_e4m313FuncPreMulSumIS1_E11ProtoSimpleILi1ELi1ELi0ELi2ELi0ELi0EELi0ELi2ELi0EEEviiP15ncclDevWorkColl.uses_flat_scratch)
	.set .L_Z53ncclDevFunc_Reduce_RING_SIMPLE_PreMulSum_f8e4m3_0_0_2v.has_dyn_sized_stack, or(0, .L_ZN12_GLOBAL__N_17runRingI14__hip_fp8_e4m313FuncPreMulSumIS1_E11ProtoSimpleILi1ELi1ELi0ELi2ELi0ELi0EELi0ELi2ELi0EEEviiP15ncclDevWorkColl.has_dyn_sized_stack)
	.set .L_Z53ncclDevFunc_Reduce_RING_SIMPLE_PreMulSum_f8e4m3_0_0_2v.has_recursion, or(1, .L_ZN12_GLOBAL__N_17runRingI14__hip_fp8_e4m313FuncPreMulSumIS1_E11ProtoSimpleILi1ELi1ELi0ELi2ELi0ELi0EELi0ELi2ELi0EEEviiP15ncclDevWorkColl.has_recursion)
	.set .L_Z53ncclDevFunc_Reduce_RING_SIMPLE_PreMulSum_f8e4m3_0_0_2v.has_indirect_call, or(0, .L_ZN12_GLOBAL__N_17runRingI14__hip_fp8_e4m313FuncPreMulSumIS1_E11ProtoSimpleILi1ELi1ELi0ELi2ELi0ELi0EELi0ELi2ELi0EEEviiP15ncclDevWorkColl.has_indirect_call)
	.section	.AMDGPU.csdata,"",@progbits
; Function info:
; codeLenInByte = 1024
; TotalNumSgprs: 100
; NumVgprs: 64
; ScratchSize: 480
; MemoryBound: 0
	.text
	.p2align	2                               ; -- Begin function _ZN12_GLOBAL__N_17runRingI14__hip_fp8_e4m313FuncPreMulSumIS1_E11ProtoSimpleILi1ELi1ELi0ELi4ELi0ELi0EELi0ELi4ELi0EEEviiP15ncclDevWorkColl
	.type	_ZN12_GLOBAL__N_17runRingI14__hip_fp8_e4m313FuncPreMulSumIS1_E11ProtoSimpleILi1ELi1ELi0ELi4ELi0ELi0EELi0ELi4ELi0EEEviiP15ncclDevWorkColl,@function
_ZN12_GLOBAL__N_17runRingI14__hip_fp8_e4m313FuncPreMulSumIS1_E11ProtoSimpleILi1ELi1ELi0ELi4ELi0ELi0EELi0ELi4ELi0EEEviiP15ncclDevWorkColl: ; @_ZN12_GLOBAL__N_17runRingI14__hip_fp8_e4m313FuncPreMulSumIS1_E11ProtoSimpleILi1ELi1ELi0ELi4ELi0ELi0EELi0ELi4ELi0EEEviiP15ncclDevWorkColl
; %bb.0:
	s_waitcnt vmcnt(0) expcnt(0) lgkmcnt(0)
	s_mov_b32 s4, s33
	s_mov_b32 s33, s32
	s_or_saveexec_b64 s[6:7], -1
	buffer_store_dword v63, off, s[0:3], s33 offset:632 ; 4-byte Folded Spill
	s_mov_b64 exec, s[6:7]
	v_writelane_b32 v63, s4, 18
	s_add_i32 s32, s32, 0xa000
	buffer_store_dword v40, off, s[0:3], s33 offset:56 ; 4-byte Folded Spill
	buffer_store_dword v41, off, s[0:3], s33 offset:52 ; 4-byte Folded Spill
	;; [unrolled: 1-line block ×14, first 2 shown]
	buffer_store_dword v62, off, s[0:3], s33 ; 4-byte Folded Spill
	v_writelane_b32 v63, s34, 0
	v_writelane_b32 v63, s35, 1
	;; [unrolled: 1-line block ×18, first 2 shown]
	buffer_store_dword v31, off, s[0:3], s33 offset:608 ; 4-byte Folded Spill
	buffer_store_dword v1, off, s[0:3], s33 offset:556 ; 4-byte Folded Spill
	;; [unrolled: 1-line block ×3, first 2 shown]
	s_trap 2
	ds_read_b64 v[14:15], v0
	ds_read_b32 v4, v0
	flat_load_ushort v16, v[2:3] offset:8
	flat_load_dwordx2 v[8:9], v[2:3]
                                        ; implicit-def: $vgpr17_vgpr18
                                        ; implicit-def: $vgpr24_vgpr25
                                        ; implicit-def: $vgpr5_vgpr6
                                        ; kill: killed $vgpr5_vgpr6
	s_waitcnt lgkmcnt(0)
	v_ashrrev_i32_e32 v1, 31, v15
	v_mov_b32_e32 v0, v15
	v_lshlrev_b64 v[0:1], 2, v[0:1]
	v_add_co_u32_e32 v0, vcc, v14, v0
	v_addc_co_u32_e32 v1, vcc, v15, v1, vcc
	v_add_co_u32_e32 v0, vcc, -4, v0
	v_addc_co_u32_e32 v1, vcc, -1, v1, vcc
	flat_load_dword v1, v[0:1]
	s_waitcnt vmcnt(0)
	v_mov_b32_e32 v15, v9
	v_cmp_ne_u32_sdwa s[4:5], v4, v8 src0_sel:DWORD src1_sel:BYTE_0
	s_and_saveexec_b64 s[6:7], s[4:5]
	s_xor_b64 s[4:5], exec, s[6:7]
	s_cbranch_execz .LBB6_6
; %bb.1:
	v_not_b32_sdwa v0, v8 dst_sel:DWORD dst_unused:UNUSED_PAD src0_sel:BYTE_0
	v_cmp_ne_u32_sdwa s[6:7], v4, v8 src0_sel:DWORD src1_sel:BYTE_1
                                        ; implicit-def: $vgpr17_vgpr18
                                        ; implicit-def: $vgpr24_vgpr25
                                        ; implicit-def: $vgpr5_vgpr6
                                        ; kill: killed $vgpr5_vgpr6
	s_and_saveexec_b64 s[10:11], s[6:7]
	s_xor_b64 s[6:7], exec, s[10:11]
	s_cbranch_execz .LBB6_3
; %bb.2:
	flat_load_dwordx4 v[5:8], v[2:3] offset:72
	flat_load_dwordx2 v[9:10], v[2:3] offset:96
	v_add_u32_e32 v0, v4, v0
	v_ashrrev_i32_e32 v4, 31, v0
	s_waitcnt vmcnt(0) lgkmcnt(0)
	v_mul_lo_u32 v4, v7, v4
	v_mad_u64_u32 v[5:6], s[10:11], v7, v0, v[5:6]
	v_mul_lo_u32 v0, v8, v0
	v_mov_b32_e32 v25, v8
	v_lshrrev_b64 v[17:18], 12, v[9:10]
	v_mov_b32_e32 v24, v7
	v_add3_u32 v6, v0, v6, v4
	buffer_store_dword v5, off, s[0:3], s33 offset:548 ; 4-byte Folded Spill
	s_nop 0
	buffer_store_dword v6, off, s[0:3], s33 offset:552 ; 4-byte Folded Spill
                                        ; implicit-def: $vgpr8
                                        ; implicit-def: $vgpr0
.LBB6_3:
	s_andn2_saveexec_b64 s[6:7], s[6:7]
	s_cbranch_execz .LBB6_5
; %bb.4:
	flat_load_dwordx4 v[4:7], v[2:3] offset:72
	flat_load_dwordx4 v[24:27], v[2:3] offset:88
	v_add_u32_sdwa v0, v8, v0 dst_sel:DWORD dst_unused:UNUSED_PAD src0_sel:BYTE_1 src1_sel:DWORD
	v_ashrrev_i32_e32 v8, 31, v0
	s_waitcnt vmcnt(0) lgkmcnt(0)
	v_mul_lo_u32 v8, v6, v8
	v_mad_u64_u32 v[4:5], s[10:11], v6, v0, v[4:5]
	v_mul_lo_u32 v0, v7, v0
	v_lshrrev_b32_e32 v17, 1, v27
	v_add3_u32 v5, v0, v5, v8
	buffer_store_dword v4, off, s[0:3], s33 offset:548 ; 4-byte Folded Spill
	s_nop 0
	buffer_store_dword v5, off, s[0:3], s33 offset:552 ; 4-byte Folded Spill
.LBB6_5:
	s_or_b64 exec, exec, s[6:7]
.LBB6_6:
	s_andn2_saveexec_b64 s[4:5], s[4:5]
	s_cbranch_execz .LBB6_8
; %bb.7:
	flat_load_dwordx2 v[4:5], v[2:3] offset:96
	flat_load_dwordx2 v[24:25], v[2:3] offset:72
	s_waitcnt vmcnt(0) lgkmcnt(0)
	v_lshlrev_b64 v[17:18], 9, v[4:5]
	v_mov_b32_e32 v4, 0
	v_mov_b32_e32 v5, 0
	buffer_store_dword v4, off, s[0:3], s33 offset:548 ; 4-byte Folded Spill
	s_nop 0
	buffer_store_dword v5, off, s[0:3], s33 offset:552 ; 4-byte Folded Spill
.LBB6_8:
	s_or_b64 exec, exec, s[4:5]
	s_trap 2
	buffer_load_dword v6, off, s[0:3], s33 offset:556 ; 4-byte Folded Reload
	ds_read_b64 v[4:5], v0
	s_waitcnt lgkmcnt(0)
	v_cmp_ne_u32_e32 vcc, -1, v4
	v_cndmask_b32_e64 v0, 0, 1, vcc
	v_cmp_ne_u32_e32 vcc, -1, v5
	v_addc_co_u32_e64 v4, s[4:5], 0, v0, vcc
	v_lshlrev_b32_e32 v5, 1, v4
	s_waitcnt vmcnt(0)
	v_cmp_le_u32_e64 s[4:5], v5, v6
	s_and_saveexec_b64 s[6:7], s[4:5]
	s_xor_b64 s[24:25], exec, s[6:7]
	s_cbranch_execnz .LBB6_9
; %bb.16548:
	s_getpc_b64 s[66:67]
.Lpost_getpc10:
	s_add_u32 s66, s66, (.LBB6_16533-.Lpost_getpc10)&4294967295
	s_addc_u32 s67, s67, (.LBB6_16533-.Lpost_getpc10)>>32
	s_setpc_b64 s[66:67]
.LBB6_9:
	flat_load_dwordx4 v[10:13], v[2:3] offset:16
	flat_load_dwordx2 v[18:19], v[2:3] offset:104
	s_trap 2
	s_load_dword s4, s[8:9], 0x0
	v_mov_b32_e32 v2, 0
	s_waitcnt lgkmcnt(0)
	s_cmp_lt_u32 s12, s4
	s_cselect_b32 s4, 12, 18
	s_add_u32 s4, s8, s4
	s_addc_u32 s5, s9, 0
	global_load_ushort v2, v2, s[4:5]
	s_waitcnt vmcnt(0)
	buffer_store_dword v2, off, s[0:3], s33 offset:612 ; 4-byte Folded Spill
	ds_read_b32 v2, v0
	s_waitcnt lgkmcnt(0)
	v_readfirstlane_b32 s48, v2
	buffer_load_dword v2, off, s[0:3], s33 offset:532 ; 4-byte Folded Reload
	s_waitcnt vmcnt(0)
	v_cmp_ge_u32_e64 s[4:5], v2, v0
	v_mov_b32_e32 v2, 4
	s_and_saveexec_b64 s[6:7], s[4:5]
	s_cbranch_execz .LBB6_19
; %bb.10:
	buffer_load_dword v2, off, s[0:3], s33 offset:532 ; 4-byte Folded Reload
	s_waitcnt vmcnt(0)
	v_cmp_ge_u32_e64 s[4:5], v2, v4
                                        ; implicit-def: $vgpr2
	s_and_saveexec_b64 s[10:11], s[4:5]
	s_xor_b64 s[4:5], exec, s[10:11]
	s_cbranch_execz .LBB6_16
; %bb.11:
	buffer_load_dword v3, off, s[0:3], s33 offset:556 ; 4-byte Folded Reload
	v_cndmask_b32_e64 v2, 0, 1, vcc
	s_waitcnt vmcnt(0)
	v_sub_u32_e32 v2, v3, v2
	buffer_load_dword v3, off, s[0:3], s33 offset:532 ; 4-byte Folded Reload
	s_waitcnt vmcnt(0)
	v_cmp_ge_u32_e32 vcc, v3, v2
	s_and_saveexec_b64 s[10:11], vcc
	s_xor_b64 s[10:11], exec, s[10:11]
; %bb.12:
                                        ; implicit-def: $vgpr4
; %bb.13:
	s_or_saveexec_b64 s[10:11], s[10:11]
	v_mov_b32_e32 v2, 16
	s_xor_b64 exec, exec, s[10:11]
	s_cbranch_execz .LBB6_15
; %bb.14:
	buffer_load_dword v2, off, s[0:3], s33 offset:556 ; 4-byte Folded Reload
	buffer_load_dword v3, off, s[0:3], s33 offset:532 ; 4-byte Folded Reload
	s_waitcnt vmcnt(1)
	v_sub_u32_e32 v2, v2, v4
	s_waitcnt vmcnt(0)
	v_cmp_lt_i32_e32 vcc, v3, v2
	v_cndmask_b32_e64 v2, 32, 0, vcc
.LBB6_15:
	s_or_b64 exec, exec, s[10:11]
.LBB6_16:
	s_andn2_saveexec_b64 s[4:5], s[4:5]
; %bb.17:
	v_mov_b32_e32 v2, 8
; %bb.18:
	s_or_b64 exec, exec, s[4:5]
.LBB6_19:
	s_or_b64 exec, exec, s[6:7]
	buffer_store_dword v2, off, s[0:3], s33 offset:76 ; 4-byte Folded Spill
	v_and_b32_e32 v2, 36, v2
	v_cmp_ne_u32_e32 vcc, 0, v2
	v_mov_b32_e32 v20, -1
	s_and_saveexec_b64 s[4:5], vcc
	s_cbranch_execz .LBB6_21
; %bb.20:
	s_trap 2
	ds_read_b32 v20, v0
.LBB6_21:
	s_or_b64 exec, exec, s[4:5]
	buffer_load_dword v2, off, s[0:3], s33 offset:76 ; 4-byte Folded Reload
	s_waitcnt vmcnt(0)
	v_and_b32_e32 v2, 24, v2
	v_cmp_ne_u32_e64 s[4:5], 0, v2
	s_and_saveexec_b64 s[6:7], s[4:5]
	s_cbranch_execz .LBB6_23
; %bb.22:
	s_trap 2
	s_waitcnt lgkmcnt(0)
	ds_read_b32 v20, v0
.LBB6_23:
	s_or_b64 exec, exec, s[6:7]
	v_lshrrev_b64 v[2:3], 31, v[15:16]
	v_mov_b32_e32 v3, 0
	v_mov_b32_e32 v4, 0
	buffer_store_dword v3, off, s[0:3], s33 offset:600 ; 4-byte Folded Spill
	s_nop 0
	buffer_store_dword v4, off, s[0:3], s33 offset:604 ; 4-byte Folded Spill
                                        ; implicit-def: $vgpr3_vgpr4
                                        ; kill: killed $vgpr3_vgpr4
	v_mov_b32_e32 v6, 0
                                        ; implicit-def: $vgpr3
                                        ; kill: killed $vgpr3
	v_and_b32_e32 v2, 3, v2
                                        ; implicit-def: $vgpr3_vgpr4
	v_mov_b32_e32 v7, 0
	s_waitcnt lgkmcnt(0)
	v_ashrrev_i32_e32 v21, 31, v20
                                        ; kill: killed $vgpr3_vgpr4
                                        ; implicit-def: $vgpr3_vgpr4
                                        ; kill: killed $vgpr3_vgpr4
                                        ; implicit-def: $vgpr3_vgpr4
                                        ; kill: killed $vgpr3_vgpr4
	s_and_saveexec_b64 s[4:5], vcc
	s_cbranch_execz .LBB6_33
; %bb.24:
	s_trap 2
	ds_read_b64 v[3:4], v0
	v_lshlrev_b64 v[5:6], 3, v[20:21]
	s_movk_i32 s6, 0xa8
	s_waitcnt lgkmcnt(0)
	v_add_co_u32_e32 v3, vcc, v3, v5
	v_addc_co_u32_e32 v4, vcc, v4, v6, vcc
	flat_load_dwordx2 v[3:4], v[3:4]
	v_and_b32_e32 v5, 0xffff, v2
	s_waitcnt vmcnt(0) lgkmcnt(0)
	v_mad_u64_u32 v[22:23], s[6:7], v5, s6, v[3:4]
	flat_load_dword v3, v[22:23] offset:640
	s_waitcnt vmcnt(0) lgkmcnt(0)
	v_cmp_eq_u32_e32 vcc, 1, v3
                                        ; implicit-def: $vgpr3_vgpr4
                                        ; kill: killed $vgpr3_vgpr4
	s_and_saveexec_b64 s[6:7], vcc
	s_cbranch_execz .LBB6_26
; %bb.25:
	flat_load_dwordx2 v[5:6], v[22:23] offset:648
	s_waitcnt vmcnt(0) lgkmcnt(0)
	flat_load_dwordx2 v[3:4], v[5:6]
	s_trap 2
	s_waitcnt vmcnt(0) lgkmcnt(0)
	ds_write_b64 v0, v[3:4]
	flat_load_dwordx2 v[3:4], v[5:6] offset:8
	s_waitcnt vmcnt(0) lgkmcnt(0)
	ds_write_b64 v0, v[3:4]
	buffer_store_dword v5, off, s[0:3], s33 offset:624 ; 4-byte Folded Spill
	s_nop 0
	buffer_store_dword v6, off, s[0:3], s33 offset:628 ; 4-byte Folded Spill
	flat_load_dwordx2 v[3:4], v[5:6] offset:16
	s_waitcnt vmcnt(0) lgkmcnt(0)
	ds_write_b64 v0, v[3:4]
	buffer_load_dword v3, off, s[0:3], s33 offset:76 ; 4-byte Folded Reload
	s_waitcnt vmcnt(0)
	v_or_b32_e32 v3, 0x2000, v3
	buffer_store_dword v3, off, s[0:3], s33 offset:76 ; 4-byte Folded Spill
.LBB6_26:
	s_or_b64 exec, exec, s[6:7]
	buffer_load_dword v3, off, s[0:3], s33 offset:76 ; 4-byte Folded Reload
	flat_load_dwordx2 v[8:9], v[22:23] offset:608
	s_waitcnt vmcnt(0)
	v_and_b32_e32 v3, 32, v3
	v_cmp_ne_u32_e32 vcc, 0, v3
                                        ; implicit-def: $vgpr3_vgpr4
                                        ; kill: killed $vgpr3_vgpr4
	s_and_saveexec_b64 s[6:7], vcc
	s_cbranch_execz .LBB6_28
; %bb.27:
	flat_load_dwordx2 v[3:4], v[22:23] offset:560
	s_waitcnt vmcnt(0) lgkmcnt(0)
	buffer_store_dword v3, off, s[0:3], s33 offset:68 ; 4-byte Folded Spill
	s_nop 0
	buffer_store_dword v4, off, s[0:3], s33 offset:72 ; 4-byte Folded Spill
	flat_store_dwordx2 v[3:4], v[8:9]
.LBB6_28:
	s_or_b64 exec, exec, s[6:7]
	v_add_co_u32_e32 v3, vcc, 0x1f8, v22
	v_addc_co_u32_e32 v4, vcc, 0, v23, vcc
	buffer_store_dword v3, off, s[0:3], s33 offset:600 ; 4-byte Folded Spill
	s_nop 0
	buffer_store_dword v4, off, s[0:3], s33 offset:604 ; 4-byte Folded Spill
	buffer_load_dword v3, off, s[0:3], s33 offset:76 ; 4-byte Folded Reload
	v_mov_b32_e32 v6, 0
	v_mov_b32_e32 v7, 0
	s_waitcnt vmcnt(0)
	v_and_b32_e32 v3, 4, v3
	v_cmp_ne_u32_e32 vcc, 0, v3
                                        ; implicit-def: $vgpr3
                                        ; kill: killed $vgpr3
                                        ; implicit-def: $vgpr3_vgpr4
                                        ; kill: killed $vgpr3_vgpr4
                                        ; implicit-def: $vgpr3_vgpr4
                                        ; kill: killed $vgpr3_vgpr4
	s_and_saveexec_b64 s[6:7], vcc
	s_cbranch_execz .LBB6_32
; %bb.29:
	buffer_load_dword v3, off, s[0:3], s33 offset:76 ; 4-byte Folded Reload
	s_waitcnt vmcnt(0)
	v_and_b32_e32 v3, 0x800, v3
	v_cmp_eq_u32_e32 vcc, 0, v3
	s_and_saveexec_b64 s[10:11], vcc
	s_cbranch_execz .LBB6_31
; %bb.30:
	s_trap 2
	buffer_load_dword v3, off, s[0:3], s33 offset:600 ; 4-byte Folded Reload
	buffer_load_dword v4, off, s[0:3], s33 offset:604 ; 4-byte Folded Reload
	s_waitcnt vmcnt(0)
	ds_write_b64 v0, v[3:4]
.LBB6_31:
	s_or_b64 exec, exec, s[10:11]
	flat_load_dwordx2 v[3:4], v[22:23] offset:552
	s_waitcnt vmcnt(0) lgkmcnt(0)
	buffer_store_dword v3, off, s[0:3], s33 offset:68 ; 4-byte Folded Spill
	s_nop 0
	buffer_store_dword v4, off, s[0:3], s33 offset:72 ; 4-byte Folded Spill
	flat_load_dwordx2 v[3:4], v[3:4] glc
	s_waitcnt vmcnt(0) lgkmcnt(0)
	buffer_store_dword v3, off, s[0:3], s33 offset:60 ; 4-byte Folded Spill
	s_nop 0
	buffer_store_dword v4, off, s[0:3], s33 offset:64 ; 4-byte Folded Spill
	flat_load_dwordx2 v[6:7], v[22:23] offset:600
	s_nop 0
	flat_load_dword v3, v[22:23] offset:576
	s_waitcnt vmcnt(0) lgkmcnt(0)
	v_cmp_eq_u64_e32 vcc, 0, v[6:7]
	buffer_store_dword v3, off, s[0:3], s33 offset:588 ; 4-byte Folded Spill
	flat_load_dwordx2 v[3:4], v[22:23] offset:520
	s_waitcnt vmcnt(0) lgkmcnt(0)
	buffer_store_dword v3, off, s[0:3], s33 offset:524 ; 4-byte Folded Spill
	s_nop 0
	buffer_store_dword v4, off, s[0:3], s33 offset:528 ; 4-byte Folded Spill
	buffer_load_dword v4, off, s[0:3], s33 offset:76 ; 4-byte Folded Reload
	s_waitcnt vmcnt(0)
	v_or_b32_e32 v3, 0x100, v4
	v_cndmask_b32_e32 v4, v3, v4, vcc
	buffer_store_dword v4, off, s[0:3], s33 offset:76 ; 4-byte Folded Spill
.LBB6_32:
	s_or_b64 exec, exec, s[6:7]
.LBB6_33:
	s_or_b64 exec, exec, s[4:5]
	buffer_load_dword v3, off, s[0:3], s33 offset:76 ; 4-byte Folded Reload
	s_waitcnt vmcnt(0)
	v_and_b32_e32 v3, 24, v3
	v_cmp_ne_u32_e32 vcc, 0, v3
                                        ; implicit-def: $vgpr3_vgpr4
                                        ; kill: killed $vgpr3_vgpr4
	s_and_saveexec_b64 s[4:5], vcc
	s_cbranch_execz .LBB6_41
; %bb.34:
	s_trap 2
	ds_read_b64 v[3:4], v0
	v_lshlrev_b64 v[5:6], 3, v[20:21]
	v_and_b32_e32 v2, 0xffff, v2
	s_movk_i32 s6, 0xa8
	s_waitcnt lgkmcnt(0)
	v_add_co_u32_e32 v3, vcc, v3, v5
	v_addc_co_u32_e32 v4, vcc, v4, v6, vcc
	flat_load_dwordx2 v[3:4], v[3:4]
	s_waitcnt vmcnt(0) lgkmcnt(0)
	v_mad_u64_u32 v[2:3], s[6:7], v2, s6, v[3:4]
	buffer_store_dword v2, off, s[0:3], s33 offset:600 ; 4-byte Folded Spill
	s_nop 0
	buffer_store_dword v3, off, s[0:3], s33 offset:604 ; 4-byte Folded Spill
	flat_load_dwordx4 v[6:9], v[2:3] offset:96
	s_nop 0
	buffer_load_dword v3, off, s[0:3], s33 offset:76 ; 4-byte Folded Reload
	s_waitcnt vmcnt(0) lgkmcnt(0)
	v_cmp_eq_u64_e32 vcc, 0, v[6:7]
	v_or_b32_e32 v2, 0x100, v3
	v_cndmask_b32_e32 v3, v2, v3, vcc
	v_and_b32_e32 v2, 16, v3
	v_cmp_ne_u32_e32 vcc, 0, v2
	buffer_store_dword v3, off, s[0:3], s33 offset:76 ; 4-byte Folded Spill
                                        ; implicit-def: $vgpr2_vgpr3
                                        ; kill: killed $vgpr2_vgpr3
	s_and_saveexec_b64 s[6:7], vcc
	s_cbranch_execz .LBB6_36
; %bb.35:
	buffer_load_dword v2, off, s[0:3], s33 offset:600 ; 4-byte Folded Reload
	buffer_load_dword v3, off, s[0:3], s33 offset:604 ; 4-byte Folded Reload
	s_waitcnt vmcnt(0)
	flat_load_dwordx2 v[4:5], v[2:3] offset:48
	s_waitcnt vmcnt(0) lgkmcnt(0)
	buffer_store_dword v4, off, s[0:3], s33 offset:68 ; 4-byte Folded Spill
	s_nop 0
	buffer_store_dword v5, off, s[0:3], s33 offset:72 ; 4-byte Folded Spill
	flat_load_dwordx2 v[4:5], v[2:3] offset:120
	s_waitcnt vmcnt(0) lgkmcnt(0)
	buffer_store_dword v4, off, s[0:3], s33 offset:592 ; 4-byte Folded Spill
	s_nop 0
	buffer_store_dword v5, off, s[0:3], s33 offset:596 ; 4-byte Folded Spill
	;; [unrolled: 5-line block ×3, first 2 shown]
.LBB6_36:
	s_or_b64 exec, exec, s[6:7]
	buffer_load_dword v2, off, s[0:3], s33 offset:76 ; 4-byte Folded Reload
	s_waitcnt vmcnt(0)
	v_and_b32_e32 v2, 8, v2
	v_cmp_ne_u32_e32 vcc, 0, v2
	s_and_saveexec_b64 s[6:7], vcc
	s_cbranch_execz .LBB6_40
; %bb.37:
	buffer_load_dword v2, off, s[0:3], s33 offset:76 ; 4-byte Folded Reload
	s_waitcnt vmcnt(0)
	v_and_b32_e32 v2, 0x800, v2
	v_cmp_eq_u32_e32 vcc, 0, v2
	s_and_saveexec_b64 s[10:11], vcc
	s_cbranch_execz .LBB6_39
; %bb.38:
	s_trap 2
	buffer_load_dword v2, off, s[0:3], s33 offset:600 ; 4-byte Folded Reload
	buffer_load_dword v3, off, s[0:3], s33 offset:604 ; 4-byte Folded Reload
	s_waitcnt vmcnt(0)
	ds_write_b64 v0, v[2:3]
.LBB6_39:
	s_or_b64 exec, exec, s[10:11]
	buffer_load_dword v2, off, s[0:3], s33 offset:600 ; 4-byte Folded Reload
	buffer_load_dword v3, off, s[0:3], s33 offset:604 ; 4-byte Folded Reload
	s_waitcnt vmcnt(0)
	flat_load_dwordx2 v[4:5], v[2:3] offset:56
	s_waitcnt vmcnt(0) lgkmcnt(0)
	buffer_store_dword v4, off, s[0:3], s33 offset:68 ; 4-byte Folded Spill
	s_nop 0
	buffer_store_dword v5, off, s[0:3], s33 offset:72 ; 4-byte Folded Spill
	flat_load_dwordx2 v[4:5], v[4:5] glc
	s_waitcnt vmcnt(0) lgkmcnt(0)
	buffer_store_dword v4, off, s[0:3], s33 offset:60 ; 4-byte Folded Spill
	s_nop 0
	buffer_store_dword v5, off, s[0:3], s33 offset:64 ; 4-byte Folded Spill
	flat_load_dword v4, v[2:3] offset:72
	s_nop 0
	flat_load_dwordx2 v[2:3], v[2:3] offset:16
	s_waitcnt vmcnt(0) lgkmcnt(0)
	buffer_store_dword v4, off, s[0:3], s33 offset:588 ; 4-byte Folded Spill
	buffer_store_dword v2, off, s[0:3], s33 offset:524 ; 4-byte Folded Spill
	s_nop 0
	buffer_store_dword v3, off, s[0:3], s33 offset:528 ; 4-byte Folded Spill
.LBB6_40:
	s_or_b64 exec, exec, s[6:7]
.LBB6_41:
	s_or_b64 exec, exec, s[4:5]
	buffer_load_dword v2, off, s[0:3], s33 offset:532 ; 4-byte Folded Reload
	s_waitcnt vmcnt(0)
	v_cmp_eq_u32_e64 s[4:5], 0, v2
	s_and_saveexec_b64 s[6:7], s[4:5]
	s_cbranch_execz .LBB6_43
; %bb.42:
	v_mov_b32_e32 v2, v12
	v_mov_b32_e32 v3, v13
	;; [unrolled: 1-line block ×4, first 2 shown]
	ds_write2_b64 v0, v[2:3], v[4:5] offset1:1
	v_mov_b32_e32 v2, 0
	v_mov_b32_e32 v3, v2
	s_trap 2
	ds_write_b64 v0, v[2:3]
	ds_write_b64 v0, v[18:19]
.LBB6_43:
	s_or_b64 exec, exec, s[6:7]
	v_and_b32_e32 v2, 0x3ffffe00, v17
	v_mov_b32_e32 v3, 0
	buffer_store_dword v2, off, s[0:3], s33 offset:492 ; 4-byte Folded Spill
	s_nop 0
	buffer_store_dword v3, off, s[0:3], s33 offset:496 ; 4-byte Folded Spill
	v_bfe_u32 v2, v15, 1, 30
	v_cmp_ne_u32_e32 vcc, v1, v2
                                        ; implicit-def: $vgpr3_vgpr4
                                        ; kill: killed $vgpr3_vgpr4
	s_and_saveexec_b64 s[6:7], vcc
	s_xor_b64 s[26:27], exec, s[6:7]
	s_cbranch_execnz .LBB6_44
; %bb.16550:
	s_getpc_b64 s[66:67]
.Lpost_getpc11:
	s_add_u32 s66, s66, (.LBB6_12273-.Lpost_getpc11)&4294967295
	s_addc_u32 s67, s67, (.LBB6_12273-.Lpost_getpc11)>>32
	s_setpc_b64 s[66:67]
.LBB6_44:
	v_cmp_ne_u32_e32 vcc, v14, v2
                                        ; implicit-def: $vgpr1_vgpr2
                                        ; kill: killed $vgpr1_vgpr2
	s_and_saveexec_b64 s[6:7], vcc
	s_xor_b64 s[28:29], exec, s[6:7]
	s_cbranch_execnz .LBB6_45
; %bb.16552:
	s_getpc_b64 s[66:67]
.Lpost_getpc12:
	s_add_u32 s66, s66, (.LBB6_6164-.Lpost_getpc12)&4294967295
	s_addc_u32 s67, s67, (.LBB6_6164-.Lpost_getpc12)>>32
	s_setpc_b64 s[66:67]
.LBB6_45:
	v_mov_b32_e32 v1, 0
	v_cmp_ne_u64_e32 vcc, 0, v[24:25]
	v_mov_b32_e32 v2, 0
	buffer_store_dword v1, off, s[0:3], s33 offset:96 ; 4-byte Folded Spill
	s_nop 0
	buffer_store_dword v2, off, s[0:3], s33 offset:100 ; 4-byte Folded Spill
	s_and_saveexec_b64 s[40:41], vcc
	s_cbranch_execnz .LBB6_46
; %bb.16554:
	s_getpc_b64 s[66:67]
.Lpost_getpc13:
	s_add_u32 s66, s66, (.LBB6_6163-.Lpost_getpc13)&4294967295
	s_addc_u32 s67, s67, (.LBB6_6163-.Lpost_getpc13)>>32
	s_setpc_b64 s[66:67]
.LBB6_46:
	buffer_store_dword v6, off, s[0:3], s33 offset:80 ; 4-byte Folded Spill
	s_nop 0
	buffer_store_dword v7, off, s[0:3], s33 offset:84 ; 4-byte Folded Spill
	s_waitcnt lgkmcnt(0)
	buffer_store_dword v8, off, s[0:3], s33 offset:88 ; 4-byte Folded Spill
	buffer_store_dword v9, off, s[0:3], s33 offset:92 ; 4-byte Folded Spill
	s_trap 2
	buffer_load_dword v2, off, s[0:3], s33 offset:556 ; 4-byte Folded Reload
	buffer_load_dword v3, off, s[0:3], s33 offset:532 ; 4-byte Folded Reload
	;; [unrolled: 1-line block ×3, first 2 shown]
	s_ashr_i32 s6, s48, 31
	s_lshr_b32 s6, s6, 24
	s_add_i32 s6, s48, s6
	v_mov_b32_e32 v6, 0
	s_mov_b32 s62, -1
	s_ashr_i32 s49, s6, 8
	v_mov_b32_e32 v53, 0
	s_mov_b64 s[44:45], 0
	v_mov_b32_e32 v7, 0
	s_movk_i32 s50, 0x108
	s_movk_i32 s51, 0x7f
	;; [unrolled: 1-line block ×4, first 2 shown]
	s_mov_b64 s[56:57], 0x7f800000
	s_mov_b64 s[58:59], 0x43e00001
	s_movk_i32 s54, 0x7a
	s_mov_b64 s[60:61], 0xffffff
	s_mov_b32 s63, 0xffffff
	s_movk_i32 s55, 0xffc0
	s_mov_b32 s64, 0x3ffffc00
	s_waitcnt vmcnt(2)
	v_cmp_eq_u32_e32 vcc, 64, v2
	s_waitcnt vmcnt(1)
	v_and_b32_e32 v4, 63, v3
	s_waitcnt vmcnt(0)
	v_ashrrev_i32_e32 v1, 31, v1
	buffer_store_dword v1, off, s[0:3], s33 offset:368 ; 4-byte Folded Spill
	buffer_load_dword v1, off, s[0:3], s33 offset:612 ; 4-byte Folded Reload
	v_cmp_le_u32_e64 s[14:15], v4, v0
	v_cmp_lt_u32_e64 s[16:17], v4, v0
	v_lshrrev_b32_e32 v0, 6, v3
	buffer_store_dword v0, off, s[0:3], s33 offset:376 ; 4-byte Folded Spill
	v_lshlrev_b32_e32 v0, 12, v0
	v_lshl_or_b32 v0, v4, 4, v0
	buffer_store_dword v0, off, s[0:3], s33 offset:404 ; 4-byte Folded Spill
	buffer_store_dword v4, off, s[0:3], s33 offset:400 ; 4-byte Folded Spill
	v_cmp_ge_u32_e64 s[6:7], v3, v2
	v_cmp_ne_u32_e64 s[10:11], 64, v2
	s_xor_b64 s[46:47], vcc, -1
	s_waitcnt vmcnt(3)
	v_cmp_ne_u32_sdwa s[42:43], v2, v1 src0_sel:DWORD src1_sel:WORD_0
	buffer_load_dword v1, off, s[0:3], s33 offset:608 ; 4-byte Folded Reload
	s_waitcnt vmcnt(0)
	v_and_b32_e32 v1, 63, v1
	v_cmp_eq_u32_e64 s[12:13], 0, v1
	v_lshrrev_b32_e32 v1, 6, v2
	v_lshlrev_b32_e32 v0, 12, v1
	buffer_store_dword v0, off, s[0:3], s33 offset:336 ; 4-byte Folded Spill
	v_lshlrev_b32_e32 v0, 10, v1
	buffer_store_dword v0, off, s[0:3], s33 offset:348 ; 4-byte Folded Spill
	buffer_store_dword v1, off, s[0:3], s33 offset:156 ; 4-byte Folded Spill
	v_lshlrev_b32_e32 v0, 11, v1
	buffer_store_dword v0, off, s[0:3], s33 offset:332 ; 4-byte Folded Spill
	v_and_b32_e32 v0, 0x3fc0, v2
	buffer_store_dword v0, off, s[0:3], s33 offset:340 ; 4-byte Folded Spill
	buffer_load_dword v0, off, s[0:3], s33 offset:592 ; 4-byte Folded Reload
	s_nop 0
	buffer_load_dword v1, off, s[0:3], s33 offset:596 ; 4-byte Folded Reload
	s_waitcnt vmcnt(0)
	v_cmp_eq_u64_e64 s[18:19], 0, v[0:1]
	v_mov_b32_e32 v0, 0
	v_mov_b32_e32 v1, 0
	buffer_store_dword v0, off, s[0:3], s33 offset:96 ; 4-byte Folded Spill
	s_nop 0
	buffer_store_dword v1, off, s[0:3], s33 offset:100 ; 4-byte Folded Spill
	buffer_load_dword v4, off, s[0:3], s33 offset:492 ; 4-byte Folded Reload
	buffer_load_dword v5, off, s[0:3], s33 offset:496 ; 4-byte Folded Reload
	s_nop 0
	buffer_store_dword v24, off, s[0:3], s33 offset:500 ; 4-byte Folded Spill
	s_nop 0
	buffer_store_dword v25, off, s[0:3], s33 offset:504 ; 4-byte Folded Spill
	buffer_store_dword v26, off, s[0:3], s33 offset:508 ; 4-byte Folded Spill
	;; [unrolled: 1-line block ×3, first 2 shown]
	s_branch .LBB6_49
.LBB6_47:                               ;   in Loop: Header=BB6_49 Depth=1
	s_or_b64 exec, exec, s[20:21]
.LBB6_48:                               ;   in Loop: Header=BB6_49 Depth=1
	s_or_b64 exec, exec, s[22:23]
	buffer_load_dword v4, off, s[0:3], s33 offset:492 ; 4-byte Folded Reload
	buffer_load_dword v5, off, s[0:3], s33 offset:496 ; 4-byte Folded Reload
	;; [unrolled: 1-line block ×6, first 2 shown]
	s_waitcnt vmcnt(0)
	v_mov_b32_e32 v25, v1
	v_add_co_u32_e32 v6, vcc, v6, v4
	v_addc_co_u32_e32 v7, vcc, 0, v7, vcc
	v_mov_b32_e32 v24, v0
	v_cmp_ge_u64_e32 vcc, v[6:7], v[24:25]
	s_or_b64 s[44:45], vcc, s[44:45]
	s_andn2_b64 exec, exec, s[44:45]
	s_cbranch_execnz .LBB6_49
; %bb.16556:
	s_getpc_b64 s[66:67]
.Lpost_getpc14:
	s_add_u32 s66, s66, (.LBB6_6162-.Lpost_getpc14)&4294967295
	s_addc_u32 s67, s67, (.LBB6_6162-.Lpost_getpc14)>>32
	s_setpc_b64 s[66:67]
.LBB6_49:                               ; =>This Loop Header: Depth=1
                                        ;     Child Loop BB6_57 Depth 2
                                        ;     Child Loop BB6_86 Depth 2
                                        ;     Child Loop BB6_105 Depth 2
                                        ;     Child Loop BB6_128 Depth 2
                                        ;     Child Loop BB6_3341 Depth 2
                                        ;     Child Loop BB6_4155 Depth 2
                                        ;     Child Loop BB6_6021 Depth 2
                                        ;     Child Loop BB6_6092 Depth 2
                                        ;     Child Loop BB6_6116 Depth 2
                                        ;     Child Loop BB6_6145 Depth 2
	v_sub_co_u32_e32 v0, vcc, v24, v6
	v_subb_co_u32_e32 v1, vcc, v25, v7, vcc
	s_waitcnt vmcnt(0)
	v_cmp_lt_u64_e32 vcc, v[4:5], v[0:1]
	v_cndmask_b32_e32 v2, v0, v4, vcc
	v_cndmask_b32_e64 v3, v1, 0, vcc
	v_mov_b32_e32 v1, v2
	v_add_u32_e32 v0, 15, v2
	buffer_store_dword v1, off, s[0:3], s33 offset:324 ; 4-byte Folded Spill
	s_nop 0
	buffer_store_dword v2, off, s[0:3], s33 offset:328 ; 4-byte Folded Spill
	v_and_b32_e32 v0, 0x7ffffff0, v0
	v_max_i32_e32 v0, s49, v0
	buffer_store_dword v0, off, s[0:3], s33 offset:172 ; 4-byte Folded Spill
	s_nop 0
	buffer_store_dword v1, off, s[0:3], s33 offset:176 ; 4-byte Folded Spill
	v_cmp_eq_u64_e32 vcc, 0, v[2:3]
	v_mov_b32_e32 v0, v53
	s_or_b64 s[72:73], s[6:7], vcc
	s_xor_b64 s[20:21], s[72:73], -1
	s_and_saveexec_b64 s[74:75], s[20:21]
	s_cbranch_execnz .LBB6_50
; %bb.16558:                            ;   in Loop: Header=BB6_49 Depth=1
	s_getpc_b64 s[66:67]
.Lpost_getpc15:
	s_add_u32 s66, s66, (.LBB6_6110-.Lpost_getpc15)&4294967295
	s_addc_u32 s67, s67, (.LBB6_6110-.Lpost_getpc15)>>32
	s_setpc_b64 s[66:67]
.LBB6_50:                               ;   in Loop: Header=BB6_49 Depth=1
	s_and_saveexec_b64 s[20:21], s[4:5]
	s_cbranch_execz .LBB6_52
; %bb.51:                               ;   in Loop: Header=BB6_49 Depth=1
	s_trap 2
	ds_read_b64 v[0:1], v0
	buffer_load_dword v2, off, s[0:3], s33 offset:548 ; 4-byte Folded Reload
	buffer_load_dword v3, off, s[0:3], s33 offset:552 ; 4-byte Folded Reload
	s_waitcnt vmcnt(0) lgkmcnt(0)
	v_add_co_u32_e32 v0, vcc, v0, v2
	s_waitcnt vmcnt(0)
	v_addc_co_u32_e32 v1, vcc, v1, v3, vcc
	v_add_co_u32_e32 v0, vcc, v0, v6
	v_addc_co_u32_e32 v1, vcc, v1, v7, vcc
	ds_write_b64 v0, v[0:1]
	v_mov_b32_e32 v0, v53
	v_mov_b32_e32 v1, v53
	ds_write_b64 v0, v[0:1]
.LBB6_52:                               ;   in Loop: Header=BB6_49 Depth=1
	s_or_b64 exec, exec, s[20:21]
	buffer_load_dword v0, off, s[0:3], s33 offset:324 ; 4-byte Folded Reload
	buffer_load_dword v1, off, s[0:3], s33 offset:328 ; 4-byte Folded Reload
	;; [unrolled: 1-line block ×4, first 2 shown]
	s_waitcnt vmcnt(0)
	v_min_u32_e32 v1, v1, v0
	buffer_store_dword v1, off, s[0:3], s33 offset:172 ; 4-byte Folded Spill
	s_waitcnt vmcnt(1)
	buffer_store_dword v2, off, s[0:3], s33 offset:176 ; 4-byte Folded Spill
	buffer_load_dword v0, off, s[0:3], s33 offset:76 ; 4-byte Folded Reload
	s_waitcnt vmcnt(0)
	v_and_b32_e32 v0, 12, v0
	v_cmp_ne_u32_e32 vcc, 0, v0
	s_and_saveexec_b64 s[22:23], vcc
	s_cbranch_execz .LBB6_78
; %bb.53:                               ;   in Loop: Header=BB6_49 Depth=1
	buffer_load_dword v0, off, s[0:3], s33 offset:76 ; 4-byte Folded Reload
	buffer_load_dword v1, off, s[0:3], s33 offset:60 ; 4-byte Folded Reload
	;; [unrolled: 1-line block ×3, first 2 shown]
	v_mov_b32_e32 v15, v7
	v_mov_b32_e32 v14, v6
	buffer_load_dword v3, off, s[0:3], s33 offset:80 ; 4-byte Folded Reload
	buffer_load_dword v4, off, s[0:3], s33 offset:84 ; 4-byte Folded Reload
	;; [unrolled: 1-line block ×4, first 2 shown]
	s_waitcnt vmcnt(0)
	v_and_b32_e32 v0, 8, v0
	s_waitcnt vmcnt(5)
	v_add_co_u32_e32 v1, vcc, v1, v0
	s_waitcnt vmcnt(4)
	v_addc_co_u32_e32 v2, vcc, 0, v2, vcc
	s_waitcnt vmcnt(1)
	v_add_co_u32_e32 v10, vcc, 1, v5
	s_waitcnt vmcnt(0)
	v_addc_co_u32_e32 v11, vcc, 0, v6, vcc
	v_cmp_lt_u64_e32 vcc, v[1:2], v[10:11]
	s_and_saveexec_b64 s[76:77], vcc
	s_cbranch_execz .LBB6_65
; %bb.54:                               ;   in Loop: Header=BB6_49 Depth=1
	buffer_load_dword v1, off, s[0:3], s33 offset:76 ; 4-byte Folded Reload
	s_mov_b32 s65, 0
	s_mov_b64 s[78:79], 0
                                        ; implicit-def: $sgpr88_sgpr89
                                        ; implicit-def: $sgpr90_sgpr91
                                        ; implicit-def: $sgpr92_sgpr93
	s_waitcnt vmcnt(0)
	v_and_b32_e32 v1, 64, v1
	v_cmp_eq_u32_e32 vcc, 0, v1
	s_branch .LBB6_57
.LBB6_55:                               ;   in Loop: Header=BB6_57 Depth=2
	s_or_b64 exec, exec, s[38:39]
	s_andn2_b64 s[20:21], s[92:93], exec
	s_and_b64 s[92:93], s[34:35], exec
	s_or_b64 s[92:93], s[20:21], s[92:93]
	s_andn2_b64 s[20:21], s[90:91], exec
	s_and_b64 s[90:91], s[30:31], exec
	s_or_b64 s[90:91], s[20:21], s[90:91]
.LBB6_56:                               ;   in Loop: Header=BB6_57 Depth=2
	s_or_b64 exec, exec, s[94:95]
	s_and_b64 s[20:21], exec, s[90:91]
	s_or_b64 s[78:79], s[20:21], s[78:79]
	s_andn2_b64 s[20:21], s[88:89], exec
	s_and_b64 s[88:89], s[92:93], exec
	s_or_b64 s[88:89], s[20:21], s[88:89]
	s_andn2_b64 exec, exec, s[78:79]
	s_cbranch_execz .LBB6_62
.LBB6_57:                               ;   Parent Loop BB6_49 Depth=1
                                        ; =>  This Inner Loop Header: Depth=2
	s_sleep 1
	buffer_load_dword v1, off, s[0:3], s33 offset:68 ; 4-byte Folded Reload
	buffer_load_dword v2, off, s[0:3], s33 offset:72 ; 4-byte Folded Reload
	s_or_b64 s[92:93], s[92:93], exec
	s_or_b64 s[90:91], s[90:91], exec
	s_waitcnt vmcnt(0)
	flat_load_dwordx2 v[1:2], v[1:2] glc
	s_waitcnt vmcnt(0) lgkmcnt(0)
	buffer_store_dword v1, off, s[0:3], s33 offset:60 ; 4-byte Folded Spill
	s_nop 0
	buffer_store_dword v2, off, s[0:3], s33 offset:64 ; 4-byte Folded Spill
                                        ; implicit-def: $vgpr1
	s_and_saveexec_b64 s[94:95], vcc
	s_cbranch_execz .LBB6_56
; %bb.58:                               ;   in Loop: Header=BB6_57 Depth=2
	s_cmpk_lt_i32 s65, 0x270f
	s_cselect_b64 s[36:37], -1, 0
	s_cmpk_gt_i32 s65, 0x270e
	s_mov_b64 s[30:31], -1
	s_cbranch_scc0 .LBB6_60
; %bb.59:                               ;   in Loop: Header=BB6_57 Depth=2
	s_trap 2
	ds_read_b64 v[1:2], v0
	s_andn2_b64 s[36:37], s[36:37], exec
	s_mov_b32 s65, 0
	s_mov_b64 s[34:35], 0
	s_waitcnt vmcnt(0) lgkmcnt(0)
	flat_load_dword v1, v[1:2] glc
	s_waitcnt vmcnt(0) lgkmcnt(0)
	buffer_wbinvl1_vol
	v_cmp_eq_u32_e64 s[20:21], 0, v1
	s_and_b64 s[20:21], s[20:21], exec
	s_or_b64 s[36:37], s[36:37], s[20:21]
	s_and_saveexec_b64 s[38:39], s[36:37]
	s_cbranch_execz .LBB6_55
	s_branch .LBB6_61
.LBB6_60:                               ;   in Loop: Header=BB6_57 Depth=2
	s_add_i32 s65, s65, 1
	s_mov_b64 s[34:35], -1
                                        ; implicit-def: $vgpr1
	s_and_saveexec_b64 s[38:39], s[36:37]
	s_cbranch_execz .LBB6_55
.LBB6_61:                               ;   in Loop: Header=BB6_57 Depth=2
	buffer_load_dword v2, off, s[0:3], s33 offset:60 ; 4-byte Folded Reload
	buffer_load_dword v3, off, s[0:3], s33 offset:64 ; 4-byte Folded Reload
	s_or_b64 s[34:35], s[34:35], exec
	s_waitcnt vmcnt(1)
	v_add_co_u32_e64 v2, s[20:21], v2, v0
	s_waitcnt vmcnt(0)
	v_addc_co_u32_e64 v3, s[20:21], 0, v3, s[20:21]
	v_cmp_ge_u64_e64 s[20:21], v[2:3], v[10:11]
	s_orn2_b64 s[30:31], s[20:21], exec
	s_branch .LBB6_55
.LBB6_62:                               ;   in Loop: Header=BB6_49 Depth=1
	s_or_b64 exec, exec, s[78:79]
	s_xor_b64 s[20:21], s[88:89], -1
	s_and_saveexec_b64 s[78:79], s[20:21]
	s_xor_b64 s[20:21], exec, s[78:79]
	s_cbranch_execz .LBB6_64
; %bb.63:                               ;   in Loop: Header=BB6_49 Depth=1
	ds_write_b32 v0, v1
	s_trap 2
	buffer_load_dword v1, off, s[0:3], s33 offset:76 ; 4-byte Folded Reload
	s_waitcnt vmcnt(0)
	v_or_b32_e32 v1, 64, v1
	buffer_store_dword v1, off, s[0:3], s33 offset:76 ; 4-byte Folded Spill
.LBB6_64:                               ;   in Loop: Header=BB6_49 Depth=1
	s_or_b64 exec, exec, s[20:21]
.LBB6_65:                               ;   in Loop: Header=BB6_49 Depth=1
	s_or_b64 exec, exec, s[76:77]
	;;#ASMSTART
	s_wakeup
	;;#ASMEND
	buffer_load_dword v1, off, s[0:3], s33 offset:76 ; 4-byte Folded Reload
	s_waitcnt vmcnt(0)
	v_and_b32_e32 v1, 0x108, v1
	v_cmp_ne_u32_e32 vcc, s50, v1
	buffer_load_dword v1, off, s[0:3], s33 offset:80 ; 4-byte Folded Reload
	buffer_load_dword v2, off, s[0:3], s33 offset:84 ; 4-byte Folded Reload
	;; [unrolled: 1-line block ×4, first 2 shown]
	s_waitcnt vmcnt(0)
	v_and_b32_e32 v1, 7, v3
	s_mov_b64 s[20:21], exec
	s_and_b64 s[76:77], s[20:21], vcc
	v_mov_b32_e32 v6, v14
	s_xor_b64 s[20:21], s[76:77], s[20:21]
	v_mov_b32_e32 v7, v15
                                        ; implicit-def: $vgpr2
	s_mov_b64 exec, s[76:77]
; %bb.66:                               ;   in Loop: Header=BB6_49 Depth=1
	v_mov_b32_e32 v2, v53
; %bb.67:                               ;   in Loop: Header=BB6_49 Depth=1
	s_andn2_saveexec_b64 s[20:21], s[20:21]
	s_cbranch_execz .LBB6_69
; %bb.68:                               ;   in Loop: Header=BB6_49 Depth=1
	buffer_load_dword v2, off, s[0:3], s33 offset:80 ; 4-byte Folded Reload
	buffer_load_dword v3, off, s[0:3], s33 offset:84 ; 4-byte Folded Reload
	;; [unrolled: 1-line block ×6, first 2 shown]
	s_waitcnt vmcnt(0)
	v_mov_b32_e32 v9, v53
	v_mad_u64_u32 v[3:4], s[76:77], v1, 24, v[2:3]
	v_mov_b32_e32 v2, v53
	v_mov_b32_e32 v5, v8
	buffer_store_dword v5, off, s[0:3], s33 offset:172 ; 4-byte Folded Spill
	s_nop 0
	buffer_store_dword v6, off, s[0:3], s33 offset:176 ; 4-byte Folded Spill
	flat_store_dwordx2 v[3:4], v[8:9] offset:8
.LBB6_69:                               ;   in Loop: Header=BB6_49 Depth=1
	s_or_b64 exec, exec, s[20:21]
	buffer_load_dword v3, off, s[0:3], s33 offset:76 ; 4-byte Folded Reload
	s_mov_b64 s[20:21], -1
                                        ; implicit-def: $vgpr8_vgpr9
	s_waitcnt vmcnt(0)
	v_and_b32_e32 v3, 0x100, v3
	v_cmp_ne_u32_e32 vcc, 0, v3
	s_and_saveexec_b64 s[76:77], vcc
	s_cbranch_execz .LBB6_73
; %bb.70:                               ;   in Loop: Header=BB6_49 Depth=1
	buffer_load_dword v3, off, s[0:3], s33 offset:80 ; 4-byte Folded Reload
	buffer_load_dword v4, off, s[0:3], s33 offset:84 ; 4-byte Folded Reload
	;; [unrolled: 1-line block ×4, first 2 shown]
                                        ; implicit-def: $vgpr8_vgpr9
	s_waitcnt vmcnt(0)
	v_mad_u64_u32 v[12:13], s[20:21], v1, 24, v[3:4]
	v_mov_b32_e32 v3, v13
	v_mad_u64_u32 v[3:4], s[20:21], v2, 24, v[3:4]
	v_mov_b32_e32 v13, v3
	flat_load_dword v3, v[12:13]
	s_waitcnt vmcnt(0) lgkmcnt(0)
	v_cmp_ne_u32_e32 vcc, 1, v3
	v_cmp_eq_u32_e64 s[20:21], 1, v3
	s_and_saveexec_b64 s[78:79], s[20:21]
	s_cbranch_execz .LBB6_72
; %bb.71:                               ;   in Loop: Header=BB6_49 Depth=1
	flat_load_dword v8, v[12:13] offset:4 glc
	s_waitcnt vmcnt(0) lgkmcnt(0)
	v_ashrrev_i32_e32 v9, 31, v8
.LBB6_72:                               ;   in Loop: Header=BB6_49 Depth=1
	s_or_b64 exec, exec, s[78:79]
	v_mov_b32_e32 v6, v14
	s_orn2_b64 s[20:21], vcc, exec
	v_mov_b32_e32 v7, v15
.LBB6_73:                               ;   in Loop: Header=BB6_49 Depth=1
	s_or_b64 exec, exec, s[76:77]
	s_and_saveexec_b64 s[76:77], s[20:21]
	s_cbranch_execz .LBB6_75
; %bb.74:                               ;   in Loop: Header=BB6_49 Depth=1
	buffer_load_dword v4, off, s[0:3], s33 offset:588 ; 4-byte Folded Reload
	buffer_load_dword v3, off, s[0:3], s33 offset:368 ; 4-byte Folded Reload
	s_waitcnt vmcnt(0)
	v_mul_lo_u32 v2, v2, v4
	v_mul_lo_u32 v3, v1, v3
	v_mad_u64_u32 v[8:9], s[20:21], v1, v4, 0
	v_add3_u32 v9, v9, v3, v2
.LBB6_75:                               ;   in Loop: Header=BB6_49 Depth=1
	s_or_b64 exec, exec, s[76:77]
	v_cmp_eq_u32_e32 vcc, 0, v0
	v_mov_b32_e32 v0, 0xc8
	v_mov_b32_e32 v1, 0x90
	v_cndmask_b32_e32 v2, v0, v1, vcc
	buffer_load_dword v0, off, s[0:3], s33 offset:524 ; 4-byte Folded Reload
	buffer_load_dword v1, off, s[0:3], s33 offset:528 ; 4-byte Folded Reload
	s_waitcnt vmcnt(0)
	v_add_co_u32_e32 v0, vcc, v0, v8
	v_addc_co_u32_e32 v1, vcc, v1, v9, vcc
	v_add_u32_e32 v2, v0, v2
	ds_write_b64 v2, v[0:1] offset:584
	buffer_load_dword v0, off, s[0:3], s33 offset:76 ; 4-byte Folded Reload
	s_waitcnt vmcnt(0)
	v_and_b32_e32 v0, 0x2000, v0
	v_cmp_ne_u32_e32 vcc, 0, v0
	s_and_saveexec_b64 s[20:21], vcc
	s_cbranch_execz .LBB6_77
; %bb.76:                               ;   in Loop: Header=BB6_49 Depth=1
	ds_read_b64 v[0:1], v0 offset:872
	s_waitcnt lgkmcnt(0)
	v_add_co_u32_e32 v0, vcc, 1, v0
	v_addc_co_u32_e32 v1, vcc, 0, v1, vcc
	ds_write_b64 v0, v[0:1] offset:872
.LBB6_77:                               ;   in Loop: Header=BB6_49 Depth=1
	s_or_b64 exec, exec, s[20:21]
	buffer_load_dword v0, off, s[0:3], s33 offset:80 ; 4-byte Folded Reload
	buffer_load_dword v1, off, s[0:3], s33 offset:84 ; 4-byte Folded Reload
	;; [unrolled: 1-line block ×4, first 2 shown]
	s_waitcnt vmcnt(0)
	v_mov_b32_e32 v2, v10
	v_mov_b32_e32 v3, v11
	buffer_store_dword v0, off, s[0:3], s33 offset:80 ; 4-byte Folded Spill
	s_nop 0
	buffer_store_dword v1, off, s[0:3], s33 offset:84 ; 4-byte Folded Spill
	buffer_store_dword v2, off, s[0:3], s33 offset:88 ; 4-byte Folded Spill
	;; [unrolled: 1-line block ×3, first 2 shown]
.LBB6_78:                               ;   in Loop: Header=BB6_49 Depth=1
	s_or_b64 exec, exec, s[22:23]
	s_and_saveexec_b64 s[20:21], s[10:11]
	s_cbranch_execz .LBB6_97
; %bb.79:                               ;   in Loop: Header=BB6_49 Depth=1
	s_and_saveexec_b64 s[22:23], s[42:43]
	s_xor_b64 s[22:23], exec, s[22:23]
	s_cbranch_execz .LBB6_94
; %bb.80:                               ;   in Loop: Header=BB6_49 Depth=1
	s_and_saveexec_b64 s[76:77], s[12:13]
	s_cbranch_execz .LBB6_93
; %bb.81:                               ;   in Loop: Header=BB6_49 Depth=1
	s_mov_b64 s[88:89], exec
	v_mbcnt_lo_u32_b32 v0, s88, 0
	v_mbcnt_hi_u32_b32 v0, s89, v0
	v_cmp_eq_u32_e32 vcc, 0, v0
	s_waitcnt vmcnt(0) lgkmcnt(0)
	buffer_wbinvl1_vol
	s_and_saveexec_b64 s[78:79], vcc
	s_cbranch_execz .LBB6_83
; %bb.82:                               ;   in Loop: Header=BB6_49 Depth=1
	s_bcnt1_i32_b64 s88, s[88:89]
	v_mov_b32_e32 v0, s88
	v_mov_b32_e32 v1, v53
	ds_add_u64 v0, v[0:1]
	s_trap 2
.LBB6_83:                               ;   in Loop: Header=BB6_49 Depth=1
	s_or_b64 exec, exec, s[78:79]
	s_trap 2
	ds_read_b64 v[0:1], v0
	s_waitcnt lgkmcnt(0)
	buffer_load_dword v2, off, s[0:3], s33 offset:96 ; 4-byte Folded Reload
	buffer_load_dword v3, off, s[0:3], s33 offset:100 ; 4-byte Folded Reload
	;; [unrolled: 1-line block ×3, first 2 shown]
	s_waitcnt vmcnt(0)
	v_add_co_u32_e32 v2, vcc, v2, v4
	v_addc_co_u32_e32 v3, vcc, 0, v3, vcc
	buffer_store_dword v2, off, s[0:3], s33 offset:96 ; 4-byte Folded Spill
	s_nop 0
	buffer_store_dword v3, off, s[0:3], s33 offset:100 ; 4-byte Folded Spill
	v_cmp_lt_u64_e32 vcc, v[0:1], v[2:3]
	s_and_saveexec_b64 s[78:79], vcc
	s_cbranch_execz .LBB6_92
; %bb.84:                               ;   in Loop: Header=BB6_49 Depth=1
	s_mov_b32 s34, 0
	s_mov_b64 s[88:89], 0
                                        ; implicit-def: $sgpr90_sgpr91
                                        ; implicit-def: $sgpr92_sgpr93
	s_branch .LBB6_86
.LBB6_85:                               ;   in Loop: Header=BB6_86 Depth=2
	s_or_b64 exec, exec, s[30:31]
	s_and_b64 s[94:95], exec, vcc
	s_or_b64 s[88:89], s[94:95], s[88:89]
	s_andn2_b64 s[90:91], s[90:91], exec
	s_and_b64 s[94:95], s[92:93], exec
	s_or_b64 s[90:91], s[90:91], s[94:95]
	s_andn2_b64 exec, exec, s[88:89]
	s_cbranch_execz .LBB6_90
.LBB6_86:                               ;   Parent Loop BB6_49 Depth=1
                                        ; =>  This Inner Loop Header: Depth=2
	s_add_i32 s34, s34, 1
	s_cmpk_lg_i32 s34, 0x2710
	s_cselect_b64 s[94:95], -1, 0
	s_and_b64 vcc, exec, s[94:95]
	s_cbranch_vccz .LBB6_88
; %bb.87:                               ;   in Loop: Header=BB6_86 Depth=2
	s_mov_b64 vcc, -1
	s_or_b64 s[92:93], s[92:93], exec
	s_and_saveexec_b64 s[30:31], s[94:95]
	s_cbranch_execz .LBB6_85
	s_branch .LBB6_89
.LBB6_88:                               ;   in Loop: Header=BB6_86 Depth=2
	s_trap 2
	ds_read_b64 v[0:1], v0
	s_andn2_b64 s[94:95], s[94:95], exec
	s_mov_b32 s34, 0
	s_waitcnt vmcnt(0) lgkmcnt(0)
	flat_load_dword v0, v[0:1] glc
	s_waitcnt vmcnt(0) lgkmcnt(0)
	buffer_wbinvl1_vol
	v_cmp_eq_u32_e32 vcc, 0, v0
	s_and_b64 vcc, vcc, exec
	s_or_b64 s[94:95], s[94:95], vcc
	s_mov_b64 vcc, -1
	s_or_b64 s[92:93], s[92:93], exec
	s_and_saveexec_b64 s[30:31], s[94:95]
	s_cbranch_execz .LBB6_85
.LBB6_89:                               ;   in Loop: Header=BB6_86 Depth=2
	s_sleep 1
	s_trap 2
	ds_read_b64 v[0:1], v0
	s_waitcnt lgkmcnt(0)
	buffer_load_dword v2, off, s[0:3], s33 offset:96 ; 4-byte Folded Reload
	buffer_load_dword v3, off, s[0:3], s33 offset:100 ; 4-byte Folded Reload
	s_andn2_b64 s[92:93], s[92:93], exec
	s_waitcnt vmcnt(0)
	v_cmp_ge_u64_e32 vcc, v[0:1], v[2:3]
	s_orn2_b64 vcc, vcc, exec
	s_branch .LBB6_85
.LBB6_90:                               ;   in Loop: Header=BB6_49 Depth=1
	s_or_b64 exec, exec, s[88:89]
	s_and_saveexec_b64 s[88:89], s[90:91]
	s_xor_b64 s[88:89], exec, s[88:89]
	s_cbranch_execz .LBB6_92
; %bb.91:                               ;   in Loop: Header=BB6_49 Depth=1
	v_mov_b32_e32 v0, 1
	ds_write_b32 v0, v0
	s_trap 2
.LBB6_92:                               ;   in Loop: Header=BB6_49 Depth=1
	s_or_b64 exec, exec, s[78:79]
	;;#ASMSTART
	s_wakeup
	;;#ASMEND
.LBB6_93:                               ;   in Loop: Header=BB6_49 Depth=1
	s_or_b64 exec, exec, s[76:77]
.LBB6_94:                               ;   in Loop: Header=BB6_49 Depth=1
	s_andn2_saveexec_b64 s[22:23], s[22:23]
	s_cbranch_execz .LBB6_96
; %bb.95:                               ;   in Loop: Header=BB6_49 Depth=1
	s_waitcnt vmcnt(0) lgkmcnt(0)
	buffer_wbinvl1_vol
	s_barrier
.LBB6_96:                               ;   in Loop: Header=BB6_49 Depth=1
	s_or_b64 exec, exec, s[22:23]
.LBB6_97:                               ;   in Loop: Header=BB6_49 Depth=1
	s_or_b64 exec, exec, s[20:21]
	s_trap 2
	buffer_load_dword v1, off, s[0:3], s33 offset:76 ; 4-byte Folded Reload
	ds_read_b32 v0, v0
	s_waitcnt vmcnt(0)
	v_and_b32_e32 v1, 0x4000, v1
	v_cmp_ne_u32_e32 vcc, 0, v1
	s_and_b64 s[22:23], s[46:47], vcc
	s_and_saveexec_b64 s[20:21], s[22:23]
	s_cbranch_execz .LBB6_116
; %bb.98:                               ;   in Loop: Header=BB6_49 Depth=1
	s_and_saveexec_b64 s[22:23], s[42:43]
	s_xor_b64 s[22:23], exec, s[22:23]
	s_cbranch_execz .LBB6_113
; %bb.99:                               ;   in Loop: Header=BB6_49 Depth=1
	s_and_saveexec_b64 s[76:77], s[12:13]
	s_cbranch_execz .LBB6_112
; %bb.100:                              ;   in Loop: Header=BB6_49 Depth=1
	s_mov_b64 s[88:89], exec
	v_mbcnt_lo_u32_b32 v1, s88, 0
	v_mbcnt_hi_u32_b32 v1, s89, v1
	v_cmp_eq_u32_e32 vcc, 0, v1
	s_waitcnt lgkmcnt(0)
	buffer_wbinvl1_vol
	s_and_saveexec_b64 s[78:79], vcc
	s_cbranch_execz .LBB6_102
; %bb.101:                              ;   in Loop: Header=BB6_49 Depth=1
	s_bcnt1_i32_b64 s88, s[88:89]
	v_mov_b32_e32 v1, s88
	v_mov_b32_e32 v2, v53
	ds_add_u64 v0, v[1:2]
	s_trap 2
.LBB6_102:                              ;   in Loop: Header=BB6_49 Depth=1
	s_or_b64 exec, exec, s[78:79]
	s_trap 2
	ds_read_b64 v[1:2], v0
	s_waitcnt lgkmcnt(0)
	buffer_load_dword v3, off, s[0:3], s33 offset:96 ; 4-byte Folded Reload
	buffer_load_dword v4, off, s[0:3], s33 offset:100 ; 4-byte Folded Reload
	;; [unrolled: 1-line block ×3, first 2 shown]
	s_waitcnt vmcnt(0)
	v_add_co_u32_e32 v3, vcc, v3, v5
	v_addc_co_u32_e32 v4, vcc, 0, v4, vcc
	buffer_store_dword v3, off, s[0:3], s33 offset:96 ; 4-byte Folded Spill
	s_nop 0
	buffer_store_dword v4, off, s[0:3], s33 offset:100 ; 4-byte Folded Spill
	v_cmp_lt_u64_e32 vcc, v[1:2], v[3:4]
	s_and_saveexec_b64 s[78:79], vcc
	s_cbranch_execz .LBB6_111
; %bb.103:                              ;   in Loop: Header=BB6_49 Depth=1
	s_mov_b32 s34, 0
	s_mov_b64 s[88:89], 0
                                        ; implicit-def: $sgpr90_sgpr91
                                        ; implicit-def: $sgpr92_sgpr93
	s_branch .LBB6_105
.LBB6_104:                              ;   in Loop: Header=BB6_105 Depth=2
	s_or_b64 exec, exec, s[30:31]
	s_and_b64 s[94:95], exec, vcc
	s_or_b64 s[88:89], s[94:95], s[88:89]
	s_andn2_b64 s[90:91], s[90:91], exec
	s_and_b64 s[94:95], s[92:93], exec
	s_or_b64 s[90:91], s[90:91], s[94:95]
	s_andn2_b64 exec, exec, s[88:89]
	s_cbranch_execz .LBB6_109
.LBB6_105:                              ;   Parent Loop BB6_49 Depth=1
                                        ; =>  This Inner Loop Header: Depth=2
	s_add_i32 s34, s34, 1
	s_cmpk_lg_i32 s34, 0x2710
	s_cselect_b64 s[94:95], -1, 0
	s_and_b64 vcc, exec, s[94:95]
	s_cbranch_vccz .LBB6_107
; %bb.106:                              ;   in Loop: Header=BB6_105 Depth=2
	s_mov_b64 vcc, -1
	s_or_b64 s[92:93], s[92:93], exec
	s_and_saveexec_b64 s[30:31], s[94:95]
	s_cbranch_execz .LBB6_104
	s_branch .LBB6_108
.LBB6_107:                              ;   in Loop: Header=BB6_105 Depth=2
	s_trap 2
	ds_read_b64 v[1:2], v0
	s_andn2_b64 s[94:95], s[94:95], exec
	s_mov_b32 s34, 0
	s_waitcnt vmcnt(0) lgkmcnt(0)
	flat_load_dword v1, v[1:2] glc
	s_waitcnt vmcnt(0) lgkmcnt(0)
	buffer_wbinvl1_vol
	v_cmp_eq_u32_e32 vcc, 0, v1
	s_and_b64 vcc, vcc, exec
	s_or_b64 s[94:95], s[94:95], vcc
	s_mov_b64 vcc, -1
	s_or_b64 s[92:93], s[92:93], exec
	s_and_saveexec_b64 s[30:31], s[94:95]
	s_cbranch_execz .LBB6_104
.LBB6_108:                              ;   in Loop: Header=BB6_105 Depth=2
	s_sleep 1
	s_trap 2
	ds_read_b64 v[1:2], v0
	s_waitcnt lgkmcnt(0)
	buffer_load_dword v3, off, s[0:3], s33 offset:96 ; 4-byte Folded Reload
	buffer_load_dword v4, off, s[0:3], s33 offset:100 ; 4-byte Folded Reload
	s_andn2_b64 s[92:93], s[92:93], exec
	s_waitcnt vmcnt(0)
	v_cmp_ge_u64_e32 vcc, v[1:2], v[3:4]
	s_orn2_b64 vcc, vcc, exec
	s_branch .LBB6_104
.LBB6_109:                              ;   in Loop: Header=BB6_49 Depth=1
	s_or_b64 exec, exec, s[88:89]
	s_and_saveexec_b64 s[88:89], s[90:91]
	s_xor_b64 s[88:89], exec, s[88:89]
	s_cbranch_execz .LBB6_111
; %bb.110:                              ;   in Loop: Header=BB6_49 Depth=1
	v_mov_b32_e32 v1, 1
	ds_write_b32 v0, v1
	s_trap 2
.LBB6_111:                              ;   in Loop: Header=BB6_49 Depth=1
	s_or_b64 exec, exec, s[78:79]
	;;#ASMSTART
	s_wakeup
	;;#ASMEND
.LBB6_112:                              ;   in Loop: Header=BB6_49 Depth=1
	s_or_b64 exec, exec, s[76:77]
.LBB6_113:                              ;   in Loop: Header=BB6_49 Depth=1
	s_andn2_saveexec_b64 s[22:23], s[22:23]
	s_cbranch_execz .LBB6_115
; %bb.114:                              ;   in Loop: Header=BB6_49 Depth=1
	s_waitcnt vmcnt(0) lgkmcnt(0)
	buffer_wbinvl1_vol
	s_barrier
.LBB6_115:                              ;   in Loop: Header=BB6_49 Depth=1
	s_or_b64 exec, exec, s[22:23]
.LBB6_116:                              ;   in Loop: Header=BB6_49 Depth=1
	s_or_b64 exec, exec, s[20:21]
	s_trap 2
	s_waitcnt lgkmcnt(0)
	ds_read_b64 v[50:51], v0
	s_waitcnt lgkmcnt(0)
	v_cmp_eq_u64_e32 vcc, 0, v[50:51]
	s_cbranch_vccnz .LBB6_124
; %bb.117:                              ;   in Loop: Header=BB6_49 Depth=1
	s_trap 2
	ds_read_b64 v[48:49], v0
	s_waitcnt lgkmcnt(0)
	v_cmp_eq_u64_e32 vcc, 0, v[48:49]
	s_cbranch_vccnz .LBB6_124
; %bb.118:                              ;   in Loop: Header=BB6_49 Depth=1
	s_mov_b64 s[22:23], -1
	s_and_saveexec_b64 s[20:21], s[14:15]
	s_cbranch_execz .LBB6_120
; %bb.119:                              ;   in Loop: Header=BB6_49 Depth=1
	ds_read_b32 v1, v0 offset:720
	s_waitcnt lgkmcnt(0)
	v_and_b32_e32 v1, 15, v1
	v_cmp_eq_u32_e32 vcc, 0, v1
	s_orn2_b64 s[22:23], vcc, exec
.LBB6_120:                              ;   in Loop: Header=BB6_49 Depth=1
	s_or_b64 exec, exec, s[20:21]
	s_and_saveexec_b64 s[20:21], s[16:17]
	s_cbranch_execz .LBB6_122
; %bb.121:                              ;   in Loop: Header=BB6_49 Depth=1
	ds_read_b32 v1, v0 offset:784
	s_waitcnt lgkmcnt(0)
	v_and_b32_e32 v1, 15, v1
	v_cmp_eq_u32_e32 vcc, 0, v1
	s_and_b64 s[76:77], s[22:23], vcc
	s_andn2_b64 s[22:23], s[22:23], exec
	s_and_b64 s[76:77], s[76:77], exec
	s_or_b64 s[22:23], s[22:23], s[76:77]
.LBB6_122:                              ;   in Loop: Header=BB6_49 Depth=1
	s_or_b64 exec, exec, s[20:21]
	buffer_store_dword v6, off, s[0:3], s33 offset:360 ; 4-byte Folded Spill
	s_nop 0
	buffer_store_dword v7, off, s[0:3], s33 offset:364 ; 4-byte Folded Spill
	v_cmp_eq_u32_e32 vcc, 0, v0
	buffer_load_dword v0, off, s[0:3], s33 offset:172 ; 4-byte Folded Reload
	buffer_load_dword v1, off, s[0:3], s33 offset:176 ; 4-byte Folded Reload
	buffer_load_dword v4, off, s[0:3], s33 offset:532 ; 4-byte Folded Reload
	s_xor_b64 s[22:23], s[22:23], -1
	s_mov_b64 s[20:21], -1
	v_mov_b32_e32 v7, 0
	s_waitcnt vmcnt(1)
	v_cndmask_b32_e32 v1, 0, v0, vcc
	v_cndmask_b32_e64 v0, 0, 1, s[22:23]
	v_cmp_ne_u32_e32 vcc, 0, v0
	v_mov_b32_e32 v3, v1
	buffer_store_dword v1, off, s[0:3], s33 offset:352 ; 4-byte Folded Spill
	s_cbranch_vccz .LBB6_125
; %bb.123:                              ;   in Loop: Header=BB6_49 Depth=1
	s_and_saveexec_b64 s[22:23], s[20:21]
	s_cbranch_execnz .LBB6_4152
; %bb.16536:                            ;   in Loop: Header=BB6_49 Depth=1
	s_getpc_b64 s[66:67]
.Lpost_getpc4:
	s_add_u32 s66, s66, (.LBB6_6084-.Lpost_getpc4)&4294967295
	s_addc_u32 s67, s67, (.LBB6_6084-.Lpost_getpc4)>>32
	s_setpc_b64 s[66:67]
.LBB6_124:                              ;   in Loop: Header=BB6_49 Depth=1
	s_mov_b64 s[20:21], 0
	s_and_saveexec_b64 s[22:23], s[10:11]
	s_cbranch_execz .LBB6_16538
; %bb.16560:                            ;   in Loop: Header=BB6_49 Depth=1
	s_getpc_b64 s[66:67]
.Lpost_getpc16:
	s_add_u32 s66, s66, (.LBB6_6085-.Lpost_getpc16)&4294967295
	s_addc_u32 s67, s67, (.LBB6_6085-.Lpost_getpc16)>>32
	s_setpc_b64 s[66:67]
.LBB6_16538:                            ;   in Loop: Header=BB6_49 Depth=1
	s_getpc_b64 s[66:67]
.Lpost_getpc5:
	s_add_u32 s66, s66, (.LBB6_6103-.Lpost_getpc5)&4294967295
	s_addc_u32 s67, s67, (.LBB6_6103-.Lpost_getpc5)>>32
	s_setpc_b64 s[66:67]
.LBB6_125:                              ;   in Loop: Header=BB6_49 Depth=1
	buffer_load_dword v0, off, s[0:3], s33 offset:352 ; 4-byte Folded Reload
	buffer_load_dword v1, off, s[0:3], s33 offset:376 ; 4-byte Folded Reload
	s_waitcnt vmcnt(1)
	v_lshrrev_b32_e32 v0, 12, v0
	s_waitcnt vmcnt(0)
	v_sub_u32_e32 v2, v0, v1
	v_cmp_lt_i32_e32 vcc, 0, v2
	s_and_saveexec_b64 s[22:23], vcc
	s_cbranch_execz .LBB6_3337
; %bb.126:                              ;   in Loop: Header=BB6_49 Depth=1
	s_trap 2
	buffer_load_dword v3, off, s[0:3], s33 offset:404 ; 4-byte Folded Reload
	ds_read_b64 v[0:1], v0
	s_waitcnt lgkmcnt(0)
	v_readfirstlane_b32 s20, v0
	s_and_b32 s21, s20, 7
	s_flbit_i32_b32 s21, s21
	s_min_u32 s21, s21, 32
	s_and_b32 s76, s20, 0x7f
	s_bfe_u32 s77, s20, 0x40003
	s_sub_i32 s78, s21, 28
	s_sub_i32 s21, 29, s21
	s_cmp_lt_u32 s76, 8
	s_cselect_b32 s78, s78, 0
	s_cselect_b32 s21, s21, s77
	s_lshl_b32 s77, s20, 24
	s_lshl_b32 s21, s21, 23
	s_and_b32 s77, s77, 0x80000000
	s_add_i32 s21, s21, 0x3c000000
	s_or_b32 s21, s77, s21
	s_cmpk_lg_i32 s76, 0x7f
	s_mov_b64 s[76:77], 0
	s_waitcnt vmcnt(0)
	v_add_co_u32_e32 v46, vcc, v50, v3
	buffer_store_dword v50, off, s[0:3], s33 offset:392 ; 4-byte Folded Spill
	s_nop 0
	buffer_store_dword v51, off, s[0:3], s33 offset:396 ; 4-byte Folded Spill
	v_addc_co_u32_e32 v47, vcc, 0, v51, vcc
	v_add_co_u32_e32 v56, vcc, v0, v3
	v_addc_co_u32_e32 v57, vcc, 0, v1, vcc
	v_add_co_u32_e32 v58, vcc, v48, v3
	buffer_store_dword v48, off, s[0:3], s33 offset:384 ; 4-byte Folded Spill
	s_nop 0
	buffer_store_dword v49, off, s[0:3], s33 offset:388 ; 4-byte Folded Spill
	v_lshlrev_b64 v[0:1], s78, v[0:1]
	v_mov_b32_e32 v1, 0x7f800001
	v_lshlrev_b32_e32 v0, 20, v0
	v_and_b32_e32 v0, 0x700000, v0
	v_or_b32_e32 v0, s21, v0
	v_addc_co_u32_e32 v59, vcc, 0, v49, vcc
	s_cselect_b64 vcc, -1, 0
	v_cndmask_b32_e32 v0, v1, v0, vcc
	s_and_b32 s94, s20, 0xff
	buffer_store_dword v0, off, s[0:3], s33 offset:344 ; 4-byte Folded Spill
	s_branch .LBB6_128
.LBB6_127:                              ;   in Loop: Header=BB6_128 Depth=2
	s_or_b64 exec, exec, s[20:21]
	v_lshl_or_b32 v11, v45, 8, v51
	v_lshl_or_b32 v5, v23, 8, v5
	v_lshlrev_b32_e32 v12, 16, v20
	v_lshlrev_b32_e32 v13, 24, v60
	;; [unrolled: 1-line block ×4, first 2 shown]
	v_or3_b32 v32, v11, v12, v13
	v_or3_b32 v31, v5, v15, v20
	v_lshl_or_b32 v5, v61, 8, v29
	v_lshlrev_b32_e32 v11, 16, v50
	v_lshlrev_b32_e32 v3, 24, v3
	v_or3_b32 v33, v5, v11, v3
	v_lshl_or_b32 v3, v54, 8, v49
	v_lshlrev_b32_e32 v5, 24, v17
	v_lshlrev_b32_e32 v11, 16, v18
	;; [unrolled: 4-line block ×3, first 2 shown]
	buffer_load_dword v11, off, s[0:3], s33 offset:268 ; 4-byte Folded Reload
	buffer_load_dword v12, off, s[0:3], s33 offset:288 ; 4-byte Folded Reload
	v_or3_b32 v50, v1, v3, v5
	buffer_load_dword v1, off, s[0:3], s33 offset:312 ; 4-byte Folded Reload
	buffer_load_dword v3, off, s[0:3], s33 offset:316 ; 4-byte Folded Reload
	v_lshlrev_b32_e32 v5, 24, v43
	v_lshl_or_b32 v0, v0, 8, v19
	s_waitcnt vmcnt(2)
	v_lshl_or_b32 v11, v12, 8, v11
	s_waitcnt vmcnt(1)
	v_lshlrev_b32_e32 v1, 16, v1
	s_waitcnt vmcnt(0)
	v_lshlrev_b32_e32 v3, 24, v3
	v_or3_b32 v49, v11, v1, v3
	v_lshl_or_b32 v1, v41, 8, v48
	v_lshlrev_b32_e32 v3, 16, v42
	v_or3_b32 v51, v1, v3, v5
	v_lshlrev_b32_e32 v1, 24, v21
	v_lshlrev_b32_e32 v3, 16, v22
	v_lshl_or_b32 v5, v44, 8, v35
	v_or3_b32 v52, v5, v3, v1
	buffer_load_dword v1, off, s[0:3], s33 offset:160 ; 4-byte Folded Reload
	buffer_load_dword v3, off, s[0:3], s33 offset:184 ; 4-byte Folded Reload
	buffer_load_dword v5, off, s[0:3], s33 offset:228 ; 4-byte Folded Reload
	s_waitcnt vmcnt(1)
	v_lshl_or_b32 v1, v3, 8, v1
	buffer_load_dword v3, off, s[0:3], s33 offset:204 ; 4-byte Folded Reload
	s_waitcnt vmcnt(1)
	v_lshlrev_b32_e32 v5, 24, v5
	s_waitcnt vmcnt(0)
	v_lshlrev_b32_e32 v3, 16, v3
	v_or3_b32 v21, v1, v3, v5
	buffer_load_dword v1, off, s[0:3], s33 offset:104 ; 4-byte Folded Reload
	buffer_load_dword v3, off, s[0:3], s33 offset:108 ; 4-byte Folded Reload
	buffer_load_dword v5, off, s[0:3], s33 offset:132 ; 4-byte Folded Reload
	s_waitcnt vmcnt(1)
	v_lshl_or_b32 v1, v3, 8, v1
	buffer_load_dword v3, off, s[0:3], s33 offset:116 ; 4-byte Folded Reload
	s_waitcnt vmcnt(1)
	v_lshlrev_b32_e32 v5, 24, v5
	s_waitcnt vmcnt(0)
	v_lshlrev_b32_e32 v3, 16, v3
	;; [unrolled: 11-line block ×3, first 2 shown]
	v_or3_b32 v22, v1, v3, v5
	buffer_load_dword v1, off, s[0:3], s33 offset:308 ; 4-byte Folded Reload
	buffer_load_dword v3, off, s[0:3], s33 offset:304 ; 4-byte Folded Reload
	;; [unrolled: 1-line block ×4, first 2 shown]
	s_waitcnt vmcnt(3)
	v_lshlrev_b32_e32 v1, 24, v1
	s_waitcnt vmcnt(2)
	v_lshlrev_b32_e32 v3, 16, v3
	s_waitcnt vmcnt(0)
	v_lshl_or_b32 v5, v11, 8, v5
	v_or3_b32 v23, v5, v3, v1
	v_lshl_or_b32 v1, v55, 8, v9
	v_lshlrev_b32_e32 v3, 16, v16
	v_lshlrev_b32_e32 v5, 24, v62
	v_or3_b32 v12, v1, v3, v5
	v_lshlrev_b32_e32 v1, 16, v27
	v_lshlrev_b32_e32 v3, 24, v36
	v_or3_b32 v11, v0, v1, v3
	v_lshl_or_b32 v0, v30, 8, v6
	v_lshlrev_b32_e32 v1, 16, v28
	v_lshlrev_b32_e32 v3, 24, v7
	v_or3_b32 v13, v0, v1, v3
	v_lshlrev_b32_e32 v0, 24, v10
	v_lshlrev_b32_e32 v1, 16, v14
	v_lshl_or_b32 v3, v8, 8, v4
	v_or3_b32 v14, v3, v1, v0
	global_store_dwordx4 v[58:59], v[20:23], off glc slc
	global_store_dwordx4 v[58:59], v[49:52], off offset:1024 glc slc
	global_store_dwordx4 v[58:59], v[31:34], off offset:2048 glc slc
	;; [unrolled: 1-line block ×3, first 2 shown]
	buffer_load_dword v1, off, s[0:3], s33 offset:336 ; 4-byte Folded Reload
	buffer_load_dword v0, off, s[0:3], s33 offset:156 ; 4-byte Folded Reload
	s_waitcnt vmcnt(1)
	v_add_co_u32_e32 v46, vcc, v46, v1
	v_addc_co_u32_e32 v47, vcc, 0, v47, vcc
	v_add_co_u32_e32 v56, vcc, v56, v1
	v_addc_co_u32_e32 v57, vcc, 0, v57, vcc
	s_waitcnt vmcnt(0)
	v_sub_u32_e32 v2, v2, v0
	v_cmp_gt_i32_e32 vcc, 1, v2
	s_or_b64 s[76:77], vcc, s[76:77]
	v_add_co_u32_e32 v58, vcc, v58, v1
	v_addc_co_u32_e32 v59, vcc, 0, v59, vcc
	s_andn2_b64 exec, exec, s[76:77]
	s_cbranch_execz .LBB6_3336
.LBB6_128:                              ;   Parent Loop BB6_49 Depth=1
                                        ; =>  This Inner Loop Header: Depth=2
	s_cmpk_lt_i32 s94, 0x80
	s_cbranch_scc1 .LBB6_132
; %bb.129:                              ;   in Loop: Header=BB6_128 Depth=2
	s_and_b32 s78, 0xffff, s94
	s_mov_b64 s[20:21], -1
	s_cmpk_eq_i32 s78, 0x80
	s_cbranch_scc0 .LBB6_131
; %bb.130:                              ;   in Loop: Header=BB6_128 Depth=2
	s_mov_b64 s[20:21], 0
.LBB6_131:                              ;   in Loop: Header=BB6_128 Depth=2
	s_brev_b32 s88, 1
	s_branch .LBB6_134
.LBB6_132:                              ;   in Loop: Header=BB6_128 Depth=2
	s_mov_b64 s[20:21], 0
	s_brev_b32 s88, 1
	s_cbranch_execz .LBB6_134
; %bb.133:                              ;   in Loop: Header=BB6_128 Depth=2
	s_and_b32 s20, 0xffff, s94
	s_cmp_lg_u32 s20, 0
	s_mov_b32 s88, 0
	s_cselect_b64 s[20:21], -1, 0
.LBB6_134:                              ;   in Loop: Header=BB6_128 Depth=2
	s_andn2_b64 vcc, exec, s[20:21]
	v_mov_b32_e32 v17, s88
	s_cbranch_vccnz .LBB6_136
; %bb.135:                              ;   in Loop: Header=BB6_128 Depth=2
	buffer_load_dword v17, off, s[0:3], s33 offset:344 ; 4-byte Folded Reload
.LBB6_136:                              ;   in Loop: Header=BB6_128 Depth=2
	global_load_dwordx4 v[10:13], v[46:47], off glc slc
	v_mov_b32_e32 v0, 0
	s_waitcnt vmcnt(0)
	v_cmp_ne_u16_sdwa s[78:79], v10, v53 src0_sel:BYTE_0 src1_sel:DWORD
	s_and_saveexec_b64 s[20:21], s[78:79]
	s_cbranch_execz .LBB6_142
; %bb.137:                              ;   in Loop: Header=BB6_128 Depth=2
	v_cmp_ne_u16_sdwa s[88:89], v10, s53 src0_sel:BYTE_0 src1_sel:DWORD
	v_bfrev_b32_e32 v0, 1
	s_and_saveexec_b64 s[78:79], s[88:89]
	s_cbranch_execz .LBB6_141
; %bb.138:                              ;   in Loop: Header=BB6_128 Depth=2
	v_and_b32_e32 v1, 0x7f, v10
	v_cmp_ne_u32_e32 vcc, s51, v1
	v_mov_b32_e32 v0, 0x7f800001
	s_and_saveexec_b64 s[88:89], vcc
	s_cbranch_execz .LBB6_140
; %bb.139:                              ;   in Loop: Header=BB6_128 Depth=2
	v_and_b32_e32 v0, 7, v10
	v_ffbh_u32_e32 v0, v0
	v_min_u32_e32 v0, 32, v0
	v_lshrrev_b32_e32 v3, 3, v1
	v_cmp_gt_u32_e32 vcc, 8, v1
	v_subrev_u32_e32 v1, 28, v0
	v_sub_u32_e32 v0, 29, v0
	v_cndmask_b32_e32 v3, v3, v0, vcc
	v_cndmask_b32_e32 v0, 0, v1, vcc
	v_lshlrev_b64 v[0:1], v0, v[10:11]
	v_lshlrev_b32_e32 v1, 24, v10
	v_lshlrev_b32_e32 v0, 20, v0
	v_bfrev_b32_e32 v4, 60
	v_and_b32_e32 v0, 0x700000, v0
	v_and_b32_e32 v1, 0x80000000, v1
	v_lshl_add_u32 v3, v3, 23, v4
	v_or3_b32 v0, v1, v3, v0
.LBB6_140:                              ;   in Loop: Header=BB6_128 Depth=2
	s_or_b64 exec, exec, s[88:89]
.LBB6_141:                              ;   in Loop: Header=BB6_128 Depth=2
	s_or_b64 exec, exec, s[78:79]
.LBB6_142:                              ;   in Loop: Header=BB6_128 Depth=2
	s_or_b64 exec, exec, s[20:21]
	v_mul_f32_e32 v1, v17, v0
	v_and_b32_e32 v52, 0x7f800000, v1
	v_cmp_ne_u64_e32 vcc, s[56:57], v[52:53]
                                        ; implicit-def: $vgpr30
	s_and_saveexec_b64 s[20:21], vcc
	s_xor_b64 s[78:79], exec, s[20:21]
	s_cbranch_execz .LBB6_156
; %bb.143:                              ;   in Loop: Header=BB6_128 Depth=2
	v_and_b32_e32 v52, 0x7fffffff, v1
	v_cmp_gt_u64_e32 vcc, s[58:59], v[52:53]
	v_and_b32_sdwa v0, v1, s53 dst_sel:DWORD dst_unused:UNUSED_PAD src0_sel:BYTE_3 src1_sel:DWORD
                                        ; implicit-def: $vgpr30
	s_and_saveexec_b64 s[20:21], vcc
	s_xor_b64 s[88:89], exec, s[20:21]
	s_cbranch_execz .LBB6_153
; %bb.144:                              ;   in Loop: Header=BB6_128 Depth=2
	v_mov_b32_e32 v30, 0
	v_cmp_ne_u32_e32 vcc, 0, v1
	s_and_saveexec_b64 s[90:91], vcc
	s_cbranch_execz .LBB6_152
; %bb.145:                              ;   in Loop: Header=BB6_128 Depth=2
	v_and_b32_e32 v4, 0x7fffff, v1
	v_bfe_u32 v1, v1, 23, 8
	v_cmp_gt_u32_e64 s[20:21], s54, v1
	v_sub_u32_e32 v3, 0x79, v1
	v_cmp_eq_u32_e32 vcc, 0, v1
	v_cndmask_b32_e64 v3, 0, v3, s[20:21]
	v_mov_b32_e32 v6, 0x78
	v_or_b32_e32 v5, 0x800000, v4
	v_cndmask_b32_e32 v3, v3, v6, vcc
	v_cndmask_b32_e32 v52, v5, v4, vcc
	v_add_u32_e32 v4, 20, v3
	v_lshlrev_b64 v[4:5], v4, -1
	v_add_u32_e32 v6, 19, v3
	v_lshlrev_b64 v[6:7], v6, 1
	v_lshrrev_b64 v[14:15], v3, v[52:53]
	v_bfi_b32 v5, v5, 0, 0
	v_bfi_b32 v4, v4, 0, v52
	v_cmp_eq_u64_e64 s[20:21], v[4:5], v[6:7]
	v_mov_b32_e32 v16, v15
	v_mov_b32_e32 v15, v14
	s_and_saveexec_b64 s[92:93], s[20:21]
; %bb.146:                              ;   in Loop: Header=BB6_128 Depth=2
	v_bfe_u32 v4, v14, 20, 1
	v_add_co_u32_e64 v4, s[20:21], v14, v4
	v_add_co_u32_e64 v15, s[20:21], -1, v4
; %bb.147:                              ;   in Loop: Header=BB6_128 Depth=2
	s_or_b64 exec, exec, s[92:93]
	v_add_u32_e32 v1, 0xffffff81, v1
	v_mov_b32_e32 v4, 0xffffff82
	v_cndmask_b32_e32 v1, v1, v4, vcc
	v_lshrrev_b32_e32 v4, 23, v14
	v_add3_u32 v4, v3, v1, v4
	v_add_u32_e32 v3, 6, v4
	v_and_b32_e32 v1, 0xfffff, v15
	v_add_u32_e32 v52, v1, v14
	v_cmp_ne_u32_e32 vcc, 0, v3
                                        ; implicit-def: $vgpr14_vgpr15
                                        ; implicit-def: $vgpr1
	s_and_saveexec_b64 s[20:21], vcc
	s_xor_b64 s[20:21], exec, s[20:21]
; %bb.148:                              ;   in Loop: Header=BB6_128 Depth=2
	v_cmp_lt_u64_e32 vcc, s[60:61], v[52:53]
	v_add_u32_e32 v1, 7, v4
	v_cndmask_b32_e32 v1, v3, v1, vcc
	v_cndmask_b32_e64 v3, 0, 1, vcc
	v_lshrrev_b64 v[14:15], v3, v[52:53]
; %bb.149:                              ;   in Loop: Header=BB6_128 Depth=2
	s_andn2_saveexec_b64 s[20:21], s[20:21]
; %bb.150:                              ;   in Loop: Header=BB6_128 Depth=2
	v_mov_b32_e32 v14, v52
	v_bfe_u32 v1, v52, 23, 1
	v_mov_b32_e32 v15, v53
; %bb.151:                              ;   in Loop: Header=BB6_128 Depth=2
	s_or_b64 exec, exec, s[20:21]
	v_lshrrev_b64 v[3:4], 20, v[14:15]
	v_cmp_gt_i32_e32 vcc, 16, v1
	v_cndmask_b32_e32 v4, 0, v4, vcc
	v_cndmask_b32_e32 v3, 7, v3, vcc
	v_cmp_eq_u32_e32 vcc, 0, v1
	v_min_i32_e32 v1, 15, v1
	v_cmp_eq_u64_e64 s[20:21], 0, v[3:4]
	v_lshlrev_b32_e32 v1, 3, v1
	v_and_b32_e32 v1, 0xf8, v1
	v_and_or_b32 v1, v3, 7, v1
	s_and_b64 s[20:21], vcc, s[20:21]
	v_cndmask_b32_e64 v1, v1, 0, s[20:21]
	v_or_b32_e32 v30, v1, v0
.LBB6_152:                              ;   in Loop: Header=BB6_128 Depth=2
	s_or_b64 exec, exec, s[90:91]
                                        ; implicit-def: $vgpr0
.LBB6_153:                              ;   in Loop: Header=BB6_128 Depth=2
	s_andn2_saveexec_b64 s[20:21], s[88:89]
; %bb.154:                              ;   in Loop: Header=BB6_128 Depth=2
	v_or_b32_e32 v30, 0x7e, v0
; %bb.155:                              ;   in Loop: Header=BB6_128 Depth=2
	s_or_b64 exec, exec, s[20:21]
                                        ; implicit-def: $vgpr1
.LBB6_156:                              ;   in Loop: Header=BB6_128 Depth=2
	s_andn2_saveexec_b64 s[20:21], s[78:79]
; %bb.157:                              ;   in Loop: Header=BB6_128 Depth=2
	v_or_b32_sdwa v30, v1, s51 dst_sel:DWORD dst_unused:UNUSED_PAD src0_sel:BYTE_3 src1_sel:DWORD
; %bb.158:                              ;   in Loop: Header=BB6_128 Depth=2
	s_or_b64 exec, exec, s[20:21]
	v_lshrrev_b16_e32 v14, 8, v10
	v_cmp_ne_u16_e32 vcc, 0, v14
	v_mov_b32_e32 v0, 0
	s_and_saveexec_b64 s[20:21], vcc
	s_cbranch_execz .LBB6_164
; %bb.159:                              ;   in Loop: Header=BB6_128 Depth=2
	v_cmp_ne_u16_e32 vcc, s53, v14
	v_bfrev_b32_e32 v0, 1
	s_and_saveexec_b64 s[78:79], vcc
	s_cbranch_execz .LBB6_163
; %bb.160:                              ;   in Loop: Header=BB6_128 Depth=2
	v_and_b32_e32 v1, 0x7f, v14
	v_cmp_ne_u32_e32 vcc, s51, v1
	v_mov_b32_e32 v0, 0x7f800001
	s_and_saveexec_b64 s[88:89], vcc
	s_cbranch_execz .LBB6_162
; %bb.161:                              ;   in Loop: Header=BB6_128 Depth=2
	v_and_b32_e32 v3, 7, v14
	v_ffbh_u32_e32 v0, v3
	v_min_u32_e32 v5, 32, v0
	v_subrev_u32_e32 v0, 28, v5
	v_lshrrev_b32_e32 v4, 3, v1
	v_cmp_gt_u32_e32 vcc, 8, v1
	v_lshlrev_b64 v[0:1], v0, v[14:15]
	v_sub_u32_e32 v1, 29, v5
	v_and_b32_e32 v0, 7, v0
	v_cndmask_b32_e32 v1, v4, v1, vcc
	v_cndmask_b32_e32 v0, v3, v0, vcc
	v_lshlrev_b32_e32 v3, 16, v10
	v_bfrev_b32_e32 v4, 60
	v_lshlrev_b32_e32 v0, 20, v0
	v_and_b32_e32 v3, 0x80000000, v3
	v_lshl_add_u32 v1, v1, 23, v4
	v_or3_b32 v0, v3, v1, v0
.LBB6_162:                              ;   in Loop: Header=BB6_128 Depth=2
	s_or_b64 exec, exec, s[88:89]
.LBB6_163:                              ;   in Loop: Header=BB6_128 Depth=2
	s_or_b64 exec, exec, s[78:79]
.LBB6_164:                              ;   in Loop: Header=BB6_128 Depth=2
	s_or_b64 exec, exec, s[20:21]
	v_mul_f32_e32 v1, v17, v0
	v_and_b32_e32 v52, 0x7f800000, v1
	v_cmp_ne_u64_e32 vcc, s[56:57], v[52:53]
                                        ; implicit-def: $vgpr60
	s_and_saveexec_b64 s[20:21], vcc
	s_xor_b64 s[78:79], exec, s[20:21]
	s_cbranch_execz .LBB6_178
; %bb.165:                              ;   in Loop: Header=BB6_128 Depth=2
	v_and_b32_e32 v52, 0x7fffffff, v1
	v_cmp_gt_u64_e32 vcc, s[58:59], v[52:53]
	v_and_b32_sdwa v0, v1, s53 dst_sel:DWORD dst_unused:UNUSED_PAD src0_sel:BYTE_3 src1_sel:DWORD
                                        ; implicit-def: $vgpr60
	s_and_saveexec_b64 s[20:21], vcc
	s_xor_b64 s[88:89], exec, s[20:21]
	s_cbranch_execz .LBB6_175
; %bb.166:                              ;   in Loop: Header=BB6_128 Depth=2
	v_mov_b32_e32 v60, 0
	v_cmp_ne_u32_e32 vcc, 0, v1
	s_and_saveexec_b64 s[90:91], vcc
	s_cbranch_execz .LBB6_174
; %bb.167:                              ;   in Loop: Header=BB6_128 Depth=2
	v_and_b32_e32 v4, 0x7fffff, v1
	v_bfe_u32 v1, v1, 23, 8
	v_cmp_gt_u32_e64 s[20:21], s54, v1
	v_sub_u32_e32 v3, 0x79, v1
	v_cmp_eq_u32_e32 vcc, 0, v1
	v_cndmask_b32_e64 v3, 0, v3, s[20:21]
	v_mov_b32_e32 v6, 0x78
	v_or_b32_e32 v5, 0x800000, v4
	v_cndmask_b32_e32 v3, v3, v6, vcc
	v_cndmask_b32_e32 v52, v5, v4, vcc
	v_add_u32_e32 v4, 20, v3
	v_lshlrev_b64 v[4:5], v4, -1
	v_add_u32_e32 v6, 19, v3
	v_lshlrev_b64 v[6:7], v6, 1
	v_lshrrev_b64 v[14:15], v3, v[52:53]
	v_bfi_b32 v5, v5, 0, 0
	v_bfi_b32 v4, v4, 0, v52
	v_cmp_eq_u64_e64 s[20:21], v[4:5], v[6:7]
	v_mov_b32_e32 v16, v15
	v_mov_b32_e32 v15, v14
	s_and_saveexec_b64 s[92:93], s[20:21]
; %bb.168:                              ;   in Loop: Header=BB6_128 Depth=2
	v_bfe_u32 v4, v14, 20, 1
	v_add_co_u32_e64 v4, s[20:21], v14, v4
	v_add_co_u32_e64 v15, s[20:21], -1, v4
; %bb.169:                              ;   in Loop: Header=BB6_128 Depth=2
	s_or_b64 exec, exec, s[92:93]
	v_add_u32_e32 v1, 0xffffff81, v1
	v_mov_b32_e32 v4, 0xffffff82
	v_cndmask_b32_e32 v1, v1, v4, vcc
	v_lshrrev_b32_e32 v4, 23, v14
	v_add3_u32 v4, v3, v1, v4
	v_add_u32_e32 v3, 6, v4
	v_and_b32_e32 v1, 0xfffff, v15
	v_add_u32_e32 v52, v1, v14
	v_cmp_ne_u32_e32 vcc, 0, v3
                                        ; implicit-def: $vgpr14_vgpr15
                                        ; implicit-def: $vgpr1
	s_and_saveexec_b64 s[20:21], vcc
	s_xor_b64 s[20:21], exec, s[20:21]
; %bb.170:                              ;   in Loop: Header=BB6_128 Depth=2
	v_cmp_lt_u64_e32 vcc, s[60:61], v[52:53]
	v_add_u32_e32 v1, 7, v4
	v_cndmask_b32_e32 v1, v3, v1, vcc
	v_cndmask_b32_e64 v3, 0, 1, vcc
	v_lshrrev_b64 v[14:15], v3, v[52:53]
; %bb.171:                              ;   in Loop: Header=BB6_128 Depth=2
	s_andn2_saveexec_b64 s[20:21], s[20:21]
; %bb.172:                              ;   in Loop: Header=BB6_128 Depth=2
	v_mov_b32_e32 v14, v52
	v_bfe_u32 v1, v52, 23, 1
	v_mov_b32_e32 v15, v53
; %bb.173:                              ;   in Loop: Header=BB6_128 Depth=2
	s_or_b64 exec, exec, s[20:21]
	v_lshrrev_b64 v[3:4], 20, v[14:15]
	v_cmp_gt_i32_e32 vcc, 16, v1
	v_cndmask_b32_e32 v4, 0, v4, vcc
	v_cndmask_b32_e32 v3, 7, v3, vcc
	v_cmp_eq_u32_e32 vcc, 0, v1
	v_min_i32_e32 v1, 15, v1
	v_cmp_eq_u64_e64 s[20:21], 0, v[3:4]
	v_lshlrev_b32_e32 v1, 3, v1
	v_and_b32_e32 v1, 0xf8, v1
	v_and_or_b32 v1, v3, 7, v1
	s_and_b64 s[20:21], vcc, s[20:21]
	v_cndmask_b32_e64 v1, v1, 0, s[20:21]
	v_or_b32_e32 v60, v1, v0
.LBB6_174:                              ;   in Loop: Header=BB6_128 Depth=2
	s_or_b64 exec, exec, s[90:91]
                                        ; implicit-def: $vgpr0
.LBB6_175:                              ;   in Loop: Header=BB6_128 Depth=2
	s_andn2_saveexec_b64 s[20:21], s[88:89]
; %bb.176:                              ;   in Loop: Header=BB6_128 Depth=2
	v_or_b32_e32 v60, 0x7e, v0
; %bb.177:                              ;   in Loop: Header=BB6_128 Depth=2
	s_or_b64 exec, exec, s[20:21]
                                        ; implicit-def: $vgpr1
.LBB6_178:                              ;   in Loop: Header=BB6_128 Depth=2
	s_andn2_saveexec_b64 s[20:21], s[78:79]
; %bb.179:                              ;   in Loop: Header=BB6_128 Depth=2
	v_or_b32_sdwa v60, v1, s51 dst_sel:DWORD dst_unused:UNUSED_PAD src0_sel:BYTE_3 src1_sel:DWORD
; %bb.180:                              ;   in Loop: Header=BB6_128 Depth=2
	s_or_b64 exec, exec, s[20:21]
	v_lshrrev_b32_e32 v14, 16, v10
	v_cmp_ne_u16_sdwa s[78:79], v14, v53 src0_sel:BYTE_0 src1_sel:DWORD
	v_mov_b32_e32 v0, 0
	s_and_saveexec_b64 s[20:21], s[78:79]
	s_cbranch_execz .LBB6_186
; %bb.181:                              ;   in Loop: Header=BB6_128 Depth=2
	v_cmp_ne_u16_sdwa s[88:89], v14, s53 src0_sel:BYTE_0 src1_sel:DWORD
	v_bfrev_b32_e32 v0, 1
	s_and_saveexec_b64 s[78:79], s[88:89]
	s_cbranch_execz .LBB6_185
; %bb.182:                              ;   in Loop: Header=BB6_128 Depth=2
	v_bfe_u32 v1, v10, 16, 7
	v_cmp_ne_u32_e32 vcc, s51, v1
	v_mov_b32_e32 v0, 0x7f800001
	s_and_saveexec_b64 s[88:89], vcc
	s_cbranch_execz .LBB6_184
; %bb.183:                              ;   in Loop: Header=BB6_128 Depth=2
	v_and_b32_e32 v3, 7, v14
	v_ffbh_u32_e32 v0, v3
	v_min_u32_e32 v5, 32, v0
	v_subrev_u32_e32 v0, 28, v5
	v_lshrrev_b32_e32 v4, 3, v1
	v_cmp_gt_u32_e32 vcc, 8, v1
	v_lshlrev_b64 v[0:1], v0, v[14:15]
	v_sub_u32_e32 v1, 29, v5
	v_and_b32_e32 v0, 7, v0
	v_cndmask_b32_e32 v1, v4, v1, vcc
	v_cndmask_b32_e32 v0, v3, v0, vcc
	v_lshlrev_b32_e32 v3, 24, v14
	v_bfrev_b32_e32 v4, 60
	v_lshlrev_b32_e32 v0, 20, v0
	v_and_b32_e32 v3, 0x80000000, v3
	v_lshl_add_u32 v1, v1, 23, v4
	v_or3_b32 v0, v3, v1, v0
.LBB6_184:                              ;   in Loop: Header=BB6_128 Depth=2
	s_or_b64 exec, exec, s[88:89]
.LBB6_185:                              ;   in Loop: Header=BB6_128 Depth=2
	s_or_b64 exec, exec, s[78:79]
.LBB6_186:                              ;   in Loop: Header=BB6_128 Depth=2
	s_or_b64 exec, exec, s[20:21]
	v_mul_f32_e32 v1, v17, v0
	v_and_b32_e32 v52, 0x7f800000, v1
	v_cmp_ne_u64_e32 vcc, s[56:57], v[52:53]
                                        ; implicit-def: $vgpr61
	s_and_saveexec_b64 s[20:21], vcc
	s_xor_b64 s[78:79], exec, s[20:21]
	s_cbranch_execz .LBB6_200
; %bb.187:                              ;   in Loop: Header=BB6_128 Depth=2
	v_and_b32_e32 v52, 0x7fffffff, v1
	v_cmp_gt_u64_e32 vcc, s[58:59], v[52:53]
	v_and_b32_sdwa v0, v1, s53 dst_sel:DWORD dst_unused:UNUSED_PAD src0_sel:BYTE_3 src1_sel:DWORD
                                        ; implicit-def: $vgpr61
	s_and_saveexec_b64 s[20:21], vcc
	s_xor_b64 s[88:89], exec, s[20:21]
	s_cbranch_execz .LBB6_197
; %bb.188:                              ;   in Loop: Header=BB6_128 Depth=2
	v_mov_b32_e32 v61, 0
	v_cmp_ne_u32_e32 vcc, 0, v1
	s_and_saveexec_b64 s[90:91], vcc
	s_cbranch_execz .LBB6_196
; %bb.189:                              ;   in Loop: Header=BB6_128 Depth=2
	v_and_b32_e32 v4, 0x7fffff, v1
	v_bfe_u32 v1, v1, 23, 8
	v_cmp_gt_u32_e64 s[20:21], s54, v1
	v_sub_u32_e32 v3, 0x79, v1
	v_cmp_eq_u32_e32 vcc, 0, v1
	v_cndmask_b32_e64 v3, 0, v3, s[20:21]
	v_mov_b32_e32 v6, 0x78
	v_or_b32_e32 v5, 0x800000, v4
	v_cndmask_b32_e32 v3, v3, v6, vcc
	v_cndmask_b32_e32 v52, v5, v4, vcc
	v_add_u32_e32 v4, 20, v3
	v_lshlrev_b64 v[4:5], v4, -1
	v_add_u32_e32 v6, 19, v3
	v_lshlrev_b64 v[6:7], v6, 1
	v_lshrrev_b64 v[14:15], v3, v[52:53]
	v_bfi_b32 v5, v5, 0, 0
	v_bfi_b32 v4, v4, 0, v52
	v_cmp_eq_u64_e64 s[20:21], v[4:5], v[6:7]
	v_mov_b32_e32 v16, v15
	v_mov_b32_e32 v15, v14
	s_and_saveexec_b64 s[92:93], s[20:21]
; %bb.190:                              ;   in Loop: Header=BB6_128 Depth=2
	v_bfe_u32 v4, v14, 20, 1
	v_add_co_u32_e64 v4, s[20:21], v14, v4
	v_add_co_u32_e64 v15, s[20:21], -1, v4
; %bb.191:                              ;   in Loop: Header=BB6_128 Depth=2
	s_or_b64 exec, exec, s[92:93]
	v_add_u32_e32 v1, 0xffffff81, v1
	v_mov_b32_e32 v4, 0xffffff82
	v_cndmask_b32_e32 v1, v1, v4, vcc
	v_lshrrev_b32_e32 v4, 23, v14
	v_add3_u32 v4, v3, v1, v4
	v_add_u32_e32 v3, 6, v4
	v_and_b32_e32 v1, 0xfffff, v15
	v_add_u32_e32 v52, v1, v14
	v_cmp_ne_u32_e32 vcc, 0, v3
                                        ; implicit-def: $vgpr14_vgpr15
                                        ; implicit-def: $vgpr1
	s_and_saveexec_b64 s[20:21], vcc
	s_xor_b64 s[20:21], exec, s[20:21]
; %bb.192:                              ;   in Loop: Header=BB6_128 Depth=2
	v_cmp_lt_u64_e32 vcc, s[60:61], v[52:53]
	v_add_u32_e32 v1, 7, v4
	v_cndmask_b32_e32 v1, v3, v1, vcc
	v_cndmask_b32_e64 v3, 0, 1, vcc
	v_lshrrev_b64 v[14:15], v3, v[52:53]
; %bb.193:                              ;   in Loop: Header=BB6_128 Depth=2
	s_andn2_saveexec_b64 s[20:21], s[20:21]
; %bb.194:                              ;   in Loop: Header=BB6_128 Depth=2
	v_mov_b32_e32 v14, v52
	v_bfe_u32 v1, v52, 23, 1
	v_mov_b32_e32 v15, v53
; %bb.195:                              ;   in Loop: Header=BB6_128 Depth=2
	s_or_b64 exec, exec, s[20:21]
	v_lshrrev_b64 v[3:4], 20, v[14:15]
	v_cmp_gt_i32_e32 vcc, 16, v1
	v_cndmask_b32_e32 v4, 0, v4, vcc
	v_cndmask_b32_e32 v3, 7, v3, vcc
	v_cmp_eq_u32_e32 vcc, 0, v1
	v_min_i32_e32 v1, 15, v1
	v_cmp_eq_u64_e64 s[20:21], 0, v[3:4]
	v_lshlrev_b32_e32 v1, 3, v1
	v_and_b32_e32 v1, 0xf8, v1
	v_and_or_b32 v1, v3, 7, v1
	s_and_b64 s[20:21], vcc, s[20:21]
	v_cndmask_b32_e64 v1, v1, 0, s[20:21]
	v_or_b32_e32 v61, v1, v0
.LBB6_196:                              ;   in Loop: Header=BB6_128 Depth=2
	s_or_b64 exec, exec, s[90:91]
                                        ; implicit-def: $vgpr0
.LBB6_197:                              ;   in Loop: Header=BB6_128 Depth=2
	s_andn2_saveexec_b64 s[20:21], s[88:89]
; %bb.198:                              ;   in Loop: Header=BB6_128 Depth=2
	v_or_b32_e32 v61, 0x7e, v0
; %bb.199:                              ;   in Loop: Header=BB6_128 Depth=2
	s_or_b64 exec, exec, s[20:21]
                                        ; implicit-def: $vgpr1
.LBB6_200:                              ;   in Loop: Header=BB6_128 Depth=2
	s_andn2_saveexec_b64 s[20:21], s[78:79]
; %bb.201:                              ;   in Loop: Header=BB6_128 Depth=2
	v_or_b32_sdwa v61, v1, s51 dst_sel:DWORD dst_unused:UNUSED_PAD src0_sel:BYTE_3 src1_sel:DWORD
; %bb.202:                              ;   in Loop: Header=BB6_128 Depth=2
	s_or_b64 exec, exec, s[20:21]
	v_cmp_lt_u32_e32 vcc, s63, v10
	v_mov_b32_e32 v0, 0
	s_and_saveexec_b64 s[20:21], vcc
	s_cbranch_execz .LBB6_208
; %bb.203:                              ;   in Loop: Header=BB6_128 Depth=2
	v_lshrrev_b32_e32 v14, 24, v10
	v_cmp_ne_u32_e32 vcc, s53, v14
	v_bfrev_b32_e32 v0, 1
	s_and_saveexec_b64 s[78:79], vcc
	s_cbranch_execz .LBB6_207
; %bb.204:                              ;   in Loop: Header=BB6_128 Depth=2
	v_bfe_u32 v1, v10, 24, 7
	v_cmp_ne_u32_e32 vcc, s51, v1
	v_mov_b32_e32 v0, 0x7f800001
	s_and_saveexec_b64 s[88:89], vcc
	s_cbranch_execz .LBB6_206
; %bb.205:                              ;   in Loop: Header=BB6_128 Depth=2
	v_and_b32_e32 v3, 7, v14
	v_ffbh_u32_e32 v0, v3
	v_min_u32_e32 v5, 32, v0
	v_subrev_u32_e32 v0, 28, v5
	v_lshrrev_b32_e32 v4, 3, v1
	v_cmp_gt_u32_e32 vcc, 8, v1
	v_lshlrev_b64 v[0:1], v0, v[14:15]
	v_sub_u32_e32 v1, 29, v5
	v_and_b32_e32 v0, 7, v0
	v_cndmask_b32_e32 v1, v4, v1, vcc
	v_cndmask_b32_e32 v0, v3, v0, vcc
	v_lshlrev_b32_e32 v3, 24, v14
	v_bfrev_b32_e32 v4, 60
	v_lshlrev_b32_e32 v0, 20, v0
	v_and_b32_e32 v3, 0x80000000, v3
	v_lshl_add_u32 v1, v1, 23, v4
	v_or3_b32 v0, v3, v1, v0
.LBB6_206:                              ;   in Loop: Header=BB6_128 Depth=2
	s_or_b64 exec, exec, s[88:89]
.LBB6_207:                              ;   in Loop: Header=BB6_128 Depth=2
	s_or_b64 exec, exec, s[78:79]
.LBB6_208:                              ;   in Loop: Header=BB6_128 Depth=2
	s_or_b64 exec, exec, s[20:21]
	v_mul_f32_e32 v1, v17, v0
	v_and_b32_e32 v52, 0x7f800000, v1
	v_cmp_ne_u64_e32 vcc, s[56:57], v[52:53]
                                        ; implicit-def: $vgpr62
	s_and_saveexec_b64 s[20:21], vcc
	s_xor_b64 s[78:79], exec, s[20:21]
	s_cbranch_execz .LBB6_222
; %bb.209:                              ;   in Loop: Header=BB6_128 Depth=2
	v_and_b32_e32 v52, 0x7fffffff, v1
	v_cmp_gt_u64_e32 vcc, s[58:59], v[52:53]
	v_and_b32_sdwa v0, v1, s53 dst_sel:DWORD dst_unused:UNUSED_PAD src0_sel:BYTE_3 src1_sel:DWORD
                                        ; implicit-def: $vgpr62
	s_and_saveexec_b64 s[20:21], vcc
	s_xor_b64 s[88:89], exec, s[20:21]
	s_cbranch_execz .LBB6_219
; %bb.210:                              ;   in Loop: Header=BB6_128 Depth=2
	v_mov_b32_e32 v62, 0
	v_cmp_ne_u32_e32 vcc, 0, v1
	s_and_saveexec_b64 s[90:91], vcc
	s_cbranch_execz .LBB6_218
; %bb.211:                              ;   in Loop: Header=BB6_128 Depth=2
	v_and_b32_e32 v4, 0x7fffff, v1
	v_bfe_u32 v1, v1, 23, 8
	v_cmp_gt_u32_e64 s[20:21], s54, v1
	v_sub_u32_e32 v3, 0x79, v1
	v_cmp_eq_u32_e32 vcc, 0, v1
	v_cndmask_b32_e64 v3, 0, v3, s[20:21]
	v_mov_b32_e32 v6, 0x78
	v_or_b32_e32 v5, 0x800000, v4
	v_cndmask_b32_e32 v3, v3, v6, vcc
	v_cndmask_b32_e32 v52, v5, v4, vcc
	v_add_u32_e32 v4, 20, v3
	v_lshlrev_b64 v[4:5], v4, -1
	v_add_u32_e32 v6, 19, v3
	v_lshlrev_b64 v[6:7], v6, 1
	v_lshrrev_b64 v[14:15], v3, v[52:53]
	v_bfi_b32 v5, v5, 0, 0
	v_bfi_b32 v4, v4, 0, v52
	v_cmp_eq_u64_e64 s[20:21], v[4:5], v[6:7]
	v_mov_b32_e32 v16, v15
	v_mov_b32_e32 v15, v14
	s_and_saveexec_b64 s[92:93], s[20:21]
; %bb.212:                              ;   in Loop: Header=BB6_128 Depth=2
	v_bfe_u32 v4, v14, 20, 1
	v_add_co_u32_e64 v4, s[20:21], v14, v4
	v_add_co_u32_e64 v15, s[20:21], -1, v4
; %bb.213:                              ;   in Loop: Header=BB6_128 Depth=2
	s_or_b64 exec, exec, s[92:93]
	v_add_u32_e32 v1, 0xffffff81, v1
	v_mov_b32_e32 v4, 0xffffff82
	v_cndmask_b32_e32 v1, v1, v4, vcc
	v_lshrrev_b32_e32 v4, 23, v14
	v_add3_u32 v4, v3, v1, v4
	v_add_u32_e32 v3, 6, v4
	v_and_b32_e32 v1, 0xfffff, v15
	v_add_u32_e32 v52, v1, v14
	v_cmp_ne_u32_e32 vcc, 0, v3
                                        ; implicit-def: $vgpr14_vgpr15
                                        ; implicit-def: $vgpr1
	s_and_saveexec_b64 s[20:21], vcc
	s_xor_b64 s[20:21], exec, s[20:21]
; %bb.214:                              ;   in Loop: Header=BB6_128 Depth=2
	v_cmp_lt_u64_e32 vcc, s[60:61], v[52:53]
	v_add_u32_e32 v1, 7, v4
	v_cndmask_b32_e32 v1, v3, v1, vcc
	v_cndmask_b32_e64 v3, 0, 1, vcc
	v_lshrrev_b64 v[14:15], v3, v[52:53]
; %bb.215:                              ;   in Loop: Header=BB6_128 Depth=2
	s_andn2_saveexec_b64 s[20:21], s[20:21]
; %bb.216:                              ;   in Loop: Header=BB6_128 Depth=2
	v_mov_b32_e32 v14, v52
	v_bfe_u32 v1, v52, 23, 1
	v_mov_b32_e32 v15, v53
; %bb.217:                              ;   in Loop: Header=BB6_128 Depth=2
	s_or_b64 exec, exec, s[20:21]
	v_lshrrev_b64 v[3:4], 20, v[14:15]
	v_cmp_gt_i32_e32 vcc, 16, v1
	v_cndmask_b32_e32 v4, 0, v4, vcc
	v_cndmask_b32_e32 v3, 7, v3, vcc
	v_cmp_eq_u32_e32 vcc, 0, v1
	v_min_i32_e32 v1, 15, v1
	v_cmp_eq_u64_e64 s[20:21], 0, v[3:4]
	v_lshlrev_b32_e32 v1, 3, v1
	v_and_b32_e32 v1, 0xf8, v1
	v_and_or_b32 v1, v3, 7, v1
	s_and_b64 s[20:21], vcc, s[20:21]
	v_cndmask_b32_e64 v1, v1, 0, s[20:21]
	v_or_b32_e32 v62, v1, v0
.LBB6_218:                              ;   in Loop: Header=BB6_128 Depth=2
	s_or_b64 exec, exec, s[90:91]
                                        ; implicit-def: $vgpr0
.LBB6_219:                              ;   in Loop: Header=BB6_128 Depth=2
	s_andn2_saveexec_b64 s[20:21], s[88:89]
; %bb.220:                              ;   in Loop: Header=BB6_128 Depth=2
	v_or_b32_e32 v62, 0x7e, v0
; %bb.221:                              ;   in Loop: Header=BB6_128 Depth=2
	s_or_b64 exec, exec, s[20:21]
                                        ; implicit-def: $vgpr1
.LBB6_222:                              ;   in Loop: Header=BB6_128 Depth=2
	s_andn2_saveexec_b64 s[20:21], s[78:79]
; %bb.223:                              ;   in Loop: Header=BB6_128 Depth=2
	v_or_b32_sdwa v62, v1, s51 dst_sel:DWORD dst_unused:UNUSED_PAD src0_sel:BYTE_3 src1_sel:DWORD
; %bb.224:                              ;   in Loop: Header=BB6_128 Depth=2
	s_or_b64 exec, exec, s[20:21]
	v_mov_b32_e32 v52, v11
	v_cmp_ne_u16_sdwa s[78:79], v11, v53 src0_sel:BYTE_0 src1_sel:DWORD
	v_mov_b32_e32 v0, 0
	s_and_saveexec_b64 s[20:21], s[78:79]
	s_cbranch_execz .LBB6_230
; %bb.225:                              ;   in Loop: Header=BB6_128 Depth=2
	v_cmp_ne_u16_sdwa s[88:89], v11, s53 src0_sel:BYTE_0 src1_sel:DWORD
	v_bfrev_b32_e32 v0, 1
	s_and_saveexec_b64 s[78:79], s[88:89]
	s_cbranch_execz .LBB6_229
; %bb.226:                              ;   in Loop: Header=BB6_128 Depth=2
	v_and_b32_e32 v1, 0x7f, v11
	v_cmp_ne_u32_e32 vcc, s51, v1
	v_mov_b32_e32 v0, 0x7f800001
	s_and_saveexec_b64 s[88:89], vcc
	s_cbranch_execz .LBB6_228
; %bb.227:                              ;   in Loop: Header=BB6_128 Depth=2
	v_and_b32_e32 v0, 7, v11
	v_ffbh_u32_e32 v0, v0
	v_min_u32_e32 v0, 32, v0
	v_lshrrev_b32_e32 v3, 3, v1
	v_cmp_gt_u32_e32 vcc, 8, v1
	v_subrev_u32_e32 v1, 28, v0
	v_sub_u32_e32 v0, 29, v0
	v_cndmask_b32_e32 v3, v3, v0, vcc
	v_cndmask_b32_e32 v0, 0, v1, vcc
	v_lshlrev_b64 v[0:1], v0, v[52:53]
	v_lshlrev_b32_e32 v1, 24, v52
	v_lshlrev_b32_e32 v0, 20, v0
	v_bfrev_b32_e32 v4, 60
	v_and_b32_e32 v0, 0x700000, v0
	v_and_b32_e32 v1, 0x80000000, v1
	v_lshl_add_u32 v3, v3, 23, v4
	v_or3_b32 v0, v1, v3, v0
.LBB6_228:                              ;   in Loop: Header=BB6_128 Depth=2
	s_or_b64 exec, exec, s[88:89]
.LBB6_229:                              ;   in Loop: Header=BB6_128 Depth=2
	s_or_b64 exec, exec, s[78:79]
.LBB6_230:                              ;   in Loop: Header=BB6_128 Depth=2
	s_or_b64 exec, exec, s[20:21]
	v_mul_f32_e32 v1, v17, v0
	v_and_b32_e32 v3, 0x7f800000, v1
	v_mov_b32_e32 v4, v53
	v_cmp_ne_u64_e32 vcc, s[56:57], v[3:4]
                                        ; implicit-def: $vgpr50
	s_and_saveexec_b64 s[20:21], vcc
	s_xor_b64 s[78:79], exec, s[20:21]
	s_cbranch_execz .LBB6_244
; %bb.231:                              ;   in Loop: Header=BB6_128 Depth=2
	v_and_b32_e32 v3, 0x7fffffff, v1
	v_mov_b32_e32 v4, v53
	v_cmp_gt_u64_e32 vcc, s[58:59], v[3:4]
	v_and_b32_sdwa v0, v1, s53 dst_sel:DWORD dst_unused:UNUSED_PAD src0_sel:BYTE_3 src1_sel:DWORD
                                        ; implicit-def: $vgpr50
	s_and_saveexec_b64 s[20:21], vcc
	s_xor_b64 s[88:89], exec, s[20:21]
	s_cbranch_execz .LBB6_241
; %bb.232:                              ;   in Loop: Header=BB6_128 Depth=2
	v_mov_b32_e32 v50, 0
	v_cmp_ne_u32_e32 vcc, 0, v1
	s_and_saveexec_b64 s[90:91], vcc
	s_cbranch_execz .LBB6_240
; %bb.233:                              ;   in Loop: Header=BB6_128 Depth=2
	v_and_b32_e32 v4, 0x7fffff, v1
	v_bfe_u32 v1, v1, 23, 8
	v_cmp_gt_u32_e64 s[20:21], s54, v1
	v_sub_u32_e32 v3, 0x79, v1
	v_cmp_eq_u32_e32 vcc, 0, v1
	v_cndmask_b32_e64 v3, 0, v3, s[20:21]
	v_mov_b32_e32 v6, 0x78
	v_cndmask_b32_e32 v3, v3, v6, vcc
	v_or_b32_e32 v5, 0x800000, v4
	v_add_u32_e32 v6, 20, v3
	v_cndmask_b32_e32 v4, v5, v4, vcc
	v_mov_b32_e32 v5, v53
	v_lshlrev_b64 v[6:7], v6, -1
	v_add_u32_e32 v8, 19, v3
	v_lshlrev_b64 v[8:9], v8, 1
	v_lshrrev_b64 v[14:15], v3, v[4:5]
	v_bfi_b32 v7, v7, 0, 0
	v_bfi_b32 v6, v6, 0, v4
	v_cmp_eq_u64_e64 s[20:21], v[6:7], v[8:9]
	v_mov_b32_e32 v16, v15
	v_mov_b32_e32 v15, v14
	s_and_saveexec_b64 s[92:93], s[20:21]
; %bb.234:                              ;   in Loop: Header=BB6_128 Depth=2
	v_bfe_u32 v4, v14, 20, 1
	v_add_co_u32_e64 v4, s[20:21], v14, v4
	v_add_co_u32_e64 v15, s[20:21], -1, v4
; %bb.235:                              ;   in Loop: Header=BB6_128 Depth=2
	s_or_b64 exec, exec, s[92:93]
	v_add_u32_e32 v1, 0xffffff81, v1
	v_mov_b32_e32 v4, 0xffffff82
	v_cndmask_b32_e32 v1, v1, v4, vcc
	v_lshrrev_b32_e32 v4, 23, v14
	v_add3_u32 v4, v3, v1, v4
	v_add_u32_e32 v3, 6, v4
	v_and_b32_e32 v1, 0xfffff, v15
	v_add_u32_e32 v14, v1, v14
	v_mov_b32_e32 v15, v53
	v_cmp_ne_u32_e32 vcc, 0, v3
                                        ; implicit-def: $vgpr1
	s_and_saveexec_b64 s[20:21], vcc
	s_xor_b64 s[20:21], exec, s[20:21]
; %bb.236:                              ;   in Loop: Header=BB6_128 Depth=2
	v_cmp_lt_u64_e32 vcc, s[60:61], v[14:15]
	v_add_u32_e32 v1, 7, v4
	v_cndmask_b32_e32 v1, v3, v1, vcc
	v_cndmask_b32_e64 v3, 0, 1, vcc
	v_lshrrev_b64 v[14:15], v3, v[14:15]
; %bb.237:                              ;   in Loop: Header=BB6_128 Depth=2
	s_andn2_saveexec_b64 s[20:21], s[20:21]
; %bb.238:                              ;   in Loop: Header=BB6_128 Depth=2
	v_bfe_u32 v1, v14, 23, 1
; %bb.239:                              ;   in Loop: Header=BB6_128 Depth=2
	s_or_b64 exec, exec, s[20:21]
	v_lshrrev_b64 v[3:4], 20, v[14:15]
	v_cmp_gt_i32_e32 vcc, 16, v1
	v_cndmask_b32_e32 v4, 0, v4, vcc
	v_cndmask_b32_e32 v3, 7, v3, vcc
	v_cmp_eq_u32_e32 vcc, 0, v1
	v_min_i32_e32 v1, 15, v1
	v_cmp_eq_u64_e64 s[20:21], 0, v[3:4]
	v_lshlrev_b32_e32 v1, 3, v1
	v_and_b32_e32 v1, 0xf8, v1
	v_and_or_b32 v1, v3, 7, v1
	s_and_b64 s[20:21], vcc, s[20:21]
	v_cndmask_b32_e64 v1, v1, 0, s[20:21]
	v_or_b32_e32 v50, v1, v0
.LBB6_240:                              ;   in Loop: Header=BB6_128 Depth=2
	s_or_b64 exec, exec, s[90:91]
                                        ; implicit-def: $vgpr0
.LBB6_241:                              ;   in Loop: Header=BB6_128 Depth=2
	s_andn2_saveexec_b64 s[20:21], s[88:89]
; %bb.242:                              ;   in Loop: Header=BB6_128 Depth=2
	v_or_b32_e32 v50, 0x7e, v0
; %bb.243:                              ;   in Loop: Header=BB6_128 Depth=2
	s_or_b64 exec, exec, s[20:21]
                                        ; implicit-def: $vgpr1
.LBB6_244:                              ;   in Loop: Header=BB6_128 Depth=2
	s_andn2_saveexec_b64 s[20:21], s[78:79]
; %bb.245:                              ;   in Loop: Header=BB6_128 Depth=2
	v_or_b32_sdwa v50, v1, s51 dst_sel:DWORD dst_unused:UNUSED_PAD src0_sel:BYTE_3 src1_sel:DWORD
; %bb.246:                              ;   in Loop: Header=BB6_128 Depth=2
	s_or_b64 exec, exec, s[20:21]
	v_lshrrev_b16_e32 v14, 8, v52
	v_cmp_ne_u16_e32 vcc, 0, v14
	v_mov_b32_e32 v0, 0
	s_and_saveexec_b64 s[20:21], vcc
	s_cbranch_execz .LBB6_252
; %bb.247:                              ;   in Loop: Header=BB6_128 Depth=2
	v_cmp_ne_u16_e32 vcc, s53, v14
	v_bfrev_b32_e32 v0, 1
	s_and_saveexec_b64 s[78:79], vcc
	s_cbranch_execz .LBB6_251
; %bb.248:                              ;   in Loop: Header=BB6_128 Depth=2
	v_and_b32_e32 v1, 0x7f, v14
	v_cmp_ne_u32_e32 vcc, s51, v1
	v_mov_b32_e32 v0, 0x7f800001
	s_and_saveexec_b64 s[88:89], vcc
	s_cbranch_execz .LBB6_250
; %bb.249:                              ;   in Loop: Header=BB6_128 Depth=2
	v_and_b32_e32 v3, 7, v14
	v_ffbh_u32_e32 v0, v3
	v_min_u32_e32 v5, 32, v0
	v_subrev_u32_e32 v0, 28, v5
	v_lshrrev_b32_e32 v4, 3, v1
	v_cmp_gt_u32_e32 vcc, 8, v1
	v_lshlrev_b64 v[0:1], v0, v[14:15]
	v_sub_u32_e32 v1, 29, v5
	v_and_b32_e32 v0, 7, v0
	v_cndmask_b32_e32 v1, v4, v1, vcc
	v_cndmask_b32_e32 v0, v3, v0, vcc
	v_lshlrev_b32_e32 v3, 16, v52
	v_bfrev_b32_e32 v4, 60
	v_lshlrev_b32_e32 v0, 20, v0
	v_and_b32_e32 v3, 0x80000000, v3
	v_lshl_add_u32 v1, v1, 23, v4
	v_or3_b32 v0, v3, v1, v0
.LBB6_250:                              ;   in Loop: Header=BB6_128 Depth=2
	s_or_b64 exec, exec, s[88:89]
.LBB6_251:                              ;   in Loop: Header=BB6_128 Depth=2
	s_or_b64 exec, exec, s[78:79]
.LBB6_252:                              ;   in Loop: Header=BB6_128 Depth=2
	s_or_b64 exec, exec, s[20:21]
	v_mul_f32_e32 v1, v17, v0
	v_and_b32_e32 v52, 0x7f800000, v1
	v_cmp_ne_u64_e32 vcc, s[56:57], v[52:53]
                                        ; implicit-def: $vgpr40
	s_and_saveexec_b64 s[20:21], vcc
	s_xor_b64 s[78:79], exec, s[20:21]
	s_cbranch_execz .LBB6_266
; %bb.253:                              ;   in Loop: Header=BB6_128 Depth=2
	v_and_b32_e32 v52, 0x7fffffff, v1
	v_cmp_gt_u64_e32 vcc, s[58:59], v[52:53]
	v_and_b32_sdwa v0, v1, s53 dst_sel:DWORD dst_unused:UNUSED_PAD src0_sel:BYTE_3 src1_sel:DWORD
                                        ; implicit-def: $vgpr40
	s_and_saveexec_b64 s[20:21], vcc
	s_xor_b64 s[88:89], exec, s[20:21]
	s_cbranch_execz .LBB6_263
; %bb.254:                              ;   in Loop: Header=BB6_128 Depth=2
	v_mov_b32_e32 v40, 0
	v_cmp_ne_u32_e32 vcc, 0, v1
	s_and_saveexec_b64 s[90:91], vcc
	s_cbranch_execz .LBB6_262
; %bb.255:                              ;   in Loop: Header=BB6_128 Depth=2
	v_and_b32_e32 v4, 0x7fffff, v1
	v_bfe_u32 v1, v1, 23, 8
	v_cmp_gt_u32_e64 s[20:21], s54, v1
	v_sub_u32_e32 v3, 0x79, v1
	v_cmp_eq_u32_e32 vcc, 0, v1
	v_cndmask_b32_e64 v3, 0, v3, s[20:21]
	v_mov_b32_e32 v6, 0x78
	v_or_b32_e32 v5, 0x800000, v4
	v_cndmask_b32_e32 v3, v3, v6, vcc
	v_cndmask_b32_e32 v52, v5, v4, vcc
	v_add_u32_e32 v4, 20, v3
	v_lshlrev_b64 v[4:5], v4, -1
	v_add_u32_e32 v6, 19, v3
	v_lshlrev_b64 v[6:7], v6, 1
	v_lshrrev_b64 v[14:15], v3, v[52:53]
	v_bfi_b32 v5, v5, 0, 0
	v_bfi_b32 v4, v4, 0, v52
	v_cmp_eq_u64_e64 s[20:21], v[4:5], v[6:7]
	v_mov_b32_e32 v16, v15
	v_mov_b32_e32 v15, v14
	s_and_saveexec_b64 s[92:93], s[20:21]
; %bb.256:                              ;   in Loop: Header=BB6_128 Depth=2
	v_bfe_u32 v4, v14, 20, 1
	v_add_co_u32_e64 v4, s[20:21], v14, v4
	v_add_co_u32_e64 v15, s[20:21], -1, v4
; %bb.257:                              ;   in Loop: Header=BB6_128 Depth=2
	s_or_b64 exec, exec, s[92:93]
	v_add_u32_e32 v1, 0xffffff81, v1
	v_mov_b32_e32 v4, 0xffffff82
	v_cndmask_b32_e32 v1, v1, v4, vcc
	v_lshrrev_b32_e32 v4, 23, v14
	v_add3_u32 v4, v3, v1, v4
	v_add_u32_e32 v3, 6, v4
	v_and_b32_e32 v1, 0xfffff, v15
	v_add_u32_e32 v52, v1, v14
	v_cmp_ne_u32_e32 vcc, 0, v3
                                        ; implicit-def: $vgpr14_vgpr15
                                        ; implicit-def: $vgpr1
	s_and_saveexec_b64 s[20:21], vcc
	s_xor_b64 s[20:21], exec, s[20:21]
; %bb.258:                              ;   in Loop: Header=BB6_128 Depth=2
	v_cmp_lt_u64_e32 vcc, s[60:61], v[52:53]
	v_add_u32_e32 v1, 7, v4
	v_cndmask_b32_e32 v1, v3, v1, vcc
	v_cndmask_b32_e64 v3, 0, 1, vcc
	v_lshrrev_b64 v[14:15], v3, v[52:53]
; %bb.259:                              ;   in Loop: Header=BB6_128 Depth=2
	s_andn2_saveexec_b64 s[20:21], s[20:21]
; %bb.260:                              ;   in Loop: Header=BB6_128 Depth=2
	v_mov_b32_e32 v14, v52
	v_bfe_u32 v1, v52, 23, 1
	v_mov_b32_e32 v15, v53
; %bb.261:                              ;   in Loop: Header=BB6_128 Depth=2
	s_or_b64 exec, exec, s[20:21]
	v_lshrrev_b64 v[3:4], 20, v[14:15]
	v_cmp_gt_i32_e32 vcc, 16, v1
	v_cndmask_b32_e32 v4, 0, v4, vcc
	v_cndmask_b32_e32 v3, 7, v3, vcc
	v_cmp_eq_u32_e32 vcc, 0, v1
	v_min_i32_e32 v1, 15, v1
	v_cmp_eq_u64_e64 s[20:21], 0, v[3:4]
	v_lshlrev_b32_e32 v1, 3, v1
	v_and_b32_e32 v1, 0xf8, v1
	v_and_or_b32 v1, v3, 7, v1
	s_and_b64 s[20:21], vcc, s[20:21]
	v_cndmask_b32_e64 v1, v1, 0, s[20:21]
	v_or_b32_e32 v40, v1, v0
.LBB6_262:                              ;   in Loop: Header=BB6_128 Depth=2
	s_or_b64 exec, exec, s[90:91]
                                        ; implicit-def: $vgpr0
.LBB6_263:                              ;   in Loop: Header=BB6_128 Depth=2
	s_andn2_saveexec_b64 s[20:21], s[88:89]
; %bb.264:                              ;   in Loop: Header=BB6_128 Depth=2
	v_or_b32_e32 v40, 0x7e, v0
; %bb.265:                              ;   in Loop: Header=BB6_128 Depth=2
	s_or_b64 exec, exec, s[20:21]
                                        ; implicit-def: $vgpr1
.LBB6_266:                              ;   in Loop: Header=BB6_128 Depth=2
	s_andn2_saveexec_b64 s[20:21], s[78:79]
; %bb.267:                              ;   in Loop: Header=BB6_128 Depth=2
	v_or_b32_sdwa v40, v1, s51 dst_sel:DWORD dst_unused:UNUSED_PAD src0_sel:BYTE_3 src1_sel:DWORD
; %bb.268:                              ;   in Loop: Header=BB6_128 Depth=2
	s_or_b64 exec, exec, s[20:21]
	v_lshrrev_b32_e32 v14, 16, v11
	v_cmp_ne_u16_sdwa s[78:79], v14, v53 src0_sel:BYTE_0 src1_sel:DWORD
	v_mov_b32_e32 v0, 0
	s_and_saveexec_b64 s[20:21], s[78:79]
	s_cbranch_execz .LBB6_274
; %bb.269:                              ;   in Loop: Header=BB6_128 Depth=2
	v_cmp_ne_u16_sdwa s[88:89], v14, s53 src0_sel:BYTE_0 src1_sel:DWORD
	v_bfrev_b32_e32 v0, 1
	s_and_saveexec_b64 s[78:79], s[88:89]
	s_cbranch_execz .LBB6_273
; %bb.270:                              ;   in Loop: Header=BB6_128 Depth=2
	v_bfe_u32 v1, v11, 16, 7
	v_cmp_ne_u32_e32 vcc, s51, v1
	v_mov_b32_e32 v0, 0x7f800001
	s_and_saveexec_b64 s[88:89], vcc
	s_cbranch_execz .LBB6_272
; %bb.271:                              ;   in Loop: Header=BB6_128 Depth=2
	v_and_b32_e32 v3, 7, v14
	v_ffbh_u32_e32 v0, v3
	v_min_u32_e32 v5, 32, v0
	v_subrev_u32_e32 v0, 28, v5
	v_lshrrev_b32_e32 v4, 3, v1
	v_cmp_gt_u32_e32 vcc, 8, v1
	v_lshlrev_b64 v[0:1], v0, v[14:15]
	v_sub_u32_e32 v1, 29, v5
	v_and_b32_e32 v0, 7, v0
	v_cndmask_b32_e32 v1, v4, v1, vcc
	v_cndmask_b32_e32 v0, v3, v0, vcc
	v_lshlrev_b32_e32 v3, 24, v14
	v_bfrev_b32_e32 v4, 60
	v_lshlrev_b32_e32 v0, 20, v0
	v_and_b32_e32 v3, 0x80000000, v3
	v_lshl_add_u32 v1, v1, 23, v4
	v_or3_b32 v0, v3, v1, v0
.LBB6_272:                              ;   in Loop: Header=BB6_128 Depth=2
	s_or_b64 exec, exec, s[88:89]
.LBB6_273:                              ;   in Loop: Header=BB6_128 Depth=2
	s_or_b64 exec, exec, s[78:79]
.LBB6_274:                              ;   in Loop: Header=BB6_128 Depth=2
	s_or_b64 exec, exec, s[20:21]
	v_mul_f32_e32 v1, v17, v0
	v_and_b32_e32 v52, 0x7f800000, v1
	v_cmp_ne_u64_e32 vcc, s[56:57], v[52:53]
                                        ; implicit-def: $vgpr32
	s_and_saveexec_b64 s[20:21], vcc
	s_xor_b64 s[78:79], exec, s[20:21]
	s_cbranch_execz .LBB6_288
; %bb.275:                              ;   in Loop: Header=BB6_128 Depth=2
	v_and_b32_e32 v52, 0x7fffffff, v1
	v_cmp_gt_u64_e32 vcc, s[58:59], v[52:53]
	v_and_b32_sdwa v0, v1, s53 dst_sel:DWORD dst_unused:UNUSED_PAD src0_sel:BYTE_3 src1_sel:DWORD
                                        ; implicit-def: $vgpr32
	s_and_saveexec_b64 s[20:21], vcc
	s_xor_b64 s[88:89], exec, s[20:21]
	s_cbranch_execz .LBB6_285
; %bb.276:                              ;   in Loop: Header=BB6_128 Depth=2
	v_mov_b32_e32 v32, 0
	v_cmp_ne_u32_e32 vcc, 0, v1
	s_and_saveexec_b64 s[90:91], vcc
	s_cbranch_execz .LBB6_284
; %bb.277:                              ;   in Loop: Header=BB6_128 Depth=2
	v_and_b32_e32 v4, 0x7fffff, v1
	v_bfe_u32 v1, v1, 23, 8
	v_cmp_gt_u32_e64 s[20:21], s54, v1
	v_sub_u32_e32 v3, 0x79, v1
	v_cmp_eq_u32_e32 vcc, 0, v1
	v_cndmask_b32_e64 v3, 0, v3, s[20:21]
	v_mov_b32_e32 v6, 0x78
	v_or_b32_e32 v5, 0x800000, v4
	v_cndmask_b32_e32 v3, v3, v6, vcc
	v_cndmask_b32_e32 v52, v5, v4, vcc
	v_add_u32_e32 v4, 20, v3
	v_lshlrev_b64 v[4:5], v4, -1
	v_add_u32_e32 v6, 19, v3
	v_lshlrev_b64 v[6:7], v6, 1
	v_lshrrev_b64 v[14:15], v3, v[52:53]
	v_bfi_b32 v5, v5, 0, 0
	v_bfi_b32 v4, v4, 0, v52
	v_cmp_eq_u64_e64 s[20:21], v[4:5], v[6:7]
	v_mov_b32_e32 v16, v15
	v_mov_b32_e32 v15, v14
	s_and_saveexec_b64 s[92:93], s[20:21]
; %bb.278:                              ;   in Loop: Header=BB6_128 Depth=2
	v_bfe_u32 v4, v14, 20, 1
	v_add_co_u32_e64 v4, s[20:21], v14, v4
	v_add_co_u32_e64 v15, s[20:21], -1, v4
; %bb.279:                              ;   in Loop: Header=BB6_128 Depth=2
	s_or_b64 exec, exec, s[92:93]
	v_add_u32_e32 v1, 0xffffff81, v1
	v_mov_b32_e32 v4, 0xffffff82
	v_cndmask_b32_e32 v1, v1, v4, vcc
	v_lshrrev_b32_e32 v4, 23, v14
	v_add3_u32 v4, v3, v1, v4
	v_add_u32_e32 v3, 6, v4
	v_and_b32_e32 v1, 0xfffff, v15
	v_add_u32_e32 v52, v1, v14
	v_cmp_ne_u32_e32 vcc, 0, v3
                                        ; implicit-def: $vgpr14_vgpr15
                                        ; implicit-def: $vgpr1
	s_and_saveexec_b64 s[20:21], vcc
	s_xor_b64 s[20:21], exec, s[20:21]
; %bb.280:                              ;   in Loop: Header=BB6_128 Depth=2
	v_cmp_lt_u64_e32 vcc, s[60:61], v[52:53]
	v_add_u32_e32 v1, 7, v4
	v_cndmask_b32_e32 v1, v3, v1, vcc
	v_cndmask_b32_e64 v3, 0, 1, vcc
	v_lshrrev_b64 v[14:15], v3, v[52:53]
; %bb.281:                              ;   in Loop: Header=BB6_128 Depth=2
	s_andn2_saveexec_b64 s[20:21], s[20:21]
; %bb.282:                              ;   in Loop: Header=BB6_128 Depth=2
	v_mov_b32_e32 v14, v52
	v_bfe_u32 v1, v52, 23, 1
	v_mov_b32_e32 v15, v53
; %bb.283:                              ;   in Loop: Header=BB6_128 Depth=2
	s_or_b64 exec, exec, s[20:21]
	v_lshrrev_b64 v[3:4], 20, v[14:15]
	v_cmp_gt_i32_e32 vcc, 16, v1
	v_cndmask_b32_e32 v4, 0, v4, vcc
	v_cndmask_b32_e32 v3, 7, v3, vcc
	v_cmp_eq_u32_e32 vcc, 0, v1
	v_min_i32_e32 v1, 15, v1
	v_cmp_eq_u64_e64 s[20:21], 0, v[3:4]
	v_lshlrev_b32_e32 v1, 3, v1
	v_and_b32_e32 v1, 0xf8, v1
	v_and_or_b32 v1, v3, 7, v1
	s_and_b64 s[20:21], vcc, s[20:21]
	v_cndmask_b32_e64 v1, v1, 0, s[20:21]
	v_or_b32_e32 v32, v1, v0
.LBB6_284:                              ;   in Loop: Header=BB6_128 Depth=2
	s_or_b64 exec, exec, s[90:91]
                                        ; implicit-def: $vgpr0
.LBB6_285:                              ;   in Loop: Header=BB6_128 Depth=2
	s_andn2_saveexec_b64 s[20:21], s[88:89]
; %bb.286:                              ;   in Loop: Header=BB6_128 Depth=2
	v_or_b32_e32 v32, 0x7e, v0
; %bb.287:                              ;   in Loop: Header=BB6_128 Depth=2
	s_or_b64 exec, exec, s[20:21]
                                        ; implicit-def: $vgpr1
.LBB6_288:                              ;   in Loop: Header=BB6_128 Depth=2
	s_andn2_saveexec_b64 s[20:21], s[78:79]
; %bb.289:                              ;   in Loop: Header=BB6_128 Depth=2
	v_or_b32_sdwa v32, v1, s51 dst_sel:DWORD dst_unused:UNUSED_PAD src0_sel:BYTE_3 src1_sel:DWORD
; %bb.290:                              ;   in Loop: Header=BB6_128 Depth=2
	s_or_b64 exec, exec, s[20:21]
	v_cmp_lt_u64_e32 vcc, s[62:63], v[10:11]
	v_mov_b32_e32 v0, 0
	s_and_saveexec_b64 s[20:21], vcc
	s_cbranch_execz .LBB6_296
; %bb.291:                              ;   in Loop: Header=BB6_128 Depth=2
	v_lshrrev_b32_e32 v10, 24, v11
	v_cmp_ne_u32_e32 vcc, s53, v10
	v_bfrev_b32_e32 v0, 1
	s_and_saveexec_b64 s[78:79], vcc
	s_cbranch_execz .LBB6_295
; %bb.292:                              ;   in Loop: Header=BB6_128 Depth=2
	v_bfe_u32 v1, v11, 24, 7
	v_cmp_ne_u32_e32 vcc, s51, v1
	v_mov_b32_e32 v0, 0x7f800001
	s_and_saveexec_b64 s[88:89], vcc
	s_cbranch_execz .LBB6_294
; %bb.293:                              ;   in Loop: Header=BB6_128 Depth=2
	v_and_b32_e32 v3, 7, v10
	v_ffbh_u32_e32 v0, v3
	v_min_u32_e32 v5, 32, v0
	v_subrev_u32_e32 v0, 28, v5
	v_lshrrev_b32_e32 v4, 3, v1
	v_cmp_gt_u32_e32 vcc, 8, v1
	v_lshlrev_b64 v[0:1], v0, v[10:11]
	v_sub_u32_e32 v1, 29, v5
	v_and_b32_e32 v0, 7, v0
	v_cndmask_b32_e32 v1, v4, v1, vcc
	v_cndmask_b32_e32 v0, v3, v0, vcc
	v_lshlrev_b32_e32 v3, 24, v10
	v_bfrev_b32_e32 v4, 60
	v_lshlrev_b32_e32 v0, 20, v0
	v_and_b32_e32 v3, 0x80000000, v3
	v_lshl_add_u32 v1, v1, 23, v4
	v_or3_b32 v0, v3, v1, v0
.LBB6_294:                              ;   in Loop: Header=BB6_128 Depth=2
	s_or_b64 exec, exec, s[88:89]
.LBB6_295:                              ;   in Loop: Header=BB6_128 Depth=2
	s_or_b64 exec, exec, s[78:79]
.LBB6_296:                              ;   in Loop: Header=BB6_128 Depth=2
	s_or_b64 exec, exec, s[20:21]
	v_mul_f32_e32 v1, v17, v0
	v_and_b32_e32 v52, 0x7f800000, v1
	v_cmp_ne_u64_e32 vcc, s[56:57], v[52:53]
                                        ; implicit-def: $vgpr37
	s_and_saveexec_b64 s[20:21], vcc
	s_xor_b64 s[78:79], exec, s[20:21]
	s_cbranch_execz .LBB6_310
; %bb.297:                              ;   in Loop: Header=BB6_128 Depth=2
	v_and_b32_e32 v52, 0x7fffffff, v1
	v_cmp_gt_u64_e32 vcc, s[58:59], v[52:53]
	v_and_b32_sdwa v0, v1, s53 dst_sel:DWORD dst_unused:UNUSED_PAD src0_sel:BYTE_3 src1_sel:DWORD
                                        ; implicit-def: $vgpr37
	s_and_saveexec_b64 s[20:21], vcc
	s_xor_b64 s[88:89], exec, s[20:21]
	s_cbranch_execz .LBB6_307
; %bb.298:                              ;   in Loop: Header=BB6_128 Depth=2
	v_mov_b32_e32 v37, 0
	v_cmp_ne_u32_e32 vcc, 0, v1
	s_and_saveexec_b64 s[90:91], vcc
	s_cbranch_execz .LBB6_306
; %bb.299:                              ;   in Loop: Header=BB6_128 Depth=2
	v_and_b32_e32 v4, 0x7fffff, v1
	v_bfe_u32 v1, v1, 23, 8
	v_cmp_gt_u32_e64 s[20:21], s54, v1
	v_sub_u32_e32 v3, 0x79, v1
	v_cmp_eq_u32_e32 vcc, 0, v1
	v_cndmask_b32_e64 v3, 0, v3, s[20:21]
	v_mov_b32_e32 v6, 0x78
	v_or_b32_e32 v5, 0x800000, v4
	v_cndmask_b32_e32 v3, v3, v6, vcc
	v_cndmask_b32_e32 v52, v5, v4, vcc
	v_add_u32_e32 v4, 20, v3
	v_lshlrev_b64 v[4:5], v4, -1
	v_add_u32_e32 v6, 19, v3
	v_lshlrev_b64 v[6:7], v6, 1
	v_lshrrev_b64 v[10:11], v3, v[52:53]
	v_bfi_b32 v5, v5, 0, 0
	v_bfi_b32 v4, v4, 0, v52
	v_cmp_eq_u64_e64 s[20:21], v[4:5], v[6:7]
	v_mov_b32_e32 v15, v11
	v_mov_b32_e32 v14, v10
	s_and_saveexec_b64 s[92:93], s[20:21]
; %bb.300:                              ;   in Loop: Header=BB6_128 Depth=2
	v_bfe_u32 v4, v10, 20, 1
	v_add_co_u32_e64 v4, s[20:21], v10, v4
	v_add_co_u32_e64 v14, s[20:21], -1, v4
; %bb.301:                              ;   in Loop: Header=BB6_128 Depth=2
	s_or_b64 exec, exec, s[92:93]
	v_add_u32_e32 v1, 0xffffff81, v1
	v_mov_b32_e32 v4, 0xffffff82
	v_cndmask_b32_e32 v1, v1, v4, vcc
	v_lshrrev_b32_e32 v4, 23, v10
	v_add3_u32 v4, v3, v1, v4
	v_add_u32_e32 v3, 6, v4
	v_and_b32_e32 v1, 0xfffff, v14
	v_add_u32_e32 v52, v1, v10
	v_cmp_ne_u32_e32 vcc, 0, v3
                                        ; implicit-def: $vgpr10_vgpr11
                                        ; implicit-def: $vgpr1
	s_and_saveexec_b64 s[20:21], vcc
	s_xor_b64 s[20:21], exec, s[20:21]
; %bb.302:                              ;   in Loop: Header=BB6_128 Depth=2
	v_cmp_lt_u64_e32 vcc, s[60:61], v[52:53]
	v_add_u32_e32 v1, 7, v4
	v_cndmask_b32_e32 v1, v3, v1, vcc
	v_cndmask_b32_e64 v3, 0, 1, vcc
	v_lshrrev_b64 v[10:11], v3, v[52:53]
; %bb.303:                              ;   in Loop: Header=BB6_128 Depth=2
	s_andn2_saveexec_b64 s[20:21], s[20:21]
; %bb.304:                              ;   in Loop: Header=BB6_128 Depth=2
	v_mov_b32_e32 v10, v52
	v_bfe_u32 v1, v52, 23, 1
	v_mov_b32_e32 v11, v53
; %bb.305:                              ;   in Loop: Header=BB6_128 Depth=2
	s_or_b64 exec, exec, s[20:21]
	v_lshrrev_b64 v[3:4], 20, v[10:11]
	v_cmp_gt_i32_e32 vcc, 16, v1
	v_cndmask_b32_e32 v4, 0, v4, vcc
	v_cndmask_b32_e32 v3, 7, v3, vcc
	v_cmp_eq_u32_e32 vcc, 0, v1
	v_min_i32_e32 v1, 15, v1
	v_cmp_eq_u64_e64 s[20:21], 0, v[3:4]
	v_lshlrev_b32_e32 v1, 3, v1
	v_and_b32_e32 v1, 0xf8, v1
	v_and_or_b32 v1, v3, 7, v1
	s_and_b64 s[20:21], vcc, s[20:21]
	v_cndmask_b32_e64 v1, v1, 0, s[20:21]
	v_or_b32_e32 v37, v1, v0
.LBB6_306:                              ;   in Loop: Header=BB6_128 Depth=2
	s_or_b64 exec, exec, s[90:91]
                                        ; implicit-def: $vgpr0
.LBB6_307:                              ;   in Loop: Header=BB6_128 Depth=2
	s_andn2_saveexec_b64 s[20:21], s[88:89]
; %bb.308:                              ;   in Loop: Header=BB6_128 Depth=2
	v_or_b32_e32 v37, 0x7e, v0
; %bb.309:                              ;   in Loop: Header=BB6_128 Depth=2
	s_or_b64 exec, exec, s[20:21]
                                        ; implicit-def: $vgpr1
.LBB6_310:                              ;   in Loop: Header=BB6_128 Depth=2
	s_andn2_saveexec_b64 s[20:21], s[78:79]
; %bb.311:                              ;   in Loop: Header=BB6_128 Depth=2
	v_or_b32_sdwa v37, v1, s51 dst_sel:DWORD dst_unused:UNUSED_PAD src0_sel:BYTE_3 src1_sel:DWORD
; %bb.312:                              ;   in Loop: Header=BB6_128 Depth=2
	s_or_b64 exec, exec, s[20:21]
	v_cmp_ne_u16_sdwa s[78:79], v12, v53 src0_sel:BYTE_0 src1_sel:DWORD
	v_mov_b32_e32 v0, 0
	s_and_saveexec_b64 s[20:21], s[78:79]
	s_cbranch_execz .LBB6_318
; %bb.313:                              ;   in Loop: Header=BB6_128 Depth=2
	v_cmp_ne_u16_sdwa s[88:89], v12, s53 src0_sel:BYTE_0 src1_sel:DWORD
	v_bfrev_b32_e32 v0, 1
	s_and_saveexec_b64 s[78:79], s[88:89]
	s_cbranch_execz .LBB6_317
; %bb.314:                              ;   in Loop: Header=BB6_128 Depth=2
	v_and_b32_e32 v1, 0x7f, v12
	v_cmp_ne_u32_e32 vcc, s51, v1
	v_mov_b32_e32 v0, 0x7f800001
	s_and_saveexec_b64 s[88:89], vcc
	s_cbranch_execz .LBB6_316
; %bb.315:                              ;   in Loop: Header=BB6_128 Depth=2
	v_and_b32_e32 v0, 7, v12
	v_ffbh_u32_e32 v0, v0
	v_min_u32_e32 v0, 32, v0
	v_lshrrev_b32_e32 v3, 3, v1
	v_cmp_gt_u32_e32 vcc, 8, v1
	v_subrev_u32_e32 v1, 28, v0
	v_sub_u32_e32 v0, 29, v0
	v_cndmask_b32_e32 v3, v3, v0, vcc
	v_cndmask_b32_e32 v0, 0, v1, vcc
	v_lshlrev_b64 v[0:1], v0, v[12:13]
	v_lshlrev_b32_e32 v1, 24, v12
	v_lshlrev_b32_e32 v0, 20, v0
	v_bfrev_b32_e32 v4, 60
	v_and_b32_e32 v0, 0x700000, v0
	v_and_b32_e32 v1, 0x80000000, v1
	v_lshl_add_u32 v3, v3, 23, v4
	v_or3_b32 v0, v1, v3, v0
.LBB6_316:                              ;   in Loop: Header=BB6_128 Depth=2
	s_or_b64 exec, exec, s[88:89]
.LBB6_317:                              ;   in Loop: Header=BB6_128 Depth=2
	s_or_b64 exec, exec, s[78:79]
.LBB6_318:                              ;   in Loop: Header=BB6_128 Depth=2
	s_or_b64 exec, exec, s[20:21]
	v_mul_f32_e32 v1, v17, v0
	v_and_b32_e32 v52, 0x7f800000, v1
	v_cmp_ne_u64_e32 vcc, s[56:57], v[52:53]
                                        ; implicit-def: $vgpr3
	s_and_saveexec_b64 s[20:21], vcc
	s_xor_b64 s[78:79], exec, s[20:21]
	s_cbranch_execz .LBB6_332
; %bb.319:                              ;   in Loop: Header=BB6_128 Depth=2
	v_and_b32_e32 v52, 0x7fffffff, v1
	v_cmp_gt_u64_e32 vcc, s[58:59], v[52:53]
	v_and_b32_sdwa v0, v1, s53 dst_sel:DWORD dst_unused:UNUSED_PAD src0_sel:BYTE_3 src1_sel:DWORD
                                        ; implicit-def: $vgpr3
	s_and_saveexec_b64 s[20:21], vcc
	s_xor_b64 s[88:89], exec, s[20:21]
	s_cbranch_execz .LBB6_329
; %bb.320:                              ;   in Loop: Header=BB6_128 Depth=2
	v_mov_b32_e32 v3, 0
	v_cmp_ne_u32_e32 vcc, 0, v1
	s_and_saveexec_b64 s[90:91], vcc
	s_cbranch_execz .LBB6_328
; %bb.321:                              ;   in Loop: Header=BB6_128 Depth=2
	v_and_b32_e32 v4, 0x7fffff, v1
	v_bfe_u32 v1, v1, 23, 8
	v_cmp_gt_u32_e64 s[20:21], s54, v1
	v_sub_u32_e32 v3, 0x79, v1
	v_cmp_eq_u32_e32 vcc, 0, v1
	v_cndmask_b32_e64 v3, 0, v3, s[20:21]
	v_mov_b32_e32 v6, 0x78
	v_or_b32_e32 v5, 0x800000, v4
	v_cndmask_b32_e32 v3, v3, v6, vcc
	v_cndmask_b32_e32 v52, v5, v4, vcc
	v_add_u32_e32 v4, 20, v3
	v_lshlrev_b64 v[4:5], v4, -1
	v_add_u32_e32 v6, 19, v3
	v_lshlrev_b64 v[6:7], v6, 1
	v_lshrrev_b64 v[10:11], v3, v[52:53]
	v_bfi_b32 v5, v5, 0, 0
	v_bfi_b32 v4, v4, 0, v52
	v_cmp_eq_u64_e64 s[20:21], v[4:5], v[6:7]
	v_mov_b32_e32 v15, v11
	v_mov_b32_e32 v14, v10
	s_and_saveexec_b64 s[92:93], s[20:21]
; %bb.322:                              ;   in Loop: Header=BB6_128 Depth=2
	v_bfe_u32 v4, v10, 20, 1
	v_add_co_u32_e64 v4, s[20:21], v10, v4
	v_add_co_u32_e64 v14, s[20:21], -1, v4
; %bb.323:                              ;   in Loop: Header=BB6_128 Depth=2
	s_or_b64 exec, exec, s[92:93]
	v_add_u32_e32 v1, 0xffffff81, v1
	v_mov_b32_e32 v4, 0xffffff82
	v_cndmask_b32_e32 v1, v1, v4, vcc
	v_lshrrev_b32_e32 v4, 23, v10
	v_add3_u32 v4, v3, v1, v4
	v_add_u32_e32 v3, 6, v4
	v_and_b32_e32 v1, 0xfffff, v14
	v_add_u32_e32 v52, v1, v10
	v_cmp_ne_u32_e32 vcc, 0, v3
                                        ; implicit-def: $vgpr10_vgpr11
                                        ; implicit-def: $vgpr1
	s_and_saveexec_b64 s[20:21], vcc
	s_xor_b64 s[20:21], exec, s[20:21]
; %bb.324:                              ;   in Loop: Header=BB6_128 Depth=2
	v_cmp_lt_u64_e32 vcc, s[60:61], v[52:53]
	v_add_u32_e32 v1, 7, v4
	v_cndmask_b32_e32 v1, v3, v1, vcc
	v_cndmask_b32_e64 v3, 0, 1, vcc
	v_lshrrev_b64 v[10:11], v3, v[52:53]
; %bb.325:                              ;   in Loop: Header=BB6_128 Depth=2
	s_andn2_saveexec_b64 s[20:21], s[20:21]
; %bb.326:                              ;   in Loop: Header=BB6_128 Depth=2
	v_mov_b32_e32 v10, v52
	v_bfe_u32 v1, v52, 23, 1
	v_mov_b32_e32 v11, v53
; %bb.327:                              ;   in Loop: Header=BB6_128 Depth=2
	s_or_b64 exec, exec, s[20:21]
	v_lshrrev_b64 v[3:4], 20, v[10:11]
	v_cmp_gt_i32_e32 vcc, 16, v1
	v_cndmask_b32_e32 v4, 0, v4, vcc
	v_cndmask_b32_e32 v3, 7, v3, vcc
	v_cmp_eq_u32_e32 vcc, 0, v1
	v_min_i32_e32 v1, 15, v1
	v_cmp_eq_u64_e64 s[20:21], 0, v[3:4]
	v_lshlrev_b32_e32 v1, 3, v1
	v_and_b32_e32 v1, 0xf8, v1
	v_and_or_b32 v1, v3, 7, v1
	s_and_b64 s[20:21], vcc, s[20:21]
	v_cndmask_b32_e64 v1, v1, 0, s[20:21]
	v_or_b32_e32 v3, v1, v0
.LBB6_328:                              ;   in Loop: Header=BB6_128 Depth=2
	s_or_b64 exec, exec, s[90:91]
                                        ; implicit-def: $vgpr0
.LBB6_329:                              ;   in Loop: Header=BB6_128 Depth=2
	s_andn2_saveexec_b64 s[20:21], s[88:89]
; %bb.330:                              ;   in Loop: Header=BB6_128 Depth=2
	v_or_b32_e32 v3, 0x7e, v0
; %bb.331:                              ;   in Loop: Header=BB6_128 Depth=2
	s_or_b64 exec, exec, s[20:21]
                                        ; implicit-def: $vgpr1
.LBB6_332:                              ;   in Loop: Header=BB6_128 Depth=2
	s_andn2_saveexec_b64 s[20:21], s[78:79]
; %bb.333:                              ;   in Loop: Header=BB6_128 Depth=2
	v_or_b32_sdwa v3, v1, s51 dst_sel:DWORD dst_unused:UNUSED_PAD src0_sel:BYTE_3 src1_sel:DWORD
; %bb.334:                              ;   in Loop: Header=BB6_128 Depth=2
	s_or_b64 exec, exec, s[20:21]
	v_lshrrev_b16_e32 v10, 8, v12
	v_cmp_ne_u16_e32 vcc, 0, v10
	v_mov_b32_e32 v0, 0
	s_and_saveexec_b64 s[20:21], vcc
	s_cbranch_execz .LBB6_340
; %bb.335:                              ;   in Loop: Header=BB6_128 Depth=2
	v_cmp_ne_u16_e32 vcc, s53, v10
	v_bfrev_b32_e32 v0, 1
	s_and_saveexec_b64 s[78:79], vcc
	s_cbranch_execz .LBB6_339
; %bb.336:                              ;   in Loop: Header=BB6_128 Depth=2
	v_and_b32_e32 v1, 0x7f, v10
	v_cmp_ne_u32_e32 vcc, s51, v1
	v_mov_b32_e32 v0, 0x7f800001
	s_and_saveexec_b64 s[88:89], vcc
	s_cbranch_execz .LBB6_338
; %bb.337:                              ;   in Loop: Header=BB6_128 Depth=2
	v_and_b32_e32 v4, 7, v10
	v_ffbh_u32_e32 v0, v4
	v_min_u32_e32 v6, 32, v0
	v_subrev_u32_e32 v0, 28, v6
	v_lshrrev_b32_e32 v5, 3, v1
	v_cmp_gt_u32_e32 vcc, 8, v1
	v_lshlrev_b64 v[0:1], v0, v[10:11]
	v_sub_u32_e32 v1, 29, v6
	v_and_b32_e32 v0, 7, v0
	v_cndmask_b32_e32 v1, v5, v1, vcc
	v_cndmask_b32_e32 v0, v4, v0, vcc
	v_lshlrev_b32_e32 v4, 16, v12
	v_bfrev_b32_e32 v5, 60
	v_lshlrev_b32_e32 v0, 20, v0
	v_and_b32_e32 v4, 0x80000000, v4
	v_lshl_add_u32 v1, v1, 23, v5
	v_or3_b32 v0, v4, v1, v0
.LBB6_338:                              ;   in Loop: Header=BB6_128 Depth=2
	s_or_b64 exec, exec, s[88:89]
.LBB6_339:                              ;   in Loop: Header=BB6_128 Depth=2
	s_or_b64 exec, exec, s[78:79]
.LBB6_340:                              ;   in Loop: Header=BB6_128 Depth=2
	s_or_b64 exec, exec, s[20:21]
	v_mul_f32_e32 v1, v17, v0
	v_and_b32_e32 v52, 0x7f800000, v1
	v_cmp_ne_u64_e32 vcc, s[56:57], v[52:53]
                                        ; implicit-def: $vgpr0
                                        ; kill: killed $vgpr0
	s_and_saveexec_b64 s[20:21], vcc
	s_xor_b64 s[78:79], exec, s[20:21]
	s_cbranch_execz .LBB6_354
; %bb.341:                              ;   in Loop: Header=BB6_128 Depth=2
	v_and_b32_e32 v52, 0x7fffffff, v1
	v_cmp_gt_u64_e32 vcc, s[58:59], v[52:53]
	v_and_b32_sdwa v0, v1, s53 dst_sel:DWORD dst_unused:UNUSED_PAD src0_sel:BYTE_3 src1_sel:DWORD
                                        ; implicit-def: $vgpr4
                                        ; kill: killed $vgpr4
	s_and_saveexec_b64 s[20:21], vcc
	s_xor_b64 s[88:89], exec, s[20:21]
	s_cbranch_execz .LBB6_351
; %bb.342:                              ;   in Loop: Header=BB6_128 Depth=2
	v_mov_b32_e32 v4, 0
	v_cmp_ne_u32_e32 vcc, 0, v1
	buffer_store_dword v4, off, s[0:3], s33 offset:244 ; 4-byte Folded Spill
	s_and_saveexec_b64 s[90:91], vcc
	s_cbranch_execz .LBB6_350
; %bb.343:                              ;   in Loop: Header=BB6_128 Depth=2
	v_and_b32_e32 v5, 0x7fffff, v1
	v_bfe_u32 v1, v1, 23, 8
	v_cmp_gt_u32_e64 s[20:21], s54, v1
	v_sub_u32_e32 v4, 0x79, v1
	v_cmp_eq_u32_e32 vcc, 0, v1
	v_cndmask_b32_e64 v4, 0, v4, s[20:21]
	v_mov_b32_e32 v7, 0x78
	v_or_b32_e32 v6, 0x800000, v5
	v_cndmask_b32_e32 v4, v4, v7, vcc
	v_cndmask_b32_e32 v52, v6, v5, vcc
	v_add_u32_e32 v5, 20, v4
	v_lshlrev_b64 v[5:6], v5, -1
	v_add_u32_e32 v7, 19, v4
	v_lshlrev_b64 v[7:8], v7, 1
	v_lshrrev_b64 v[10:11], v4, v[52:53]
	v_bfi_b32 v6, v6, 0, 0
	v_bfi_b32 v5, v5, 0, v52
	v_cmp_eq_u64_e64 s[20:21], v[5:6], v[7:8]
	v_mov_b32_e32 v15, v11
	v_mov_b32_e32 v14, v10
	s_and_saveexec_b64 s[92:93], s[20:21]
; %bb.344:                              ;   in Loop: Header=BB6_128 Depth=2
	v_bfe_u32 v5, v10, 20, 1
	v_add_co_u32_e64 v5, s[20:21], v10, v5
	v_add_co_u32_e64 v14, s[20:21], -1, v5
; %bb.345:                              ;   in Loop: Header=BB6_128 Depth=2
	s_or_b64 exec, exec, s[92:93]
	v_add_u32_e32 v1, 0xffffff81, v1
	v_mov_b32_e32 v5, 0xffffff82
	v_cndmask_b32_e32 v1, v1, v5, vcc
	v_lshrrev_b32_e32 v5, 23, v10
	v_add3_u32 v5, v4, v1, v5
	v_add_u32_e32 v4, 6, v5
	v_and_b32_e32 v1, 0xfffff, v14
	v_add_u32_e32 v52, v1, v10
	v_cmp_ne_u32_e32 vcc, 0, v4
                                        ; implicit-def: $vgpr10_vgpr11
                                        ; implicit-def: $vgpr1
	s_and_saveexec_b64 s[20:21], vcc
	s_xor_b64 s[20:21], exec, s[20:21]
; %bb.346:                              ;   in Loop: Header=BB6_128 Depth=2
	v_cmp_lt_u64_e32 vcc, s[60:61], v[52:53]
	v_add_u32_e32 v1, 7, v5
	v_cndmask_b32_e32 v1, v4, v1, vcc
	v_cndmask_b32_e64 v4, 0, 1, vcc
	v_lshrrev_b64 v[10:11], v4, v[52:53]
; %bb.347:                              ;   in Loop: Header=BB6_128 Depth=2
	s_andn2_saveexec_b64 s[20:21], s[20:21]
; %bb.348:                              ;   in Loop: Header=BB6_128 Depth=2
	v_mov_b32_e32 v10, v52
	v_bfe_u32 v1, v52, 23, 1
	v_mov_b32_e32 v11, v53
; %bb.349:                              ;   in Loop: Header=BB6_128 Depth=2
	s_or_b64 exec, exec, s[20:21]
	v_lshrrev_b64 v[4:5], 20, v[10:11]
	v_cmp_gt_i32_e32 vcc, 16, v1
	v_cndmask_b32_e32 v5, 0, v5, vcc
	v_cndmask_b32_e32 v4, 7, v4, vcc
	v_cmp_eq_u32_e32 vcc, 0, v1
	v_min_i32_e32 v1, 15, v1
	v_cmp_eq_u64_e64 s[20:21], 0, v[4:5]
	v_lshlrev_b32_e32 v1, 3, v1
	v_and_b32_e32 v1, 0xf8, v1
	v_and_or_b32 v1, v4, 7, v1
	s_and_b64 s[20:21], vcc, s[20:21]
	v_cndmask_b32_e64 v1, v1, 0, s[20:21]
	v_or_b32_e32 v0, v1, v0
	buffer_store_dword v0, off, s[0:3], s33 offset:244 ; 4-byte Folded Spill
.LBB6_350:                              ;   in Loop: Header=BB6_128 Depth=2
	s_or_b64 exec, exec, s[90:91]
                                        ; implicit-def: $vgpr0
.LBB6_351:                              ;   in Loop: Header=BB6_128 Depth=2
	s_andn2_saveexec_b64 s[20:21], s[88:89]
	s_cbranch_execz .LBB6_353
; %bb.352:                              ;   in Loop: Header=BB6_128 Depth=2
	v_or_b32_e32 v0, 0x7e, v0
	buffer_store_dword v0, off, s[0:3], s33 offset:244 ; 4-byte Folded Spill
.LBB6_353:                              ;   in Loop: Header=BB6_128 Depth=2
	s_or_b64 exec, exec, s[20:21]
                                        ; implicit-def: $vgpr1
.LBB6_354:                              ;   in Loop: Header=BB6_128 Depth=2
	s_andn2_saveexec_b64 s[20:21], s[78:79]
	s_cbranch_execz .LBB6_356
; %bb.355:                              ;   in Loop: Header=BB6_128 Depth=2
	v_or_b32_sdwa v0, v1, s51 dst_sel:DWORD dst_unused:UNUSED_PAD src0_sel:BYTE_3 src1_sel:DWORD
	buffer_store_dword v0, off, s[0:3], s33 offset:244 ; 4-byte Folded Spill
.LBB6_356:                              ;   in Loop: Header=BB6_128 Depth=2
	s_or_b64 exec, exec, s[20:21]
	v_lshrrev_b32_e32 v10, 16, v12
	v_cmp_ne_u16_sdwa s[78:79], v10, v53 src0_sel:BYTE_0 src1_sel:DWORD
	v_mov_b32_e32 v0, 0
	s_and_saveexec_b64 s[20:21], s[78:79]
	s_cbranch_execz .LBB6_362
; %bb.357:                              ;   in Loop: Header=BB6_128 Depth=2
	v_cmp_ne_u16_sdwa s[88:89], v10, s53 src0_sel:BYTE_0 src1_sel:DWORD
	v_bfrev_b32_e32 v0, 1
	s_and_saveexec_b64 s[78:79], s[88:89]
	s_cbranch_execz .LBB6_361
; %bb.358:                              ;   in Loop: Header=BB6_128 Depth=2
	v_bfe_u32 v1, v12, 16, 7
	v_cmp_ne_u32_e32 vcc, s51, v1
	v_mov_b32_e32 v0, 0x7f800001
	s_and_saveexec_b64 s[88:89], vcc
	s_cbranch_execz .LBB6_360
; %bb.359:                              ;   in Loop: Header=BB6_128 Depth=2
	v_and_b32_e32 v4, 7, v10
	v_ffbh_u32_e32 v0, v4
	v_min_u32_e32 v6, 32, v0
	v_subrev_u32_e32 v0, 28, v6
	v_lshrrev_b32_e32 v5, 3, v1
	v_cmp_gt_u32_e32 vcc, 8, v1
	v_lshlrev_b64 v[0:1], v0, v[10:11]
	v_sub_u32_e32 v1, 29, v6
	v_and_b32_e32 v0, 7, v0
	v_cndmask_b32_e32 v1, v5, v1, vcc
	v_cndmask_b32_e32 v0, v4, v0, vcc
	v_lshlrev_b32_e32 v4, 24, v10
	v_bfrev_b32_e32 v5, 60
	v_lshlrev_b32_e32 v0, 20, v0
	v_and_b32_e32 v4, 0x80000000, v4
	v_lshl_add_u32 v1, v1, 23, v5
	v_or3_b32 v0, v4, v1, v0
.LBB6_360:                              ;   in Loop: Header=BB6_128 Depth=2
	s_or_b64 exec, exec, s[88:89]
.LBB6_361:                              ;   in Loop: Header=BB6_128 Depth=2
	s_or_b64 exec, exec, s[78:79]
.LBB6_362:                              ;   in Loop: Header=BB6_128 Depth=2
	s_or_b64 exec, exec, s[20:21]
	v_mul_f32_e32 v1, v17, v0
	v_and_b32_e32 v52, 0x7f800000, v1
	v_cmp_ne_u64_e32 vcc, s[56:57], v[52:53]
                                        ; implicit-def: $vgpr7
	s_and_saveexec_b64 s[20:21], vcc
	s_xor_b64 s[78:79], exec, s[20:21]
	s_cbranch_execz .LBB6_376
; %bb.363:                              ;   in Loop: Header=BB6_128 Depth=2
	v_and_b32_e32 v52, 0x7fffffff, v1
	v_cmp_gt_u64_e32 vcc, s[58:59], v[52:53]
	v_and_b32_sdwa v0, v1, s53 dst_sel:DWORD dst_unused:UNUSED_PAD src0_sel:BYTE_3 src1_sel:DWORD
                                        ; implicit-def: $vgpr7
	s_and_saveexec_b64 s[20:21], vcc
	s_xor_b64 s[88:89], exec, s[20:21]
	s_cbranch_execz .LBB6_373
; %bb.364:                              ;   in Loop: Header=BB6_128 Depth=2
	v_mov_b32_e32 v7, 0
	v_cmp_ne_u32_e32 vcc, 0, v1
	s_and_saveexec_b64 s[90:91], vcc
	s_cbranch_execz .LBB6_372
; %bb.365:                              ;   in Loop: Header=BB6_128 Depth=2
	v_and_b32_e32 v5, 0x7fffff, v1
	v_bfe_u32 v1, v1, 23, 8
	v_cmp_gt_u32_e64 s[20:21], s54, v1
	v_sub_u32_e32 v4, 0x79, v1
	v_cmp_eq_u32_e32 vcc, 0, v1
	v_cndmask_b32_e64 v4, 0, v4, s[20:21]
	v_mov_b32_e32 v7, 0x78
	v_or_b32_e32 v6, 0x800000, v5
	v_cndmask_b32_e32 v4, v4, v7, vcc
	v_cndmask_b32_e32 v52, v6, v5, vcc
	v_add_u32_e32 v5, 20, v4
	v_lshlrev_b64 v[5:6], v5, -1
	v_add_u32_e32 v7, 19, v4
	v_lshlrev_b64 v[7:8], v7, 1
	v_lshrrev_b64 v[10:11], v4, v[52:53]
	v_bfi_b32 v6, v6, 0, 0
	v_bfi_b32 v5, v5, 0, v52
	v_cmp_eq_u64_e64 s[20:21], v[5:6], v[7:8]
	v_mov_b32_e32 v15, v11
	v_mov_b32_e32 v14, v10
	s_and_saveexec_b64 s[92:93], s[20:21]
; %bb.366:                              ;   in Loop: Header=BB6_128 Depth=2
	v_bfe_u32 v5, v10, 20, 1
	v_add_co_u32_e64 v5, s[20:21], v10, v5
	v_add_co_u32_e64 v14, s[20:21], -1, v5
; %bb.367:                              ;   in Loop: Header=BB6_128 Depth=2
	s_or_b64 exec, exec, s[92:93]
	v_add_u32_e32 v1, 0xffffff81, v1
	v_mov_b32_e32 v5, 0xffffff82
	v_cndmask_b32_e32 v1, v1, v5, vcc
	v_lshrrev_b32_e32 v5, 23, v10
	v_add3_u32 v5, v4, v1, v5
	v_add_u32_e32 v4, 6, v5
	v_and_b32_e32 v1, 0xfffff, v14
	v_add_u32_e32 v52, v1, v10
	v_cmp_ne_u32_e32 vcc, 0, v4
                                        ; implicit-def: $vgpr10_vgpr11
                                        ; implicit-def: $vgpr1
	s_and_saveexec_b64 s[20:21], vcc
	s_xor_b64 s[20:21], exec, s[20:21]
; %bb.368:                              ;   in Loop: Header=BB6_128 Depth=2
	v_cmp_lt_u64_e32 vcc, s[60:61], v[52:53]
	v_add_u32_e32 v1, 7, v5
	v_cndmask_b32_e32 v1, v4, v1, vcc
	v_cndmask_b32_e64 v4, 0, 1, vcc
	v_lshrrev_b64 v[10:11], v4, v[52:53]
; %bb.369:                              ;   in Loop: Header=BB6_128 Depth=2
	s_andn2_saveexec_b64 s[20:21], s[20:21]
; %bb.370:                              ;   in Loop: Header=BB6_128 Depth=2
	v_mov_b32_e32 v10, v52
	v_bfe_u32 v1, v52, 23, 1
	v_mov_b32_e32 v11, v53
; %bb.371:                              ;   in Loop: Header=BB6_128 Depth=2
	s_or_b64 exec, exec, s[20:21]
	v_lshrrev_b64 v[4:5], 20, v[10:11]
	v_cmp_gt_i32_e32 vcc, 16, v1
	v_cndmask_b32_e32 v5, 0, v5, vcc
	v_cndmask_b32_e32 v4, 7, v4, vcc
	v_cmp_eq_u32_e32 vcc, 0, v1
	v_min_i32_e32 v1, 15, v1
	v_cmp_eq_u64_e64 s[20:21], 0, v[4:5]
	v_lshlrev_b32_e32 v1, 3, v1
	v_and_b32_e32 v1, 0xf8, v1
	v_and_or_b32 v1, v4, 7, v1
	s_and_b64 s[20:21], vcc, s[20:21]
	v_cndmask_b32_e64 v1, v1, 0, s[20:21]
	v_or_b32_e32 v7, v1, v0
.LBB6_372:                              ;   in Loop: Header=BB6_128 Depth=2
	s_or_b64 exec, exec, s[90:91]
                                        ; implicit-def: $vgpr0
.LBB6_373:                              ;   in Loop: Header=BB6_128 Depth=2
	s_andn2_saveexec_b64 s[20:21], s[88:89]
; %bb.374:                              ;   in Loop: Header=BB6_128 Depth=2
	v_or_b32_e32 v7, 0x7e, v0
; %bb.375:                              ;   in Loop: Header=BB6_128 Depth=2
	s_or_b64 exec, exec, s[20:21]
                                        ; implicit-def: $vgpr1
.LBB6_376:                              ;   in Loop: Header=BB6_128 Depth=2
	s_andn2_saveexec_b64 s[20:21], s[78:79]
; %bb.377:                              ;   in Loop: Header=BB6_128 Depth=2
	v_or_b32_sdwa v7, v1, s51 dst_sel:DWORD dst_unused:UNUSED_PAD src0_sel:BYTE_3 src1_sel:DWORD
; %bb.378:                              ;   in Loop: Header=BB6_128 Depth=2
	s_or_b64 exec, exec, s[20:21]
	v_cmp_lt_u32_e32 vcc, s63, v12
	v_mov_b32_e32 v0, 0
	s_and_saveexec_b64 s[20:21], vcc
	s_cbranch_execz .LBB6_384
; %bb.379:                              ;   in Loop: Header=BB6_128 Depth=2
	v_lshrrev_b32_e32 v10, 24, v12
	v_cmp_ne_u32_e32 vcc, s53, v10
	v_bfrev_b32_e32 v0, 1
	s_and_saveexec_b64 s[78:79], vcc
	s_cbranch_execz .LBB6_383
; %bb.380:                              ;   in Loop: Header=BB6_128 Depth=2
	v_bfe_u32 v1, v12, 24, 7
	v_cmp_ne_u32_e32 vcc, s51, v1
	v_mov_b32_e32 v0, 0x7f800001
	s_and_saveexec_b64 s[88:89], vcc
	s_cbranch_execz .LBB6_382
; %bb.381:                              ;   in Loop: Header=BB6_128 Depth=2
	v_and_b32_e32 v4, 7, v10
	v_ffbh_u32_e32 v0, v4
	v_min_u32_e32 v6, 32, v0
	v_subrev_u32_e32 v0, 28, v6
	v_lshrrev_b32_e32 v5, 3, v1
	v_cmp_gt_u32_e32 vcc, 8, v1
	v_lshlrev_b64 v[0:1], v0, v[10:11]
	v_sub_u32_e32 v1, 29, v6
	v_and_b32_e32 v0, 7, v0
	v_cndmask_b32_e32 v1, v5, v1, vcc
	v_cndmask_b32_e32 v0, v4, v0, vcc
	v_lshlrev_b32_e32 v4, 24, v10
	v_bfrev_b32_e32 v5, 60
	v_lshlrev_b32_e32 v0, 20, v0
	v_and_b32_e32 v4, 0x80000000, v4
	v_lshl_add_u32 v1, v1, 23, v5
	v_or3_b32 v0, v4, v1, v0
.LBB6_382:                              ;   in Loop: Header=BB6_128 Depth=2
	s_or_b64 exec, exec, s[88:89]
.LBB6_383:                              ;   in Loop: Header=BB6_128 Depth=2
	s_or_b64 exec, exec, s[78:79]
.LBB6_384:                              ;   in Loop: Header=BB6_128 Depth=2
	s_or_b64 exec, exec, s[20:21]
	v_mul_f32_e32 v1, v17, v0
	v_and_b32_e32 v52, 0x7f800000, v1
	v_cmp_ne_u64_e32 vcc, s[56:57], v[52:53]
                                        ; implicit-def: $vgpr33
	s_and_saveexec_b64 s[20:21], vcc
	s_xor_b64 s[78:79], exec, s[20:21]
	s_cbranch_execz .LBB6_398
; %bb.385:                              ;   in Loop: Header=BB6_128 Depth=2
	v_and_b32_e32 v52, 0x7fffffff, v1
	v_cmp_gt_u64_e32 vcc, s[58:59], v[52:53]
	v_and_b32_sdwa v0, v1, s53 dst_sel:DWORD dst_unused:UNUSED_PAD src0_sel:BYTE_3 src1_sel:DWORD
                                        ; implicit-def: $vgpr33
	s_and_saveexec_b64 s[20:21], vcc
	s_xor_b64 s[88:89], exec, s[20:21]
	s_cbranch_execz .LBB6_395
; %bb.386:                              ;   in Loop: Header=BB6_128 Depth=2
	v_mov_b32_e32 v33, 0
	v_cmp_ne_u32_e32 vcc, 0, v1
	s_and_saveexec_b64 s[90:91], vcc
	s_cbranch_execz .LBB6_394
; %bb.387:                              ;   in Loop: Header=BB6_128 Depth=2
	v_and_b32_e32 v5, 0x7fffff, v1
	v_bfe_u32 v1, v1, 23, 8
	v_cmp_gt_u32_e64 s[20:21], s54, v1
	v_sub_u32_e32 v4, 0x79, v1
	v_cmp_eq_u32_e32 vcc, 0, v1
	v_cndmask_b32_e64 v4, 0, v4, s[20:21]
	v_mov_b32_e32 v8, 0x78
	v_or_b32_e32 v6, 0x800000, v5
	v_cndmask_b32_e32 v4, v4, v8, vcc
	v_cndmask_b32_e32 v52, v6, v5, vcc
	v_add_u32_e32 v5, 20, v4
	v_lshlrev_b64 v[5:6], v5, -1
	v_add_u32_e32 v8, 19, v4
	v_lshlrev_b64 v[8:9], v8, 1
	v_lshrrev_b64 v[10:11], v4, v[52:53]
	v_bfi_b32 v6, v6, 0, 0
	v_bfi_b32 v5, v5, 0, v52
	v_cmp_eq_u64_e64 s[20:21], v[5:6], v[8:9]
	v_mov_b32_e32 v15, v11
	v_mov_b32_e32 v14, v10
	s_and_saveexec_b64 s[92:93], s[20:21]
; %bb.388:                              ;   in Loop: Header=BB6_128 Depth=2
	v_bfe_u32 v5, v10, 20, 1
	v_add_co_u32_e64 v5, s[20:21], v10, v5
	v_add_co_u32_e64 v14, s[20:21], -1, v5
; %bb.389:                              ;   in Loop: Header=BB6_128 Depth=2
	s_or_b64 exec, exec, s[92:93]
	v_add_u32_e32 v1, 0xffffff81, v1
	v_mov_b32_e32 v5, 0xffffff82
	v_cndmask_b32_e32 v1, v1, v5, vcc
	v_lshrrev_b32_e32 v5, 23, v10
	v_add3_u32 v5, v4, v1, v5
	v_add_u32_e32 v4, 6, v5
	v_and_b32_e32 v1, 0xfffff, v14
	v_add_u32_e32 v52, v1, v10
	v_cmp_ne_u32_e32 vcc, 0, v4
                                        ; implicit-def: $vgpr10_vgpr11
                                        ; implicit-def: $vgpr1
	s_and_saveexec_b64 s[20:21], vcc
	s_xor_b64 s[20:21], exec, s[20:21]
; %bb.390:                              ;   in Loop: Header=BB6_128 Depth=2
	v_cmp_lt_u64_e32 vcc, s[60:61], v[52:53]
	v_add_u32_e32 v1, 7, v5
	v_cndmask_b32_e32 v1, v4, v1, vcc
	v_cndmask_b32_e64 v4, 0, 1, vcc
	v_lshrrev_b64 v[10:11], v4, v[52:53]
; %bb.391:                              ;   in Loop: Header=BB6_128 Depth=2
	s_andn2_saveexec_b64 s[20:21], s[20:21]
; %bb.392:                              ;   in Loop: Header=BB6_128 Depth=2
	v_mov_b32_e32 v10, v52
	v_bfe_u32 v1, v52, 23, 1
	v_mov_b32_e32 v11, v53
; %bb.393:                              ;   in Loop: Header=BB6_128 Depth=2
	s_or_b64 exec, exec, s[20:21]
	v_lshrrev_b64 v[4:5], 20, v[10:11]
	v_cmp_gt_i32_e32 vcc, 16, v1
	v_cndmask_b32_e32 v5, 0, v5, vcc
	v_cndmask_b32_e32 v4, 7, v4, vcc
	v_cmp_eq_u32_e32 vcc, 0, v1
	v_min_i32_e32 v1, 15, v1
	v_cmp_eq_u64_e64 s[20:21], 0, v[4:5]
	v_lshlrev_b32_e32 v1, 3, v1
	v_and_b32_e32 v1, 0xf8, v1
	v_and_or_b32 v1, v4, 7, v1
	s_and_b64 s[20:21], vcc, s[20:21]
	v_cndmask_b32_e64 v1, v1, 0, s[20:21]
	v_or_b32_e32 v33, v1, v0
.LBB6_394:                              ;   in Loop: Header=BB6_128 Depth=2
	s_or_b64 exec, exec, s[90:91]
                                        ; implicit-def: $vgpr0
.LBB6_395:                              ;   in Loop: Header=BB6_128 Depth=2
	s_andn2_saveexec_b64 s[20:21], s[88:89]
; %bb.396:                              ;   in Loop: Header=BB6_128 Depth=2
	v_or_b32_e32 v33, 0x7e, v0
; %bb.397:                              ;   in Loop: Header=BB6_128 Depth=2
	s_or_b64 exec, exec, s[20:21]
                                        ; implicit-def: $vgpr1
.LBB6_398:                              ;   in Loop: Header=BB6_128 Depth=2
	s_andn2_saveexec_b64 s[20:21], s[78:79]
; %bb.399:                              ;   in Loop: Header=BB6_128 Depth=2
	v_or_b32_sdwa v33, v1, s51 dst_sel:DWORD dst_unused:UNUSED_PAD src0_sel:BYTE_3 src1_sel:DWORD
; %bb.400:                              ;   in Loop: Header=BB6_128 Depth=2
	s_or_b64 exec, exec, s[20:21]
	v_mov_b32_e32 v52, v13
	v_cmp_ne_u16_sdwa s[78:79], v13, v53 src0_sel:BYTE_0 src1_sel:DWORD
	v_mov_b32_e32 v0, 0
	s_and_saveexec_b64 s[20:21], s[78:79]
	s_cbranch_execz .LBB6_406
; %bb.401:                              ;   in Loop: Header=BB6_128 Depth=2
	v_cmp_ne_u16_sdwa s[88:89], v13, s53 src0_sel:BYTE_0 src1_sel:DWORD
	v_bfrev_b32_e32 v0, 1
	s_and_saveexec_b64 s[78:79], s[88:89]
	s_cbranch_execz .LBB6_405
; %bb.402:                              ;   in Loop: Header=BB6_128 Depth=2
	v_and_b32_e32 v1, 0x7f, v13
	v_cmp_ne_u32_e32 vcc, s51, v1
	v_mov_b32_e32 v0, 0x7f800001
	s_and_saveexec_b64 s[88:89], vcc
	s_cbranch_execz .LBB6_404
; %bb.403:                              ;   in Loop: Header=BB6_128 Depth=2
	v_and_b32_e32 v0, 7, v13
	v_ffbh_u32_e32 v0, v0
	v_min_u32_e32 v0, 32, v0
	v_lshrrev_b32_e32 v4, 3, v1
	v_cmp_gt_u32_e32 vcc, 8, v1
	v_subrev_u32_e32 v1, 28, v0
	v_sub_u32_e32 v0, 29, v0
	v_cndmask_b32_e32 v4, v4, v0, vcc
	v_cndmask_b32_e32 v0, 0, v1, vcc
	v_lshlrev_b64 v[0:1], v0, v[52:53]
	v_lshlrev_b32_e32 v1, 24, v52
	v_lshlrev_b32_e32 v0, 20, v0
	v_bfrev_b32_e32 v5, 60
	v_and_b32_e32 v0, 0x700000, v0
	v_and_b32_e32 v1, 0x80000000, v1
	v_lshl_add_u32 v4, v4, 23, v5
	v_or3_b32 v0, v1, v4, v0
.LBB6_404:                              ;   in Loop: Header=BB6_128 Depth=2
	s_or_b64 exec, exec, s[88:89]
.LBB6_405:                              ;   in Loop: Header=BB6_128 Depth=2
	s_or_b64 exec, exec, s[78:79]
.LBB6_406:                              ;   in Loop: Header=BB6_128 Depth=2
	s_or_b64 exec, exec, s[20:21]
	v_mul_f32_e32 v1, v17, v0
	v_and_b32_e32 v4, 0x7f800000, v1
	v_mov_b32_e32 v5, v53
	v_cmp_ne_u64_e32 vcc, s[56:57], v[4:5]
                                        ; implicit-def: $vgpr34
	s_and_saveexec_b64 s[20:21], vcc
	s_xor_b64 s[78:79], exec, s[20:21]
	s_cbranch_execz .LBB6_420
; %bb.407:                              ;   in Loop: Header=BB6_128 Depth=2
	v_and_b32_e32 v4, 0x7fffffff, v1
	v_mov_b32_e32 v5, v53
	v_cmp_gt_u64_e32 vcc, s[58:59], v[4:5]
	v_and_b32_sdwa v0, v1, s53 dst_sel:DWORD dst_unused:UNUSED_PAD src0_sel:BYTE_3 src1_sel:DWORD
                                        ; implicit-def: $vgpr34
	s_and_saveexec_b64 s[20:21], vcc
	s_xor_b64 s[88:89], exec, s[20:21]
	s_cbranch_execz .LBB6_417
; %bb.408:                              ;   in Loop: Header=BB6_128 Depth=2
	v_mov_b32_e32 v34, 0
	v_cmp_ne_u32_e32 vcc, 0, v1
	s_and_saveexec_b64 s[90:91], vcc
	s_cbranch_execz .LBB6_416
; %bb.409:                              ;   in Loop: Header=BB6_128 Depth=2
	v_and_b32_e32 v5, 0x7fffff, v1
	v_bfe_u32 v1, v1, 23, 8
	v_cmp_gt_u32_e64 s[20:21], s54, v1
	v_sub_u32_e32 v4, 0x79, v1
	v_cmp_eq_u32_e32 vcc, 0, v1
	v_cndmask_b32_e64 v4, 0, v4, s[20:21]
	v_mov_b32_e32 v8, 0x78
	v_cndmask_b32_e32 v4, v4, v8, vcc
	v_add_u32_e32 v8, 20, v4
	v_or_b32_e32 v6, 0x800000, v5
	v_lshlrev_b64 v[8:9], v8, -1
	v_add_u32_e32 v10, 19, v4
	v_cndmask_b32_e32 v5, v6, v5, vcc
	v_lshlrev_b64 v[10:11], v10, 1
	v_mov_b32_e32 v6, v53
	v_bfi_b32 v9, v9, 0, 0
	v_bfi_b32 v8, v8, 0, v5
	v_cmp_eq_u64_e64 s[20:21], v[8:9], v[10:11]
	v_lshrrev_b64 v[10:11], v4, v[5:6]
	v_mov_b32_e32 v15, v11
	v_mov_b32_e32 v14, v10
	s_and_saveexec_b64 s[92:93], s[20:21]
; %bb.410:                              ;   in Loop: Header=BB6_128 Depth=2
	v_bfe_u32 v5, v10, 20, 1
	v_add_co_u32_e64 v5, s[20:21], v10, v5
	v_add_co_u32_e64 v14, s[20:21], -1, v5
; %bb.411:                              ;   in Loop: Header=BB6_128 Depth=2
	s_or_b64 exec, exec, s[92:93]
	v_add_u32_e32 v1, 0xffffff81, v1
	v_mov_b32_e32 v5, 0xffffff82
	v_cndmask_b32_e32 v1, v1, v5, vcc
	v_lshrrev_b32_e32 v5, 23, v10
	v_add3_u32 v5, v4, v1, v5
	v_add_u32_e32 v4, 6, v5
	v_and_b32_e32 v1, 0xfffff, v14
	v_add_u32_e32 v10, v1, v10
	v_mov_b32_e32 v11, v53
	v_cmp_ne_u32_e32 vcc, 0, v4
                                        ; implicit-def: $vgpr1
	s_and_saveexec_b64 s[20:21], vcc
	s_xor_b64 s[20:21], exec, s[20:21]
; %bb.412:                              ;   in Loop: Header=BB6_128 Depth=2
	v_cmp_lt_u64_e32 vcc, s[60:61], v[10:11]
	v_add_u32_e32 v1, 7, v5
	v_cndmask_b32_e32 v1, v4, v1, vcc
	v_cndmask_b32_e64 v4, 0, 1, vcc
	v_lshrrev_b64 v[10:11], v4, v[10:11]
; %bb.413:                              ;   in Loop: Header=BB6_128 Depth=2
	s_andn2_saveexec_b64 s[20:21], s[20:21]
; %bb.414:                              ;   in Loop: Header=BB6_128 Depth=2
	v_bfe_u32 v1, v10, 23, 1
; %bb.415:                              ;   in Loop: Header=BB6_128 Depth=2
	s_or_b64 exec, exec, s[20:21]
	v_lshrrev_b64 v[4:5], 20, v[10:11]
	v_cmp_gt_i32_e32 vcc, 16, v1
	v_cndmask_b32_e32 v5, 0, v5, vcc
	v_cndmask_b32_e32 v4, 7, v4, vcc
	v_cmp_eq_u32_e32 vcc, 0, v1
	v_min_i32_e32 v1, 15, v1
	v_cmp_eq_u64_e64 s[20:21], 0, v[4:5]
	v_lshlrev_b32_e32 v1, 3, v1
	v_and_b32_e32 v1, 0xf8, v1
	v_and_or_b32 v1, v4, 7, v1
	s_and_b64 s[20:21], vcc, s[20:21]
	v_cndmask_b32_e64 v1, v1, 0, s[20:21]
	v_or_b32_e32 v34, v1, v0
.LBB6_416:                              ;   in Loop: Header=BB6_128 Depth=2
	s_or_b64 exec, exec, s[90:91]
                                        ; implicit-def: $vgpr0
.LBB6_417:                              ;   in Loop: Header=BB6_128 Depth=2
	s_andn2_saveexec_b64 s[20:21], s[88:89]
; %bb.418:                              ;   in Loop: Header=BB6_128 Depth=2
	v_or_b32_e32 v34, 0x7e, v0
; %bb.419:                              ;   in Loop: Header=BB6_128 Depth=2
	s_or_b64 exec, exec, s[20:21]
                                        ; implicit-def: $vgpr1
.LBB6_420:                              ;   in Loop: Header=BB6_128 Depth=2
	s_andn2_saveexec_b64 s[20:21], s[78:79]
; %bb.421:                              ;   in Loop: Header=BB6_128 Depth=2
	v_or_b32_sdwa v34, v1, s51 dst_sel:DWORD dst_unused:UNUSED_PAD src0_sel:BYTE_3 src1_sel:DWORD
; %bb.422:                              ;   in Loop: Header=BB6_128 Depth=2
	s_or_b64 exec, exec, s[20:21]
	v_lshrrev_b16_e32 v10, 8, v52
	v_cmp_ne_u16_e32 vcc, 0, v10
	v_mov_b32_e32 v0, 0
	s_and_saveexec_b64 s[20:21], vcc
	s_cbranch_execz .LBB6_428
; %bb.423:                              ;   in Loop: Header=BB6_128 Depth=2
	v_cmp_ne_u16_e32 vcc, s53, v10
	v_bfrev_b32_e32 v0, 1
	s_and_saveexec_b64 s[78:79], vcc
	s_cbranch_execz .LBB6_427
; %bb.424:                              ;   in Loop: Header=BB6_128 Depth=2
	v_and_b32_e32 v1, 0x7f, v10
	v_cmp_ne_u32_e32 vcc, s51, v1
	v_mov_b32_e32 v0, 0x7f800001
	s_and_saveexec_b64 s[88:89], vcc
	s_cbranch_execz .LBB6_426
; %bb.425:                              ;   in Loop: Header=BB6_128 Depth=2
	v_and_b32_e32 v4, 7, v10
	v_ffbh_u32_e32 v0, v4
	v_min_u32_e32 v6, 32, v0
	v_subrev_u32_e32 v0, 28, v6
	v_lshrrev_b32_e32 v5, 3, v1
	v_cmp_gt_u32_e32 vcc, 8, v1
	v_lshlrev_b64 v[0:1], v0, v[10:11]
	v_sub_u32_e32 v1, 29, v6
	v_and_b32_e32 v0, 7, v0
	v_cndmask_b32_e32 v1, v5, v1, vcc
	v_cndmask_b32_e32 v0, v4, v0, vcc
	v_lshlrev_b32_e32 v4, 16, v52
	v_bfrev_b32_e32 v5, 60
	v_lshlrev_b32_e32 v0, 20, v0
	v_and_b32_e32 v4, 0x80000000, v4
	v_lshl_add_u32 v1, v1, 23, v5
	v_or3_b32 v0, v4, v1, v0
.LBB6_426:                              ;   in Loop: Header=BB6_128 Depth=2
	s_or_b64 exec, exec, s[88:89]
.LBB6_427:                              ;   in Loop: Header=BB6_128 Depth=2
	s_or_b64 exec, exec, s[78:79]
.LBB6_428:                              ;   in Loop: Header=BB6_128 Depth=2
	s_or_b64 exec, exec, s[20:21]
	v_mul_f32_e32 v1, v17, v0
	v_and_b32_e32 v52, 0x7f800000, v1
	v_cmp_ne_u64_e32 vcc, s[56:57], v[52:53]
                                        ; implicit-def: $vgpr0
                                        ; kill: killed $vgpr0
	s_and_saveexec_b64 s[20:21], vcc
	s_xor_b64 s[78:79], exec, s[20:21]
	s_cbranch_execz .LBB6_442
; %bb.429:                              ;   in Loop: Header=BB6_128 Depth=2
	v_and_b32_e32 v52, 0x7fffffff, v1
	v_cmp_gt_u64_e32 vcc, s[58:59], v[52:53]
	v_and_b32_sdwa v0, v1, s53 dst_sel:DWORD dst_unused:UNUSED_PAD src0_sel:BYTE_3 src1_sel:DWORD
                                        ; implicit-def: $vgpr4
                                        ; kill: killed $vgpr4
	s_and_saveexec_b64 s[20:21], vcc
	s_xor_b64 s[88:89], exec, s[20:21]
	s_cbranch_execz .LBB6_439
; %bb.430:                              ;   in Loop: Header=BB6_128 Depth=2
	v_mov_b32_e32 v4, 0
	v_cmp_ne_u32_e32 vcc, 0, v1
	buffer_store_dword v4, off, s[0:3], s33 offset:284 ; 4-byte Folded Spill
	s_and_saveexec_b64 s[90:91], vcc
	s_cbranch_execz .LBB6_438
; %bb.431:                              ;   in Loop: Header=BB6_128 Depth=2
	v_and_b32_e32 v5, 0x7fffff, v1
	v_bfe_u32 v1, v1, 23, 8
	v_cmp_gt_u32_e64 s[20:21], s54, v1
	v_sub_u32_e32 v4, 0x79, v1
	v_cmp_eq_u32_e32 vcc, 0, v1
	v_cndmask_b32_e64 v4, 0, v4, s[20:21]
	v_mov_b32_e32 v8, 0x78
	v_or_b32_e32 v6, 0x800000, v5
	v_cndmask_b32_e32 v4, v4, v8, vcc
	v_cndmask_b32_e32 v52, v6, v5, vcc
	v_add_u32_e32 v5, 20, v4
	v_lshlrev_b64 v[5:6], v5, -1
	v_add_u32_e32 v8, 19, v4
	v_lshlrev_b64 v[8:9], v8, 1
	v_lshrrev_b64 v[10:11], v4, v[52:53]
	v_bfi_b32 v6, v6, 0, 0
	v_bfi_b32 v5, v5, 0, v52
	v_cmp_eq_u64_e64 s[20:21], v[5:6], v[8:9]
	v_mov_b32_e32 v15, v11
	v_mov_b32_e32 v14, v10
	s_and_saveexec_b64 s[92:93], s[20:21]
; %bb.432:                              ;   in Loop: Header=BB6_128 Depth=2
	v_bfe_u32 v5, v10, 20, 1
	v_add_co_u32_e64 v5, s[20:21], v10, v5
	v_add_co_u32_e64 v14, s[20:21], -1, v5
; %bb.433:                              ;   in Loop: Header=BB6_128 Depth=2
	s_or_b64 exec, exec, s[92:93]
	v_add_u32_e32 v1, 0xffffff81, v1
	v_mov_b32_e32 v5, 0xffffff82
	v_cndmask_b32_e32 v1, v1, v5, vcc
	v_lshrrev_b32_e32 v5, 23, v10
	v_add3_u32 v5, v4, v1, v5
	v_add_u32_e32 v4, 6, v5
	v_and_b32_e32 v1, 0xfffff, v14
	v_add_u32_e32 v52, v1, v10
	v_cmp_ne_u32_e32 vcc, 0, v4
                                        ; implicit-def: $vgpr10_vgpr11
                                        ; implicit-def: $vgpr1
	s_and_saveexec_b64 s[20:21], vcc
	s_xor_b64 s[20:21], exec, s[20:21]
; %bb.434:                              ;   in Loop: Header=BB6_128 Depth=2
	v_cmp_lt_u64_e32 vcc, s[60:61], v[52:53]
	v_add_u32_e32 v1, 7, v5
	v_cndmask_b32_e32 v1, v4, v1, vcc
	v_cndmask_b32_e64 v4, 0, 1, vcc
	v_lshrrev_b64 v[10:11], v4, v[52:53]
; %bb.435:                              ;   in Loop: Header=BB6_128 Depth=2
	s_andn2_saveexec_b64 s[20:21], s[20:21]
; %bb.436:                              ;   in Loop: Header=BB6_128 Depth=2
	v_mov_b32_e32 v10, v52
	v_bfe_u32 v1, v52, 23, 1
	v_mov_b32_e32 v11, v53
; %bb.437:                              ;   in Loop: Header=BB6_128 Depth=2
	s_or_b64 exec, exec, s[20:21]
	v_lshrrev_b64 v[4:5], 20, v[10:11]
	v_cmp_gt_i32_e32 vcc, 16, v1
	v_cndmask_b32_e32 v5, 0, v5, vcc
	v_cndmask_b32_e32 v4, 7, v4, vcc
	v_cmp_eq_u32_e32 vcc, 0, v1
	v_min_i32_e32 v1, 15, v1
	v_cmp_eq_u64_e64 s[20:21], 0, v[4:5]
	v_lshlrev_b32_e32 v1, 3, v1
	v_and_b32_e32 v1, 0xf8, v1
	v_and_or_b32 v1, v4, 7, v1
	s_and_b64 s[20:21], vcc, s[20:21]
	v_cndmask_b32_e64 v1, v1, 0, s[20:21]
	v_or_b32_e32 v0, v1, v0
	buffer_store_dword v0, off, s[0:3], s33 offset:284 ; 4-byte Folded Spill
.LBB6_438:                              ;   in Loop: Header=BB6_128 Depth=2
	s_or_b64 exec, exec, s[90:91]
                                        ; implicit-def: $vgpr0
.LBB6_439:                              ;   in Loop: Header=BB6_128 Depth=2
	s_andn2_saveexec_b64 s[20:21], s[88:89]
	s_cbranch_execz .LBB6_441
; %bb.440:                              ;   in Loop: Header=BB6_128 Depth=2
	v_or_b32_e32 v0, 0x7e, v0
	buffer_store_dword v0, off, s[0:3], s33 offset:284 ; 4-byte Folded Spill
.LBB6_441:                              ;   in Loop: Header=BB6_128 Depth=2
	s_or_b64 exec, exec, s[20:21]
                                        ; implicit-def: $vgpr1
.LBB6_442:                              ;   in Loop: Header=BB6_128 Depth=2
	s_andn2_saveexec_b64 s[20:21], s[78:79]
	s_cbranch_execz .LBB6_444
; %bb.443:                              ;   in Loop: Header=BB6_128 Depth=2
	v_or_b32_sdwa v0, v1, s51 dst_sel:DWORD dst_unused:UNUSED_PAD src0_sel:BYTE_3 src1_sel:DWORD
	buffer_store_dword v0, off, s[0:3], s33 offset:284 ; 4-byte Folded Spill
.LBB6_444:                              ;   in Loop: Header=BB6_128 Depth=2
	s_or_b64 exec, exec, s[20:21]
	v_lshrrev_b32_e32 v10, 16, v13
	v_cmp_ne_u16_sdwa s[78:79], v10, v53 src0_sel:BYTE_0 src1_sel:DWORD
	v_mov_b32_e32 v0, 0
	s_and_saveexec_b64 s[20:21], s[78:79]
	s_cbranch_execz .LBB6_450
; %bb.445:                              ;   in Loop: Header=BB6_128 Depth=2
	v_cmp_ne_u16_sdwa s[88:89], v10, s53 src0_sel:BYTE_0 src1_sel:DWORD
	v_bfrev_b32_e32 v0, 1
	s_and_saveexec_b64 s[78:79], s[88:89]
	s_cbranch_execz .LBB6_449
; %bb.446:                              ;   in Loop: Header=BB6_128 Depth=2
	v_bfe_u32 v1, v13, 16, 7
	v_cmp_ne_u32_e32 vcc, s51, v1
	v_mov_b32_e32 v0, 0x7f800001
	s_and_saveexec_b64 s[88:89], vcc
	s_cbranch_execz .LBB6_448
; %bb.447:                              ;   in Loop: Header=BB6_128 Depth=2
	v_and_b32_e32 v4, 7, v10
	v_ffbh_u32_e32 v0, v4
	v_min_u32_e32 v6, 32, v0
	v_subrev_u32_e32 v0, 28, v6
	v_lshrrev_b32_e32 v5, 3, v1
	v_cmp_gt_u32_e32 vcc, 8, v1
	v_lshlrev_b64 v[0:1], v0, v[10:11]
	v_sub_u32_e32 v1, 29, v6
	v_and_b32_e32 v0, 7, v0
	v_cndmask_b32_e32 v1, v5, v1, vcc
	v_cndmask_b32_e32 v0, v4, v0, vcc
	v_lshlrev_b32_e32 v4, 24, v10
	v_bfrev_b32_e32 v5, 60
	v_lshlrev_b32_e32 v0, 20, v0
	v_and_b32_e32 v4, 0x80000000, v4
	v_lshl_add_u32 v1, v1, 23, v5
	v_or3_b32 v0, v4, v1, v0
.LBB6_448:                              ;   in Loop: Header=BB6_128 Depth=2
	s_or_b64 exec, exec, s[88:89]
.LBB6_449:                              ;   in Loop: Header=BB6_128 Depth=2
	s_or_b64 exec, exec, s[78:79]
.LBB6_450:                              ;   in Loop: Header=BB6_128 Depth=2
	s_or_b64 exec, exec, s[20:21]
	v_mul_f32_e32 v1, v17, v0
	v_and_b32_e32 v52, 0x7f800000, v1
	v_cmp_ne_u64_e32 vcc, s[56:57], v[52:53]
                                        ; implicit-def: $vgpr28
	s_and_saveexec_b64 s[20:21], vcc
	s_xor_b64 s[78:79], exec, s[20:21]
	s_cbranch_execz .LBB6_464
; %bb.451:                              ;   in Loop: Header=BB6_128 Depth=2
	v_and_b32_e32 v52, 0x7fffffff, v1
	v_cmp_gt_u64_e32 vcc, s[58:59], v[52:53]
	v_and_b32_sdwa v0, v1, s53 dst_sel:DWORD dst_unused:UNUSED_PAD src0_sel:BYTE_3 src1_sel:DWORD
                                        ; implicit-def: $vgpr28
	s_and_saveexec_b64 s[20:21], vcc
	s_xor_b64 s[88:89], exec, s[20:21]
	s_cbranch_execz .LBB6_461
; %bb.452:                              ;   in Loop: Header=BB6_128 Depth=2
	v_mov_b32_e32 v28, 0
	v_cmp_ne_u32_e32 vcc, 0, v1
	s_and_saveexec_b64 s[90:91], vcc
	s_cbranch_execz .LBB6_460
; %bb.453:                              ;   in Loop: Header=BB6_128 Depth=2
	v_and_b32_e32 v5, 0x7fffff, v1
	v_bfe_u32 v1, v1, 23, 8
	v_cmp_gt_u32_e64 s[20:21], s54, v1
	v_sub_u32_e32 v4, 0x79, v1
	v_cmp_eq_u32_e32 vcc, 0, v1
	v_cndmask_b32_e64 v4, 0, v4, s[20:21]
	v_mov_b32_e32 v8, 0x78
	v_or_b32_e32 v6, 0x800000, v5
	v_cndmask_b32_e32 v4, v4, v8, vcc
	v_cndmask_b32_e32 v52, v6, v5, vcc
	v_add_u32_e32 v5, 20, v4
	v_lshlrev_b64 v[5:6], v5, -1
	v_add_u32_e32 v8, 19, v4
	v_lshlrev_b64 v[8:9], v8, 1
	v_lshrrev_b64 v[10:11], v4, v[52:53]
	v_bfi_b32 v6, v6, 0, 0
	v_bfi_b32 v5, v5, 0, v52
	v_cmp_eq_u64_e64 s[20:21], v[5:6], v[8:9]
	v_mov_b32_e32 v15, v11
	v_mov_b32_e32 v14, v10
	s_and_saveexec_b64 s[92:93], s[20:21]
; %bb.454:                              ;   in Loop: Header=BB6_128 Depth=2
	v_bfe_u32 v5, v10, 20, 1
	v_add_co_u32_e64 v5, s[20:21], v10, v5
	v_add_co_u32_e64 v14, s[20:21], -1, v5
; %bb.455:                              ;   in Loop: Header=BB6_128 Depth=2
	s_or_b64 exec, exec, s[92:93]
	v_add_u32_e32 v1, 0xffffff81, v1
	v_mov_b32_e32 v5, 0xffffff82
	v_cndmask_b32_e32 v1, v1, v5, vcc
	v_lshrrev_b32_e32 v5, 23, v10
	v_add3_u32 v5, v4, v1, v5
	v_add_u32_e32 v4, 6, v5
	v_and_b32_e32 v1, 0xfffff, v14
	v_add_u32_e32 v52, v1, v10
	v_cmp_ne_u32_e32 vcc, 0, v4
                                        ; implicit-def: $vgpr10_vgpr11
                                        ; implicit-def: $vgpr1
	s_and_saveexec_b64 s[20:21], vcc
	s_xor_b64 s[20:21], exec, s[20:21]
; %bb.456:                              ;   in Loop: Header=BB6_128 Depth=2
	v_cmp_lt_u64_e32 vcc, s[60:61], v[52:53]
	v_add_u32_e32 v1, 7, v5
	v_cndmask_b32_e32 v1, v4, v1, vcc
	v_cndmask_b32_e64 v4, 0, 1, vcc
	v_lshrrev_b64 v[10:11], v4, v[52:53]
; %bb.457:                              ;   in Loop: Header=BB6_128 Depth=2
	s_andn2_saveexec_b64 s[20:21], s[20:21]
; %bb.458:                              ;   in Loop: Header=BB6_128 Depth=2
	v_mov_b32_e32 v10, v52
	v_bfe_u32 v1, v52, 23, 1
	v_mov_b32_e32 v11, v53
; %bb.459:                              ;   in Loop: Header=BB6_128 Depth=2
	s_or_b64 exec, exec, s[20:21]
	v_lshrrev_b64 v[4:5], 20, v[10:11]
	v_cmp_gt_i32_e32 vcc, 16, v1
	v_cndmask_b32_e32 v5, 0, v5, vcc
	v_cndmask_b32_e32 v4, 7, v4, vcc
	v_cmp_eq_u32_e32 vcc, 0, v1
	v_min_i32_e32 v1, 15, v1
	v_cmp_eq_u64_e64 s[20:21], 0, v[4:5]
	v_lshlrev_b32_e32 v1, 3, v1
	v_and_b32_e32 v1, 0xf8, v1
	v_and_or_b32 v1, v4, 7, v1
	s_and_b64 s[20:21], vcc, s[20:21]
	v_cndmask_b32_e64 v1, v1, 0, s[20:21]
	v_or_b32_e32 v28, v1, v0
.LBB6_460:                              ;   in Loop: Header=BB6_128 Depth=2
	s_or_b64 exec, exec, s[90:91]
                                        ; implicit-def: $vgpr0
.LBB6_461:                              ;   in Loop: Header=BB6_128 Depth=2
	s_andn2_saveexec_b64 s[20:21], s[88:89]
; %bb.462:                              ;   in Loop: Header=BB6_128 Depth=2
	v_or_b32_e32 v28, 0x7e, v0
; %bb.463:                              ;   in Loop: Header=BB6_128 Depth=2
	s_or_b64 exec, exec, s[20:21]
                                        ; implicit-def: $vgpr1
.LBB6_464:                              ;   in Loop: Header=BB6_128 Depth=2
	s_andn2_saveexec_b64 s[20:21], s[78:79]
; %bb.465:                              ;   in Loop: Header=BB6_128 Depth=2
	v_or_b32_sdwa v28, v1, s51 dst_sel:DWORD dst_unused:UNUSED_PAD src0_sel:BYTE_3 src1_sel:DWORD
; %bb.466:                              ;   in Loop: Header=BB6_128 Depth=2
	s_or_b64 exec, exec, s[20:21]
	v_cmp_lt_u64_e32 vcc, s[62:63], v[12:13]
	v_mov_b32_e32 v0, 0
	s_and_saveexec_b64 s[20:21], vcc
	s_cbranch_execz .LBB6_472
; %bb.467:                              ;   in Loop: Header=BB6_128 Depth=2
	v_lshrrev_b32_e32 v10, 24, v13
	v_cmp_ne_u32_e32 vcc, s53, v10
	v_bfrev_b32_e32 v0, 1
	s_and_saveexec_b64 s[78:79], vcc
	s_cbranch_execz .LBB6_471
; %bb.468:                              ;   in Loop: Header=BB6_128 Depth=2
	v_bfe_u32 v1, v13, 24, 7
	v_cmp_ne_u32_e32 vcc, s51, v1
	v_mov_b32_e32 v0, 0x7f800001
	s_and_saveexec_b64 s[88:89], vcc
	s_cbranch_execz .LBB6_470
; %bb.469:                              ;   in Loop: Header=BB6_128 Depth=2
	v_and_b32_e32 v4, 7, v10
	v_ffbh_u32_e32 v0, v4
	v_min_u32_e32 v6, 32, v0
	v_subrev_u32_e32 v0, 28, v6
	v_lshrrev_b32_e32 v5, 3, v1
	v_cmp_gt_u32_e32 vcc, 8, v1
	v_lshlrev_b64 v[0:1], v0, v[10:11]
	v_sub_u32_e32 v1, 29, v6
	v_and_b32_e32 v0, 7, v0
	v_cndmask_b32_e32 v1, v5, v1, vcc
	v_cndmask_b32_e32 v0, v4, v0, vcc
	v_lshlrev_b32_e32 v4, 24, v10
	v_bfrev_b32_e32 v5, 60
	v_lshlrev_b32_e32 v0, 20, v0
	v_and_b32_e32 v4, 0x80000000, v4
	v_lshl_add_u32 v1, v1, 23, v5
	v_or3_b32 v0, v4, v1, v0
.LBB6_470:                              ;   in Loop: Header=BB6_128 Depth=2
	s_or_b64 exec, exec, s[88:89]
.LBB6_471:                              ;   in Loop: Header=BB6_128 Depth=2
	s_or_b64 exec, exec, s[78:79]
.LBB6_472:                              ;   in Loop: Header=BB6_128 Depth=2
	s_or_b64 exec, exec, s[20:21]
	v_mul_f32_e32 v1, v17, v0
	v_and_b32_e32 v52, 0x7f800000, v1
	v_cmp_ne_u64_e32 vcc, s[56:57], v[52:53]
                                        ; implicit-def: $vgpr8
	s_and_saveexec_b64 s[20:21], vcc
	s_xor_b64 s[78:79], exec, s[20:21]
	s_cbranch_execz .LBB6_486
; %bb.473:                              ;   in Loop: Header=BB6_128 Depth=2
	v_and_b32_e32 v52, 0x7fffffff, v1
	v_cmp_gt_u64_e32 vcc, s[58:59], v[52:53]
	v_and_b32_sdwa v0, v1, s53 dst_sel:DWORD dst_unused:UNUSED_PAD src0_sel:BYTE_3 src1_sel:DWORD
                                        ; implicit-def: $vgpr8
	s_and_saveexec_b64 s[20:21], vcc
	s_xor_b64 s[88:89], exec, s[20:21]
	s_cbranch_execz .LBB6_483
; %bb.474:                              ;   in Loop: Header=BB6_128 Depth=2
	v_mov_b32_e32 v8, 0
	v_cmp_ne_u32_e32 vcc, 0, v1
	s_and_saveexec_b64 s[90:91], vcc
	s_cbranch_execz .LBB6_482
; %bb.475:                              ;   in Loop: Header=BB6_128 Depth=2
	v_and_b32_e32 v5, 0x7fffff, v1
	v_bfe_u32 v1, v1, 23, 8
	v_cmp_gt_u32_e64 s[20:21], s54, v1
	v_sub_u32_e32 v4, 0x79, v1
	v_cmp_eq_u32_e32 vcc, 0, v1
	v_cndmask_b32_e64 v4, 0, v4, s[20:21]
	v_mov_b32_e32 v8, 0x78
	v_or_b32_e32 v6, 0x800000, v5
	v_cndmask_b32_e32 v4, v4, v8, vcc
	v_cndmask_b32_e32 v52, v6, v5, vcc
	v_add_u32_e32 v5, 20, v4
	v_lshlrev_b64 v[5:6], v5, -1
	v_add_u32_e32 v8, 19, v4
	v_lshlrev_b64 v[8:9], v8, 1
	v_lshrrev_b64 v[10:11], v4, v[52:53]
	v_bfi_b32 v6, v6, 0, 0
	v_bfi_b32 v5, v5, 0, v52
	v_cmp_eq_u64_e64 s[20:21], v[5:6], v[8:9]
	v_mov_b32_e32 v12, v11
	v_mov_b32_e32 v11, v10
	s_and_saveexec_b64 s[92:93], s[20:21]
; %bb.476:                              ;   in Loop: Header=BB6_128 Depth=2
	v_bfe_u32 v5, v10, 20, 1
	v_add_co_u32_e64 v5, s[20:21], v10, v5
	v_add_co_u32_e64 v11, s[20:21], -1, v5
; %bb.477:                              ;   in Loop: Header=BB6_128 Depth=2
	s_or_b64 exec, exec, s[92:93]
	v_add_u32_e32 v1, 0xffffff81, v1
	v_mov_b32_e32 v5, 0xffffff82
	v_cndmask_b32_e32 v1, v1, v5, vcc
	v_lshrrev_b32_e32 v5, 23, v10
	v_add3_u32 v5, v4, v1, v5
	v_add_u32_e32 v4, 6, v5
	v_and_b32_e32 v1, 0xfffff, v11
	v_add_u32_e32 v52, v1, v10
	v_cmp_ne_u32_e32 vcc, 0, v4
                                        ; implicit-def: $vgpr10_vgpr11
                                        ; implicit-def: $vgpr1
	s_and_saveexec_b64 s[20:21], vcc
	s_xor_b64 s[20:21], exec, s[20:21]
; %bb.478:                              ;   in Loop: Header=BB6_128 Depth=2
	v_cmp_lt_u64_e32 vcc, s[60:61], v[52:53]
	v_add_u32_e32 v1, 7, v5
	v_cndmask_b32_e32 v1, v4, v1, vcc
	v_cndmask_b32_e64 v4, 0, 1, vcc
	v_lshrrev_b64 v[10:11], v4, v[52:53]
; %bb.479:                              ;   in Loop: Header=BB6_128 Depth=2
	s_andn2_saveexec_b64 s[20:21], s[20:21]
; %bb.480:                              ;   in Loop: Header=BB6_128 Depth=2
	v_mov_b32_e32 v10, v52
	v_bfe_u32 v1, v52, 23, 1
	v_mov_b32_e32 v11, v53
; %bb.481:                              ;   in Loop: Header=BB6_128 Depth=2
	s_or_b64 exec, exec, s[20:21]
	v_lshrrev_b64 v[4:5], 20, v[10:11]
	v_cmp_gt_i32_e32 vcc, 16, v1
	v_cndmask_b32_e32 v5, 0, v5, vcc
	v_cndmask_b32_e32 v4, 7, v4, vcc
	v_cmp_eq_u32_e32 vcc, 0, v1
	v_min_i32_e32 v1, 15, v1
	v_cmp_eq_u64_e64 s[20:21], 0, v[4:5]
	v_lshlrev_b32_e32 v1, 3, v1
	v_and_b32_e32 v1, 0xf8, v1
	v_and_or_b32 v1, v4, 7, v1
	s_and_b64 s[20:21], vcc, s[20:21]
	v_cndmask_b32_e64 v1, v1, 0, s[20:21]
	v_or_b32_e32 v8, v1, v0
.LBB6_482:                              ;   in Loop: Header=BB6_128 Depth=2
	s_or_b64 exec, exec, s[90:91]
                                        ; implicit-def: $vgpr0
.LBB6_483:                              ;   in Loop: Header=BB6_128 Depth=2
	s_andn2_saveexec_b64 s[20:21], s[88:89]
; %bb.484:                              ;   in Loop: Header=BB6_128 Depth=2
	v_or_b32_e32 v8, 0x7e, v0
; %bb.485:                              ;   in Loop: Header=BB6_128 Depth=2
	s_or_b64 exec, exec, s[20:21]
                                        ; implicit-def: $vgpr1
.LBB6_486:                              ;   in Loop: Header=BB6_128 Depth=2
	s_andn2_saveexec_b64 s[20:21], s[78:79]
; %bb.487:                              ;   in Loop: Header=BB6_128 Depth=2
	v_or_b32_sdwa v8, v1, s51 dst_sel:DWORD dst_unused:UNUSED_PAD src0_sel:BYTE_3 src1_sel:DWORD
; %bb.488:                              ;   in Loop: Header=BB6_128 Depth=2
	s_or_b64 exec, exec, s[20:21]
	global_load_dwordx4 v[10:13], v[46:47], off offset:1024 glc slc
	v_mov_b32_e32 v0, 0
	s_waitcnt vmcnt(0)
	v_cmp_ne_u16_sdwa s[78:79], v10, v53 src0_sel:BYTE_0 src1_sel:DWORD
	s_and_saveexec_b64 s[20:21], s[78:79]
	s_cbranch_execz .LBB6_494
; %bb.489:                              ;   in Loop: Header=BB6_128 Depth=2
	v_cmp_ne_u16_sdwa s[88:89], v10, s53 src0_sel:BYTE_0 src1_sel:DWORD
	v_bfrev_b32_e32 v0, 1
	s_and_saveexec_b64 s[78:79], s[88:89]
	s_cbranch_execz .LBB6_493
; %bb.490:                              ;   in Loop: Header=BB6_128 Depth=2
	v_and_b32_e32 v1, 0x7f, v10
	v_cmp_ne_u32_e32 vcc, s51, v1
	v_mov_b32_e32 v0, 0x7f800001
	s_and_saveexec_b64 s[88:89], vcc
	s_cbranch_execz .LBB6_492
; %bb.491:                              ;   in Loop: Header=BB6_128 Depth=2
	v_and_b32_e32 v0, 7, v10
	v_ffbh_u32_e32 v0, v0
	v_min_u32_e32 v0, 32, v0
	v_lshrrev_b32_e32 v4, 3, v1
	v_cmp_gt_u32_e32 vcc, 8, v1
	v_subrev_u32_e32 v1, 28, v0
	v_sub_u32_e32 v0, 29, v0
	v_cndmask_b32_e32 v4, v4, v0, vcc
	v_cndmask_b32_e32 v0, 0, v1, vcc
	v_lshlrev_b64 v[0:1], v0, v[10:11]
	v_lshlrev_b32_e32 v1, 24, v10
	v_lshlrev_b32_e32 v0, 20, v0
	v_bfrev_b32_e32 v5, 60
	v_and_b32_e32 v0, 0x700000, v0
	v_and_b32_e32 v1, 0x80000000, v1
	v_lshl_add_u32 v4, v4, 23, v5
	v_or3_b32 v0, v1, v4, v0
.LBB6_492:                              ;   in Loop: Header=BB6_128 Depth=2
	s_or_b64 exec, exec, s[88:89]
.LBB6_493:                              ;   in Loop: Header=BB6_128 Depth=2
	s_or_b64 exec, exec, s[78:79]
.LBB6_494:                              ;   in Loop: Header=BB6_128 Depth=2
	s_or_b64 exec, exec, s[20:21]
	v_mul_f32_e32 v1, v17, v0
	v_and_b32_e32 v52, 0x7f800000, v1
	v_cmp_ne_u64_e32 vcc, s[56:57], v[52:53]
                                        ; implicit-def: $vgpr41
	s_and_saveexec_b64 s[20:21], vcc
	s_xor_b64 s[78:79], exec, s[20:21]
	s_cbranch_execz .LBB6_508
; %bb.495:                              ;   in Loop: Header=BB6_128 Depth=2
	v_and_b32_e32 v52, 0x7fffffff, v1
	v_cmp_gt_u64_e32 vcc, s[58:59], v[52:53]
	v_and_b32_sdwa v0, v1, s53 dst_sel:DWORD dst_unused:UNUSED_PAD src0_sel:BYTE_3 src1_sel:DWORD
                                        ; implicit-def: $vgpr41
	s_and_saveexec_b64 s[20:21], vcc
	s_xor_b64 s[88:89], exec, s[20:21]
	s_cbranch_execz .LBB6_505
; %bb.496:                              ;   in Loop: Header=BB6_128 Depth=2
	v_mov_b32_e32 v41, 0
	v_cmp_ne_u32_e32 vcc, 0, v1
	s_and_saveexec_b64 s[90:91], vcc
	s_cbranch_execz .LBB6_504
; %bb.497:                              ;   in Loop: Header=BB6_128 Depth=2
	v_and_b32_e32 v5, 0x7fffff, v1
	v_bfe_u32 v1, v1, 23, 8
	v_cmp_gt_u32_e64 s[20:21], s54, v1
	v_sub_u32_e32 v4, 0x79, v1
	v_cmp_eq_u32_e32 vcc, 0, v1
	v_cndmask_b32_e64 v4, 0, v4, s[20:21]
	v_mov_b32_e32 v9, 0x78
	v_or_b32_e32 v6, 0x800000, v5
	v_cndmask_b32_e32 v4, v4, v9, vcc
	v_cndmask_b32_e32 v52, v6, v5, vcc
	v_add_u32_e32 v5, 20, v4
	v_lshlrev_b64 v[5:6], v5, -1
	v_add_u32_e32 v9, 19, v4
	v_lshlrev_b64 v[14:15], v9, 1
	v_bfi_b32 v6, v6, 0, 0
	v_bfi_b32 v5, v5, 0, v52
	v_cmp_eq_u64_e64 s[20:21], v[5:6], v[14:15]
	v_lshrrev_b64 v[14:15], v4, v[52:53]
	v_mov_b32_e32 v16, v15
	v_mov_b32_e32 v15, v14
	s_and_saveexec_b64 s[92:93], s[20:21]
; %bb.498:                              ;   in Loop: Header=BB6_128 Depth=2
	v_bfe_u32 v5, v14, 20, 1
	v_add_co_u32_e64 v5, s[20:21], v14, v5
	v_add_co_u32_e64 v15, s[20:21], -1, v5
; %bb.499:                              ;   in Loop: Header=BB6_128 Depth=2
	s_or_b64 exec, exec, s[92:93]
	v_add_u32_e32 v1, 0xffffff81, v1
	v_mov_b32_e32 v5, 0xffffff82
	v_cndmask_b32_e32 v1, v1, v5, vcc
	v_lshrrev_b32_e32 v5, 23, v14
	v_add3_u32 v5, v4, v1, v5
	v_add_u32_e32 v4, 6, v5
	v_and_b32_e32 v1, 0xfffff, v15
	v_add_u32_e32 v52, v1, v14
	v_cmp_ne_u32_e32 vcc, 0, v4
                                        ; implicit-def: $vgpr14_vgpr15
                                        ; implicit-def: $vgpr1
	s_and_saveexec_b64 s[20:21], vcc
	s_xor_b64 s[20:21], exec, s[20:21]
; %bb.500:                              ;   in Loop: Header=BB6_128 Depth=2
	v_cmp_lt_u64_e32 vcc, s[60:61], v[52:53]
	v_add_u32_e32 v1, 7, v5
	v_cndmask_b32_e32 v1, v4, v1, vcc
	v_cndmask_b32_e64 v4, 0, 1, vcc
	v_lshrrev_b64 v[14:15], v4, v[52:53]
; %bb.501:                              ;   in Loop: Header=BB6_128 Depth=2
	s_andn2_saveexec_b64 s[20:21], s[20:21]
; %bb.502:                              ;   in Loop: Header=BB6_128 Depth=2
	v_mov_b32_e32 v14, v52
	v_bfe_u32 v1, v52, 23, 1
	v_mov_b32_e32 v15, v53
; %bb.503:                              ;   in Loop: Header=BB6_128 Depth=2
	s_or_b64 exec, exec, s[20:21]
	v_lshrrev_b64 v[4:5], 20, v[14:15]
	v_cmp_gt_i32_e32 vcc, 16, v1
	v_cndmask_b32_e32 v5, 0, v5, vcc
	v_cndmask_b32_e32 v4, 7, v4, vcc
	v_cmp_eq_u32_e32 vcc, 0, v1
	v_min_i32_e32 v1, 15, v1
	v_cmp_eq_u64_e64 s[20:21], 0, v[4:5]
	v_lshlrev_b32_e32 v1, 3, v1
	v_and_b32_e32 v1, 0xf8, v1
	v_and_or_b32 v1, v4, 7, v1
	s_and_b64 s[20:21], vcc, s[20:21]
	v_cndmask_b32_e64 v1, v1, 0, s[20:21]
	v_or_b32_e32 v41, v1, v0
.LBB6_504:                              ;   in Loop: Header=BB6_128 Depth=2
	s_or_b64 exec, exec, s[90:91]
                                        ; implicit-def: $vgpr0
.LBB6_505:                              ;   in Loop: Header=BB6_128 Depth=2
	s_andn2_saveexec_b64 s[20:21], s[88:89]
; %bb.506:                              ;   in Loop: Header=BB6_128 Depth=2
	v_or_b32_e32 v41, 0x7e, v0
; %bb.507:                              ;   in Loop: Header=BB6_128 Depth=2
	s_or_b64 exec, exec, s[20:21]
                                        ; implicit-def: $vgpr1
.LBB6_508:                              ;   in Loop: Header=BB6_128 Depth=2
	s_andn2_saveexec_b64 s[20:21], s[78:79]
; %bb.509:                              ;   in Loop: Header=BB6_128 Depth=2
	v_or_b32_sdwa v41, v1, s51 dst_sel:DWORD dst_unused:UNUSED_PAD src0_sel:BYTE_3 src1_sel:DWORD
; %bb.510:                              ;   in Loop: Header=BB6_128 Depth=2
	s_or_b64 exec, exec, s[20:21]
	v_lshrrev_b16_e32 v14, 8, v10
	v_cmp_ne_u16_e32 vcc, 0, v14
	v_mov_b32_e32 v0, 0
	s_and_saveexec_b64 s[20:21], vcc
	s_cbranch_execz .LBB6_516
; %bb.511:                              ;   in Loop: Header=BB6_128 Depth=2
	v_cmp_ne_u16_e32 vcc, s53, v14
	v_bfrev_b32_e32 v0, 1
	s_and_saveexec_b64 s[78:79], vcc
	s_cbranch_execz .LBB6_515
; %bb.512:                              ;   in Loop: Header=BB6_128 Depth=2
	v_and_b32_e32 v1, 0x7f, v14
	v_cmp_ne_u32_e32 vcc, s51, v1
	v_mov_b32_e32 v0, 0x7f800001
	s_and_saveexec_b64 s[88:89], vcc
	s_cbranch_execz .LBB6_514
; %bb.513:                              ;   in Loop: Header=BB6_128 Depth=2
	v_and_b32_e32 v4, 7, v14
	v_ffbh_u32_e32 v0, v4
	v_min_u32_e32 v6, 32, v0
	v_subrev_u32_e32 v0, 28, v6
	v_lshrrev_b32_e32 v5, 3, v1
	v_cmp_gt_u32_e32 vcc, 8, v1
	v_lshlrev_b64 v[0:1], v0, v[14:15]
	v_sub_u32_e32 v1, 29, v6
	v_and_b32_e32 v0, 7, v0
	v_cndmask_b32_e32 v1, v5, v1, vcc
	v_cndmask_b32_e32 v0, v4, v0, vcc
	v_lshlrev_b32_e32 v4, 16, v10
	v_bfrev_b32_e32 v5, 60
	v_lshlrev_b32_e32 v0, 20, v0
	v_and_b32_e32 v4, 0x80000000, v4
	v_lshl_add_u32 v1, v1, 23, v5
	v_or3_b32 v0, v4, v1, v0
.LBB6_514:                              ;   in Loop: Header=BB6_128 Depth=2
	s_or_b64 exec, exec, s[88:89]
.LBB6_515:                              ;   in Loop: Header=BB6_128 Depth=2
	s_or_b64 exec, exec, s[78:79]
.LBB6_516:                              ;   in Loop: Header=BB6_128 Depth=2
	s_or_b64 exec, exec, s[20:21]
	v_mul_f32_e32 v1, v17, v0
	v_and_b32_e32 v52, 0x7f800000, v1
	v_cmp_ne_u64_e32 vcc, s[56:57], v[52:53]
                                        ; implicit-def: $vgpr0
                                        ; kill: killed $vgpr0
	s_and_saveexec_b64 s[20:21], vcc
	s_xor_b64 s[78:79], exec, s[20:21]
	s_cbranch_execz .LBB6_530
; %bb.517:                              ;   in Loop: Header=BB6_128 Depth=2
	v_and_b32_e32 v52, 0x7fffffff, v1
	v_cmp_gt_u64_e32 vcc, s[58:59], v[52:53]
	v_and_b32_sdwa v0, v1, s53 dst_sel:DWORD dst_unused:UNUSED_PAD src0_sel:BYTE_3 src1_sel:DWORD
                                        ; implicit-def: $vgpr4
                                        ; kill: killed $vgpr4
	s_and_saveexec_b64 s[20:21], vcc
	s_xor_b64 s[88:89], exec, s[20:21]
	s_cbranch_execz .LBB6_527
; %bb.518:                              ;   in Loop: Header=BB6_128 Depth=2
	v_mov_b32_e32 v4, 0
	v_cmp_ne_u32_e32 vcc, 0, v1
	buffer_store_dword v4, off, s[0:3], s33 offset:268 ; 4-byte Folded Spill
	s_and_saveexec_b64 s[90:91], vcc
	s_cbranch_execz .LBB6_526
; %bb.519:                              ;   in Loop: Header=BB6_128 Depth=2
	v_and_b32_e32 v5, 0x7fffff, v1
	v_bfe_u32 v1, v1, 23, 8
	v_cmp_gt_u32_e64 s[20:21], s54, v1
	v_sub_u32_e32 v4, 0x79, v1
	v_cmp_eq_u32_e32 vcc, 0, v1
	v_cndmask_b32_e64 v4, 0, v4, s[20:21]
	v_mov_b32_e32 v9, 0x78
	v_or_b32_e32 v6, 0x800000, v5
	v_cndmask_b32_e32 v4, v4, v9, vcc
	v_cndmask_b32_e32 v52, v6, v5, vcc
	v_add_u32_e32 v5, 20, v4
	v_lshlrev_b64 v[5:6], v5, -1
	v_add_u32_e32 v9, 19, v4
	v_lshlrev_b64 v[14:15], v9, 1
	v_bfi_b32 v6, v6, 0, 0
	v_bfi_b32 v5, v5, 0, v52
	v_cmp_eq_u64_e64 s[20:21], v[5:6], v[14:15]
	v_lshrrev_b64 v[14:15], v4, v[52:53]
	v_mov_b32_e32 v16, v15
	v_mov_b32_e32 v15, v14
	s_and_saveexec_b64 s[92:93], s[20:21]
; %bb.520:                              ;   in Loop: Header=BB6_128 Depth=2
	v_bfe_u32 v5, v14, 20, 1
	v_add_co_u32_e64 v5, s[20:21], v14, v5
	v_add_co_u32_e64 v15, s[20:21], -1, v5
; %bb.521:                              ;   in Loop: Header=BB6_128 Depth=2
	s_or_b64 exec, exec, s[92:93]
	v_add_u32_e32 v1, 0xffffff81, v1
	v_mov_b32_e32 v5, 0xffffff82
	v_cndmask_b32_e32 v1, v1, v5, vcc
	v_lshrrev_b32_e32 v5, 23, v14
	v_add3_u32 v5, v4, v1, v5
	v_add_u32_e32 v4, 6, v5
	v_and_b32_e32 v1, 0xfffff, v15
	v_add_u32_e32 v52, v1, v14
	v_cmp_ne_u32_e32 vcc, 0, v4
                                        ; implicit-def: $vgpr14_vgpr15
                                        ; implicit-def: $vgpr1
	s_and_saveexec_b64 s[20:21], vcc
	s_xor_b64 s[20:21], exec, s[20:21]
; %bb.522:                              ;   in Loop: Header=BB6_128 Depth=2
	v_cmp_lt_u64_e32 vcc, s[60:61], v[52:53]
	v_add_u32_e32 v1, 7, v5
	v_cndmask_b32_e32 v1, v4, v1, vcc
	v_cndmask_b32_e64 v4, 0, 1, vcc
	v_lshrrev_b64 v[14:15], v4, v[52:53]
; %bb.523:                              ;   in Loop: Header=BB6_128 Depth=2
	s_andn2_saveexec_b64 s[20:21], s[20:21]
; %bb.524:                              ;   in Loop: Header=BB6_128 Depth=2
	v_mov_b32_e32 v14, v52
	v_bfe_u32 v1, v52, 23, 1
	v_mov_b32_e32 v15, v53
; %bb.525:                              ;   in Loop: Header=BB6_128 Depth=2
	s_or_b64 exec, exec, s[20:21]
	v_lshrrev_b64 v[4:5], 20, v[14:15]
	v_cmp_gt_i32_e32 vcc, 16, v1
	v_cndmask_b32_e32 v5, 0, v5, vcc
	v_cndmask_b32_e32 v4, 7, v4, vcc
	v_cmp_eq_u32_e32 vcc, 0, v1
	v_min_i32_e32 v1, 15, v1
	v_cmp_eq_u64_e64 s[20:21], 0, v[4:5]
	v_lshlrev_b32_e32 v1, 3, v1
	v_and_b32_e32 v1, 0xf8, v1
	v_and_or_b32 v1, v4, 7, v1
	s_and_b64 s[20:21], vcc, s[20:21]
	v_cndmask_b32_e64 v1, v1, 0, s[20:21]
	v_or_b32_e32 v0, v1, v0
	buffer_store_dword v0, off, s[0:3], s33 offset:268 ; 4-byte Folded Spill
.LBB6_526:                              ;   in Loop: Header=BB6_128 Depth=2
	s_or_b64 exec, exec, s[90:91]
                                        ; implicit-def: $vgpr0
.LBB6_527:                              ;   in Loop: Header=BB6_128 Depth=2
	s_andn2_saveexec_b64 s[20:21], s[88:89]
	s_cbranch_execz .LBB6_529
; %bb.528:                              ;   in Loop: Header=BB6_128 Depth=2
	v_or_b32_e32 v0, 0x7e, v0
	buffer_store_dword v0, off, s[0:3], s33 offset:268 ; 4-byte Folded Spill
.LBB6_529:                              ;   in Loop: Header=BB6_128 Depth=2
	s_or_b64 exec, exec, s[20:21]
                                        ; implicit-def: $vgpr1
.LBB6_530:                              ;   in Loop: Header=BB6_128 Depth=2
	s_andn2_saveexec_b64 s[20:21], s[78:79]
	s_cbranch_execz .LBB6_532
; %bb.531:                              ;   in Loop: Header=BB6_128 Depth=2
	v_or_b32_sdwa v0, v1, s51 dst_sel:DWORD dst_unused:UNUSED_PAD src0_sel:BYTE_3 src1_sel:DWORD
	buffer_store_dword v0, off, s[0:3], s33 offset:268 ; 4-byte Folded Spill
.LBB6_532:                              ;   in Loop: Header=BB6_128 Depth=2
	s_or_b64 exec, exec, s[20:21]
	v_lshrrev_b32_e32 v14, 16, v10
	v_cmp_ne_u16_sdwa s[78:79], v14, v53 src0_sel:BYTE_0 src1_sel:DWORD
	v_mov_b32_e32 v0, 0
	s_and_saveexec_b64 s[20:21], s[78:79]
	s_cbranch_execz .LBB6_538
; %bb.533:                              ;   in Loop: Header=BB6_128 Depth=2
	v_cmp_ne_u16_sdwa s[88:89], v14, s53 src0_sel:BYTE_0 src1_sel:DWORD
	v_bfrev_b32_e32 v0, 1
	s_and_saveexec_b64 s[78:79], s[88:89]
	s_cbranch_execz .LBB6_537
; %bb.534:                              ;   in Loop: Header=BB6_128 Depth=2
	v_bfe_u32 v1, v10, 16, 7
	v_cmp_ne_u32_e32 vcc, s51, v1
	v_mov_b32_e32 v0, 0x7f800001
	s_and_saveexec_b64 s[88:89], vcc
	s_cbranch_execz .LBB6_536
; %bb.535:                              ;   in Loop: Header=BB6_128 Depth=2
	v_and_b32_e32 v4, 7, v14
	v_ffbh_u32_e32 v0, v4
	v_min_u32_e32 v6, 32, v0
	v_subrev_u32_e32 v0, 28, v6
	v_lshrrev_b32_e32 v5, 3, v1
	v_cmp_gt_u32_e32 vcc, 8, v1
	v_lshlrev_b64 v[0:1], v0, v[14:15]
	v_sub_u32_e32 v1, 29, v6
	v_and_b32_e32 v0, 7, v0
	v_cndmask_b32_e32 v1, v5, v1, vcc
	v_cndmask_b32_e32 v0, v4, v0, vcc
	v_lshlrev_b32_e32 v4, 24, v14
	v_bfrev_b32_e32 v5, 60
	v_lshlrev_b32_e32 v0, 20, v0
	v_and_b32_e32 v4, 0x80000000, v4
	v_lshl_add_u32 v1, v1, 23, v5
	v_or3_b32 v0, v4, v1, v0
.LBB6_536:                              ;   in Loop: Header=BB6_128 Depth=2
	s_or_b64 exec, exec, s[88:89]
.LBB6_537:                              ;   in Loop: Header=BB6_128 Depth=2
	s_or_b64 exec, exec, s[78:79]
.LBB6_538:                              ;   in Loop: Header=BB6_128 Depth=2
	s_or_b64 exec, exec, s[20:21]
	v_mul_f32_e32 v1, v17, v0
	v_and_b32_e32 v52, 0x7f800000, v1
	v_cmp_ne_u64_e32 vcc, s[56:57], v[52:53]
                                        ; implicit-def: $vgpr0
                                        ; kill: killed $vgpr0
	s_and_saveexec_b64 s[20:21], vcc
	s_xor_b64 s[78:79], exec, s[20:21]
	s_cbranch_execz .LBB6_552
; %bb.539:                              ;   in Loop: Header=BB6_128 Depth=2
	v_and_b32_e32 v52, 0x7fffffff, v1
	v_cmp_gt_u64_e32 vcc, s[58:59], v[52:53]
	v_and_b32_sdwa v0, v1, s53 dst_sel:DWORD dst_unused:UNUSED_PAD src0_sel:BYTE_3 src1_sel:DWORD
                                        ; implicit-def: $vgpr4
                                        ; kill: killed $vgpr4
	s_and_saveexec_b64 s[20:21], vcc
	s_xor_b64 s[88:89], exec, s[20:21]
	s_cbranch_execz .LBB6_549
; %bb.540:                              ;   in Loop: Header=BB6_128 Depth=2
	v_mov_b32_e32 v4, 0
	v_cmp_ne_u32_e32 vcc, 0, v1
	buffer_store_dword v4, off, s[0:3], s33 offset:288 ; 4-byte Folded Spill
	s_and_saveexec_b64 s[90:91], vcc
	s_cbranch_execz .LBB6_548
; %bb.541:                              ;   in Loop: Header=BB6_128 Depth=2
	v_and_b32_e32 v5, 0x7fffff, v1
	v_bfe_u32 v1, v1, 23, 8
	v_cmp_gt_u32_e64 s[20:21], s54, v1
	v_sub_u32_e32 v4, 0x79, v1
	v_cmp_eq_u32_e32 vcc, 0, v1
	v_cndmask_b32_e64 v4, 0, v4, s[20:21]
	v_mov_b32_e32 v9, 0x78
	v_or_b32_e32 v6, 0x800000, v5
	v_cndmask_b32_e32 v4, v4, v9, vcc
	v_cndmask_b32_e32 v52, v6, v5, vcc
	v_add_u32_e32 v5, 20, v4
	v_lshlrev_b64 v[5:6], v5, -1
	v_add_u32_e32 v9, 19, v4
	v_lshlrev_b64 v[14:15], v9, 1
	v_bfi_b32 v6, v6, 0, 0
	v_bfi_b32 v5, v5, 0, v52
	v_cmp_eq_u64_e64 s[20:21], v[5:6], v[14:15]
	v_lshrrev_b64 v[14:15], v4, v[52:53]
	v_mov_b32_e32 v16, v15
	v_mov_b32_e32 v15, v14
	s_and_saveexec_b64 s[92:93], s[20:21]
; %bb.542:                              ;   in Loop: Header=BB6_128 Depth=2
	v_bfe_u32 v5, v14, 20, 1
	v_add_co_u32_e64 v5, s[20:21], v14, v5
	v_add_co_u32_e64 v15, s[20:21], -1, v5
; %bb.543:                              ;   in Loop: Header=BB6_128 Depth=2
	s_or_b64 exec, exec, s[92:93]
	v_add_u32_e32 v1, 0xffffff81, v1
	v_mov_b32_e32 v5, 0xffffff82
	v_cndmask_b32_e32 v1, v1, v5, vcc
	v_lshrrev_b32_e32 v5, 23, v14
	v_add3_u32 v5, v4, v1, v5
	v_add_u32_e32 v4, 6, v5
	v_and_b32_e32 v1, 0xfffff, v15
	v_add_u32_e32 v52, v1, v14
	v_cmp_ne_u32_e32 vcc, 0, v4
                                        ; implicit-def: $vgpr14_vgpr15
                                        ; implicit-def: $vgpr1
	s_and_saveexec_b64 s[20:21], vcc
	s_xor_b64 s[20:21], exec, s[20:21]
; %bb.544:                              ;   in Loop: Header=BB6_128 Depth=2
	v_cmp_lt_u64_e32 vcc, s[60:61], v[52:53]
	v_add_u32_e32 v1, 7, v5
	v_cndmask_b32_e32 v1, v4, v1, vcc
	v_cndmask_b32_e64 v4, 0, 1, vcc
	v_lshrrev_b64 v[14:15], v4, v[52:53]
; %bb.545:                              ;   in Loop: Header=BB6_128 Depth=2
	s_andn2_saveexec_b64 s[20:21], s[20:21]
; %bb.546:                              ;   in Loop: Header=BB6_128 Depth=2
	v_mov_b32_e32 v14, v52
	v_bfe_u32 v1, v52, 23, 1
	v_mov_b32_e32 v15, v53
; %bb.547:                              ;   in Loop: Header=BB6_128 Depth=2
	s_or_b64 exec, exec, s[20:21]
	v_lshrrev_b64 v[4:5], 20, v[14:15]
	v_cmp_gt_i32_e32 vcc, 16, v1
	v_cndmask_b32_e32 v5, 0, v5, vcc
	v_cndmask_b32_e32 v4, 7, v4, vcc
	v_cmp_eq_u32_e32 vcc, 0, v1
	v_min_i32_e32 v1, 15, v1
	v_cmp_eq_u64_e64 s[20:21], 0, v[4:5]
	v_lshlrev_b32_e32 v1, 3, v1
	v_and_b32_e32 v1, 0xf8, v1
	v_and_or_b32 v1, v4, 7, v1
	s_and_b64 s[20:21], vcc, s[20:21]
	v_cndmask_b32_e64 v1, v1, 0, s[20:21]
	v_or_b32_e32 v0, v1, v0
	buffer_store_dword v0, off, s[0:3], s33 offset:288 ; 4-byte Folded Spill
.LBB6_548:                              ;   in Loop: Header=BB6_128 Depth=2
	s_or_b64 exec, exec, s[90:91]
                                        ; implicit-def: $vgpr0
.LBB6_549:                              ;   in Loop: Header=BB6_128 Depth=2
	s_andn2_saveexec_b64 s[20:21], s[88:89]
	s_cbranch_execz .LBB6_551
; %bb.550:                              ;   in Loop: Header=BB6_128 Depth=2
	v_or_b32_e32 v0, 0x7e, v0
	buffer_store_dword v0, off, s[0:3], s33 offset:288 ; 4-byte Folded Spill
.LBB6_551:                              ;   in Loop: Header=BB6_128 Depth=2
	s_or_b64 exec, exec, s[20:21]
                                        ; implicit-def: $vgpr1
.LBB6_552:                              ;   in Loop: Header=BB6_128 Depth=2
	s_andn2_saveexec_b64 s[20:21], s[78:79]
	s_cbranch_execz .LBB6_554
; %bb.553:                              ;   in Loop: Header=BB6_128 Depth=2
	v_or_b32_sdwa v0, v1, s51 dst_sel:DWORD dst_unused:UNUSED_PAD src0_sel:BYTE_3 src1_sel:DWORD
	buffer_store_dword v0, off, s[0:3], s33 offset:288 ; 4-byte Folded Spill
.LBB6_554:                              ;   in Loop: Header=BB6_128 Depth=2
	s_or_b64 exec, exec, s[20:21]
	v_cmp_lt_u32_e32 vcc, s63, v10
	v_mov_b32_e32 v0, 0
	s_and_saveexec_b64 s[20:21], vcc
	s_cbranch_execz .LBB6_560
; %bb.555:                              ;   in Loop: Header=BB6_128 Depth=2
	v_lshrrev_b32_e32 v14, 24, v10
	v_cmp_ne_u32_e32 vcc, s53, v14
	v_bfrev_b32_e32 v0, 1
	s_and_saveexec_b64 s[78:79], vcc
	s_cbranch_execz .LBB6_559
; %bb.556:                              ;   in Loop: Header=BB6_128 Depth=2
	v_bfe_u32 v1, v10, 24, 7
	v_cmp_ne_u32_e32 vcc, s51, v1
	v_mov_b32_e32 v0, 0x7f800001
	s_and_saveexec_b64 s[88:89], vcc
	s_cbranch_execz .LBB6_558
; %bb.557:                              ;   in Loop: Header=BB6_128 Depth=2
	v_and_b32_e32 v4, 7, v14
	v_ffbh_u32_e32 v0, v4
	v_min_u32_e32 v6, 32, v0
	v_subrev_u32_e32 v0, 28, v6
	v_lshrrev_b32_e32 v5, 3, v1
	v_cmp_gt_u32_e32 vcc, 8, v1
	v_lshlrev_b64 v[0:1], v0, v[14:15]
	v_sub_u32_e32 v1, 29, v6
	v_and_b32_e32 v0, 7, v0
	v_cndmask_b32_e32 v1, v5, v1, vcc
	v_cndmask_b32_e32 v0, v4, v0, vcc
	v_lshlrev_b32_e32 v4, 24, v14
	v_bfrev_b32_e32 v5, 60
	v_lshlrev_b32_e32 v0, 20, v0
	v_and_b32_e32 v4, 0x80000000, v4
	v_lshl_add_u32 v1, v1, 23, v5
	v_or3_b32 v0, v4, v1, v0
.LBB6_558:                              ;   in Loop: Header=BB6_128 Depth=2
	s_or_b64 exec, exec, s[88:89]
.LBB6_559:                              ;   in Loop: Header=BB6_128 Depth=2
	s_or_b64 exec, exec, s[78:79]
.LBB6_560:                              ;   in Loop: Header=BB6_128 Depth=2
	s_or_b64 exec, exec, s[20:21]
	v_mul_f32_e32 v1, v17, v0
	v_and_b32_e32 v52, 0x7f800000, v1
	v_cmp_ne_u64_e32 vcc, s[56:57], v[52:53]
                                        ; implicit-def: $vgpr31
	s_and_saveexec_b64 s[20:21], vcc
	s_xor_b64 s[78:79], exec, s[20:21]
	s_cbranch_execz .LBB6_574
; %bb.561:                              ;   in Loop: Header=BB6_128 Depth=2
	v_and_b32_e32 v52, 0x7fffffff, v1
	v_cmp_gt_u64_e32 vcc, s[58:59], v[52:53]
	v_and_b32_sdwa v0, v1, s53 dst_sel:DWORD dst_unused:UNUSED_PAD src0_sel:BYTE_3 src1_sel:DWORD
                                        ; implicit-def: $vgpr31
	s_and_saveexec_b64 s[20:21], vcc
	s_xor_b64 s[88:89], exec, s[20:21]
	s_cbranch_execz .LBB6_571
; %bb.562:                              ;   in Loop: Header=BB6_128 Depth=2
	v_mov_b32_e32 v31, 0
	v_cmp_ne_u32_e32 vcc, 0, v1
	s_and_saveexec_b64 s[90:91], vcc
	s_cbranch_execz .LBB6_570
; %bb.563:                              ;   in Loop: Header=BB6_128 Depth=2
	v_and_b32_e32 v5, 0x7fffff, v1
	v_bfe_u32 v1, v1, 23, 8
	v_cmp_gt_u32_e64 s[20:21], s54, v1
	v_sub_u32_e32 v4, 0x79, v1
	v_cmp_eq_u32_e32 vcc, 0, v1
	v_cndmask_b32_e64 v4, 0, v4, s[20:21]
	v_mov_b32_e32 v9, 0x78
	v_or_b32_e32 v6, 0x800000, v5
	v_cndmask_b32_e32 v4, v4, v9, vcc
	v_cndmask_b32_e32 v52, v6, v5, vcc
	v_add_u32_e32 v5, 20, v4
	v_lshlrev_b64 v[5:6], v5, -1
	v_add_u32_e32 v9, 19, v4
	v_lshlrev_b64 v[14:15], v9, 1
	v_bfi_b32 v6, v6, 0, 0
	v_bfi_b32 v5, v5, 0, v52
	v_cmp_eq_u64_e64 s[20:21], v[5:6], v[14:15]
	v_lshrrev_b64 v[14:15], v4, v[52:53]
	v_mov_b32_e32 v16, v15
	v_mov_b32_e32 v15, v14
	s_and_saveexec_b64 s[92:93], s[20:21]
; %bb.564:                              ;   in Loop: Header=BB6_128 Depth=2
	v_bfe_u32 v5, v14, 20, 1
	v_add_co_u32_e64 v5, s[20:21], v14, v5
	v_add_co_u32_e64 v15, s[20:21], -1, v5
; %bb.565:                              ;   in Loop: Header=BB6_128 Depth=2
	s_or_b64 exec, exec, s[92:93]
	v_add_u32_e32 v1, 0xffffff81, v1
	v_mov_b32_e32 v5, 0xffffff82
	v_cndmask_b32_e32 v1, v1, v5, vcc
	v_lshrrev_b32_e32 v5, 23, v14
	v_add3_u32 v5, v4, v1, v5
	v_add_u32_e32 v4, 6, v5
	v_and_b32_e32 v1, 0xfffff, v15
	v_add_u32_e32 v52, v1, v14
	v_cmp_ne_u32_e32 vcc, 0, v4
                                        ; implicit-def: $vgpr14_vgpr15
                                        ; implicit-def: $vgpr1
	s_and_saveexec_b64 s[20:21], vcc
	s_xor_b64 s[20:21], exec, s[20:21]
; %bb.566:                              ;   in Loop: Header=BB6_128 Depth=2
	v_cmp_lt_u64_e32 vcc, s[60:61], v[52:53]
	v_add_u32_e32 v1, 7, v5
	v_cndmask_b32_e32 v1, v4, v1, vcc
	v_cndmask_b32_e64 v4, 0, 1, vcc
	v_lshrrev_b64 v[14:15], v4, v[52:53]
; %bb.567:                              ;   in Loop: Header=BB6_128 Depth=2
	s_andn2_saveexec_b64 s[20:21], s[20:21]
; %bb.568:                              ;   in Loop: Header=BB6_128 Depth=2
	v_mov_b32_e32 v14, v52
	v_bfe_u32 v1, v52, 23, 1
	v_mov_b32_e32 v15, v53
; %bb.569:                              ;   in Loop: Header=BB6_128 Depth=2
	s_or_b64 exec, exec, s[20:21]
	v_lshrrev_b64 v[4:5], 20, v[14:15]
	v_cmp_gt_i32_e32 vcc, 16, v1
	v_cndmask_b32_e32 v5, 0, v5, vcc
	v_cndmask_b32_e32 v4, 7, v4, vcc
	v_cmp_eq_u32_e32 vcc, 0, v1
	v_min_i32_e32 v1, 15, v1
	v_cmp_eq_u64_e64 s[20:21], 0, v[4:5]
	v_lshlrev_b32_e32 v1, 3, v1
	v_and_b32_e32 v1, 0xf8, v1
	v_and_or_b32 v1, v4, 7, v1
	s_and_b64 s[20:21], vcc, s[20:21]
	v_cndmask_b32_e64 v1, v1, 0, s[20:21]
	v_or_b32_e32 v31, v1, v0
.LBB6_570:                              ;   in Loop: Header=BB6_128 Depth=2
	s_or_b64 exec, exec, s[90:91]
                                        ; implicit-def: $vgpr0
.LBB6_571:                              ;   in Loop: Header=BB6_128 Depth=2
	s_andn2_saveexec_b64 s[20:21], s[88:89]
; %bb.572:                              ;   in Loop: Header=BB6_128 Depth=2
	v_or_b32_e32 v31, 0x7e, v0
; %bb.573:                              ;   in Loop: Header=BB6_128 Depth=2
	s_or_b64 exec, exec, s[20:21]
                                        ; implicit-def: $vgpr1
.LBB6_574:                              ;   in Loop: Header=BB6_128 Depth=2
	s_andn2_saveexec_b64 s[20:21], s[78:79]
; %bb.575:                              ;   in Loop: Header=BB6_128 Depth=2
	v_or_b32_sdwa v31, v1, s51 dst_sel:DWORD dst_unused:UNUSED_PAD src0_sel:BYTE_3 src1_sel:DWORD
; %bb.576:                              ;   in Loop: Header=BB6_128 Depth=2
	s_or_b64 exec, exec, s[20:21]
	v_mov_b32_e32 v52, v11
	v_cmp_ne_u16_sdwa s[78:79], v11, v53 src0_sel:BYTE_0 src1_sel:DWORD
	v_mov_b32_e32 v0, 0
	s_and_saveexec_b64 s[20:21], s[78:79]
	s_cbranch_execz .LBB6_582
; %bb.577:                              ;   in Loop: Header=BB6_128 Depth=2
	v_cmp_ne_u16_sdwa s[88:89], v11, s53 src0_sel:BYTE_0 src1_sel:DWORD
	v_bfrev_b32_e32 v0, 1
	s_and_saveexec_b64 s[78:79], s[88:89]
	s_cbranch_execz .LBB6_581
; %bb.578:                              ;   in Loop: Header=BB6_128 Depth=2
	v_and_b32_e32 v1, 0x7f, v11
	v_cmp_ne_u32_e32 vcc, s51, v1
	v_mov_b32_e32 v0, 0x7f800001
	s_and_saveexec_b64 s[88:89], vcc
	s_cbranch_execz .LBB6_580
; %bb.579:                              ;   in Loop: Header=BB6_128 Depth=2
	v_and_b32_e32 v0, 7, v11
	v_ffbh_u32_e32 v0, v0
	v_min_u32_e32 v0, 32, v0
	v_lshrrev_b32_e32 v4, 3, v1
	v_cmp_gt_u32_e32 vcc, 8, v1
	v_subrev_u32_e32 v1, 28, v0
	v_sub_u32_e32 v0, 29, v0
	v_cndmask_b32_e32 v4, v4, v0, vcc
	v_cndmask_b32_e32 v0, 0, v1, vcc
	v_lshlrev_b64 v[0:1], v0, v[52:53]
	v_lshlrev_b32_e32 v1, 24, v52
	v_lshlrev_b32_e32 v0, 20, v0
	v_bfrev_b32_e32 v5, 60
	v_and_b32_e32 v0, 0x700000, v0
	v_and_b32_e32 v1, 0x80000000, v1
	v_lshl_add_u32 v4, v4, 23, v5
	v_or3_b32 v0, v1, v4, v0
.LBB6_580:                              ;   in Loop: Header=BB6_128 Depth=2
	s_or_b64 exec, exec, s[88:89]
.LBB6_581:                              ;   in Loop: Header=BB6_128 Depth=2
	s_or_b64 exec, exec, s[78:79]
.LBB6_582:                              ;   in Loop: Header=BB6_128 Depth=2
	s_or_b64 exec, exec, s[20:21]
	v_mul_f32_e32 v1, v17, v0
	v_and_b32_e32 v4, 0x7f800000, v1
	v_mov_b32_e32 v5, v53
	v_cmp_ne_u64_e32 vcc, s[56:57], v[4:5]
                                        ; implicit-def: $vgpr44
	s_and_saveexec_b64 s[20:21], vcc
	s_xor_b64 s[78:79], exec, s[20:21]
	s_cbranch_execz .LBB6_596
; %bb.583:                              ;   in Loop: Header=BB6_128 Depth=2
	v_and_b32_e32 v4, 0x7fffffff, v1
	v_mov_b32_e32 v5, v53
	v_cmp_gt_u64_e32 vcc, s[58:59], v[4:5]
	v_and_b32_sdwa v0, v1, s53 dst_sel:DWORD dst_unused:UNUSED_PAD src0_sel:BYTE_3 src1_sel:DWORD
                                        ; implicit-def: $vgpr44
	s_and_saveexec_b64 s[20:21], vcc
	s_xor_b64 s[88:89], exec, s[20:21]
	s_cbranch_execz .LBB6_593
; %bb.584:                              ;   in Loop: Header=BB6_128 Depth=2
	v_mov_b32_e32 v44, 0
	v_cmp_ne_u32_e32 vcc, 0, v1
	s_and_saveexec_b64 s[90:91], vcc
	s_cbranch_execz .LBB6_592
; %bb.585:                              ;   in Loop: Header=BB6_128 Depth=2
	v_and_b32_e32 v5, 0x7fffff, v1
	v_bfe_u32 v1, v1, 23, 8
	v_cmp_gt_u32_e64 s[20:21], s54, v1
	v_sub_u32_e32 v4, 0x79, v1
	v_cmp_eq_u32_e32 vcc, 0, v1
	v_cndmask_b32_e64 v4, 0, v4, s[20:21]
	v_mov_b32_e32 v9, 0x78
	v_cndmask_b32_e32 v4, v4, v9, vcc
	v_add_u32_e32 v9, 20, v4
	v_or_b32_e32 v6, 0x800000, v5
	v_lshlrev_b64 v[14:15], v9, -1
	v_add_u32_e32 v9, 19, v4
	v_cndmask_b32_e32 v5, v6, v5, vcc
	v_lshlrev_b64 v[18:19], v9, 1
	v_mov_b32_e32 v6, v53
	v_bfi_b32 v15, v15, 0, 0
	v_bfi_b32 v14, v14, 0, v5
	v_cmp_eq_u64_e64 s[20:21], v[14:15], v[18:19]
	v_lshrrev_b64 v[14:15], v4, v[5:6]
	v_mov_b32_e32 v16, v15
	v_mov_b32_e32 v15, v14
	s_and_saveexec_b64 s[92:93], s[20:21]
; %bb.586:                              ;   in Loop: Header=BB6_128 Depth=2
	v_bfe_u32 v5, v14, 20, 1
	v_add_co_u32_e64 v5, s[20:21], v14, v5
	v_add_co_u32_e64 v15, s[20:21], -1, v5
; %bb.587:                              ;   in Loop: Header=BB6_128 Depth=2
	s_or_b64 exec, exec, s[92:93]
	v_add_u32_e32 v1, 0xffffff81, v1
	v_mov_b32_e32 v5, 0xffffff82
	v_cndmask_b32_e32 v1, v1, v5, vcc
	v_lshrrev_b32_e32 v5, 23, v14
	v_add3_u32 v5, v4, v1, v5
	v_add_u32_e32 v4, 6, v5
	v_and_b32_e32 v1, 0xfffff, v15
	v_add_u32_e32 v14, v1, v14
	v_mov_b32_e32 v15, v53
	v_cmp_ne_u32_e32 vcc, 0, v4
                                        ; implicit-def: $vgpr1
	s_and_saveexec_b64 s[20:21], vcc
	s_xor_b64 s[20:21], exec, s[20:21]
; %bb.588:                              ;   in Loop: Header=BB6_128 Depth=2
	v_cmp_lt_u64_e32 vcc, s[60:61], v[14:15]
	v_add_u32_e32 v1, 7, v5
	v_cndmask_b32_e32 v1, v4, v1, vcc
	v_cndmask_b32_e64 v4, 0, 1, vcc
	v_lshrrev_b64 v[14:15], v4, v[14:15]
; %bb.589:                              ;   in Loop: Header=BB6_128 Depth=2
	s_andn2_saveexec_b64 s[20:21], s[20:21]
; %bb.590:                              ;   in Loop: Header=BB6_128 Depth=2
	v_bfe_u32 v1, v14, 23, 1
; %bb.591:                              ;   in Loop: Header=BB6_128 Depth=2
	s_or_b64 exec, exec, s[20:21]
	v_lshrrev_b64 v[4:5], 20, v[14:15]
	v_cmp_gt_i32_e32 vcc, 16, v1
	v_cndmask_b32_e32 v5, 0, v5, vcc
	v_cndmask_b32_e32 v4, 7, v4, vcc
	v_cmp_eq_u32_e32 vcc, 0, v1
	v_min_i32_e32 v1, 15, v1
	v_cmp_eq_u64_e64 s[20:21], 0, v[4:5]
	v_lshlrev_b32_e32 v1, 3, v1
	v_and_b32_e32 v1, 0xf8, v1
	v_and_or_b32 v1, v4, 7, v1
	s_and_b64 s[20:21], vcc, s[20:21]
	v_cndmask_b32_e64 v1, v1, 0, s[20:21]
	v_or_b32_e32 v44, v1, v0
.LBB6_592:                              ;   in Loop: Header=BB6_128 Depth=2
	s_or_b64 exec, exec, s[90:91]
                                        ; implicit-def: $vgpr0
.LBB6_593:                              ;   in Loop: Header=BB6_128 Depth=2
	s_andn2_saveexec_b64 s[20:21], s[88:89]
; %bb.594:                              ;   in Loop: Header=BB6_128 Depth=2
	v_or_b32_e32 v44, 0x7e, v0
; %bb.595:                              ;   in Loop: Header=BB6_128 Depth=2
	s_or_b64 exec, exec, s[20:21]
                                        ; implicit-def: $vgpr1
.LBB6_596:                              ;   in Loop: Header=BB6_128 Depth=2
	s_andn2_saveexec_b64 s[20:21], s[78:79]
; %bb.597:                              ;   in Loop: Header=BB6_128 Depth=2
	v_or_b32_sdwa v44, v1, s51 dst_sel:DWORD dst_unused:UNUSED_PAD src0_sel:BYTE_3 src1_sel:DWORD
; %bb.598:                              ;   in Loop: Header=BB6_128 Depth=2
	s_or_b64 exec, exec, s[20:21]
	v_lshrrev_b16_e32 v14, 8, v52
	v_cmp_ne_u16_e32 vcc, 0, v14
	v_mov_b32_e32 v0, 0
	s_and_saveexec_b64 s[20:21], vcc
	s_cbranch_execz .LBB6_604
; %bb.599:                              ;   in Loop: Header=BB6_128 Depth=2
	v_cmp_ne_u16_e32 vcc, s53, v14
	v_bfrev_b32_e32 v0, 1
	s_and_saveexec_b64 s[78:79], vcc
	s_cbranch_execz .LBB6_603
; %bb.600:                              ;   in Loop: Header=BB6_128 Depth=2
	v_and_b32_e32 v1, 0x7f, v14
	v_cmp_ne_u32_e32 vcc, s51, v1
	v_mov_b32_e32 v0, 0x7f800001
	s_and_saveexec_b64 s[88:89], vcc
	s_cbranch_execz .LBB6_602
; %bb.601:                              ;   in Loop: Header=BB6_128 Depth=2
	v_and_b32_e32 v4, 7, v14
	v_ffbh_u32_e32 v0, v4
	v_min_u32_e32 v6, 32, v0
	v_subrev_u32_e32 v0, 28, v6
	v_lshrrev_b32_e32 v5, 3, v1
	v_cmp_gt_u32_e32 vcc, 8, v1
	v_lshlrev_b64 v[0:1], v0, v[14:15]
	v_sub_u32_e32 v1, 29, v6
	v_and_b32_e32 v0, 7, v0
	v_cndmask_b32_e32 v1, v5, v1, vcc
	v_cndmask_b32_e32 v0, v4, v0, vcc
	v_lshlrev_b32_e32 v4, 16, v52
	v_bfrev_b32_e32 v5, 60
	v_lshlrev_b32_e32 v0, 20, v0
	v_and_b32_e32 v4, 0x80000000, v4
	v_lshl_add_u32 v1, v1, 23, v5
	v_or3_b32 v0, v4, v1, v0
.LBB6_602:                              ;   in Loop: Header=BB6_128 Depth=2
	s_or_b64 exec, exec, s[88:89]
.LBB6_603:                              ;   in Loop: Header=BB6_128 Depth=2
	s_or_b64 exec, exec, s[78:79]
.LBB6_604:                              ;   in Loop: Header=BB6_128 Depth=2
	s_or_b64 exec, exec, s[20:21]
	v_mul_f32_e32 v1, v17, v0
	v_and_b32_e32 v52, 0x7f800000, v1
	v_cmp_ne_u64_e32 vcc, s[56:57], v[52:53]
                                        ; implicit-def: $vgpr45
	s_and_saveexec_b64 s[20:21], vcc
	s_xor_b64 s[78:79], exec, s[20:21]
	s_cbranch_execz .LBB6_618
; %bb.605:                              ;   in Loop: Header=BB6_128 Depth=2
	v_and_b32_e32 v52, 0x7fffffff, v1
	v_cmp_gt_u64_e32 vcc, s[58:59], v[52:53]
	v_and_b32_sdwa v0, v1, s53 dst_sel:DWORD dst_unused:UNUSED_PAD src0_sel:BYTE_3 src1_sel:DWORD
                                        ; implicit-def: $vgpr45
	s_and_saveexec_b64 s[20:21], vcc
	s_xor_b64 s[88:89], exec, s[20:21]
	s_cbranch_execz .LBB6_615
; %bb.606:                              ;   in Loop: Header=BB6_128 Depth=2
	v_mov_b32_e32 v45, 0
	v_cmp_ne_u32_e32 vcc, 0, v1
	s_and_saveexec_b64 s[90:91], vcc
	s_cbranch_execz .LBB6_614
; %bb.607:                              ;   in Loop: Header=BB6_128 Depth=2
	v_and_b32_e32 v5, 0x7fffff, v1
	v_bfe_u32 v1, v1, 23, 8
	v_cmp_gt_u32_e64 s[20:21], s54, v1
	v_sub_u32_e32 v4, 0x79, v1
	v_cmp_eq_u32_e32 vcc, 0, v1
	v_cndmask_b32_e64 v4, 0, v4, s[20:21]
	v_mov_b32_e32 v9, 0x78
	v_or_b32_e32 v6, 0x800000, v5
	v_cndmask_b32_e32 v4, v4, v9, vcc
	v_cndmask_b32_e32 v52, v6, v5, vcc
	v_add_u32_e32 v5, 20, v4
	v_lshlrev_b64 v[5:6], v5, -1
	v_add_u32_e32 v9, 19, v4
	v_lshlrev_b64 v[14:15], v9, 1
	v_bfi_b32 v6, v6, 0, 0
	v_bfi_b32 v5, v5, 0, v52
	v_cmp_eq_u64_e64 s[20:21], v[5:6], v[14:15]
	v_lshrrev_b64 v[14:15], v4, v[52:53]
	v_mov_b32_e32 v16, v15
	v_mov_b32_e32 v15, v14
	s_and_saveexec_b64 s[92:93], s[20:21]
; %bb.608:                              ;   in Loop: Header=BB6_128 Depth=2
	v_bfe_u32 v5, v14, 20, 1
	v_add_co_u32_e64 v5, s[20:21], v14, v5
	v_add_co_u32_e64 v15, s[20:21], -1, v5
; %bb.609:                              ;   in Loop: Header=BB6_128 Depth=2
	s_or_b64 exec, exec, s[92:93]
	v_add_u32_e32 v1, 0xffffff81, v1
	v_mov_b32_e32 v5, 0xffffff82
	v_cndmask_b32_e32 v1, v1, v5, vcc
	v_lshrrev_b32_e32 v5, 23, v14
	v_add3_u32 v5, v4, v1, v5
	v_add_u32_e32 v4, 6, v5
	v_and_b32_e32 v1, 0xfffff, v15
	v_add_u32_e32 v52, v1, v14
	v_cmp_ne_u32_e32 vcc, 0, v4
                                        ; implicit-def: $vgpr14_vgpr15
                                        ; implicit-def: $vgpr1
	s_and_saveexec_b64 s[20:21], vcc
	s_xor_b64 s[20:21], exec, s[20:21]
; %bb.610:                              ;   in Loop: Header=BB6_128 Depth=2
	v_cmp_lt_u64_e32 vcc, s[60:61], v[52:53]
	v_add_u32_e32 v1, 7, v5
	v_cndmask_b32_e32 v1, v4, v1, vcc
	v_cndmask_b32_e64 v4, 0, 1, vcc
	v_lshrrev_b64 v[14:15], v4, v[52:53]
; %bb.611:                              ;   in Loop: Header=BB6_128 Depth=2
	s_andn2_saveexec_b64 s[20:21], s[20:21]
; %bb.612:                              ;   in Loop: Header=BB6_128 Depth=2
	v_mov_b32_e32 v14, v52
	v_bfe_u32 v1, v52, 23, 1
	v_mov_b32_e32 v15, v53
; %bb.613:                              ;   in Loop: Header=BB6_128 Depth=2
	s_or_b64 exec, exec, s[20:21]
	v_lshrrev_b64 v[4:5], 20, v[14:15]
	v_cmp_gt_i32_e32 vcc, 16, v1
	v_cndmask_b32_e32 v5, 0, v5, vcc
	v_cndmask_b32_e32 v4, 7, v4, vcc
	v_cmp_eq_u32_e32 vcc, 0, v1
	v_min_i32_e32 v1, 15, v1
	v_cmp_eq_u64_e64 s[20:21], 0, v[4:5]
	v_lshlrev_b32_e32 v1, 3, v1
	v_and_b32_e32 v1, 0xf8, v1
	v_and_or_b32 v1, v4, 7, v1
	s_and_b64 s[20:21], vcc, s[20:21]
	v_cndmask_b32_e64 v1, v1, 0, s[20:21]
	v_or_b32_e32 v45, v1, v0
.LBB6_614:                              ;   in Loop: Header=BB6_128 Depth=2
	s_or_b64 exec, exec, s[90:91]
                                        ; implicit-def: $vgpr0
.LBB6_615:                              ;   in Loop: Header=BB6_128 Depth=2
	s_andn2_saveexec_b64 s[20:21], s[88:89]
; %bb.616:                              ;   in Loop: Header=BB6_128 Depth=2
	v_or_b32_e32 v45, 0x7e, v0
; %bb.617:                              ;   in Loop: Header=BB6_128 Depth=2
	s_or_b64 exec, exec, s[20:21]
                                        ; implicit-def: $vgpr1
.LBB6_618:                              ;   in Loop: Header=BB6_128 Depth=2
	s_andn2_saveexec_b64 s[20:21], s[78:79]
; %bb.619:                              ;   in Loop: Header=BB6_128 Depth=2
	v_or_b32_sdwa v45, v1, s51 dst_sel:DWORD dst_unused:UNUSED_PAD src0_sel:BYTE_3 src1_sel:DWORD
; %bb.620:                              ;   in Loop: Header=BB6_128 Depth=2
	s_or_b64 exec, exec, s[20:21]
	v_lshrrev_b32_e32 v14, 16, v11
	v_cmp_ne_u16_sdwa s[78:79], v14, v53 src0_sel:BYTE_0 src1_sel:DWORD
	v_mov_b32_e32 v0, 0
	s_and_saveexec_b64 s[20:21], s[78:79]
	s_cbranch_execz .LBB6_626
; %bb.621:                              ;   in Loop: Header=BB6_128 Depth=2
	v_cmp_ne_u16_sdwa s[88:89], v14, s53 src0_sel:BYTE_0 src1_sel:DWORD
	v_bfrev_b32_e32 v0, 1
	s_and_saveexec_b64 s[78:79], s[88:89]
	s_cbranch_execz .LBB6_625
; %bb.622:                              ;   in Loop: Header=BB6_128 Depth=2
	v_bfe_u32 v1, v11, 16, 7
	v_cmp_ne_u32_e32 vcc, s51, v1
	v_mov_b32_e32 v0, 0x7f800001
	s_and_saveexec_b64 s[88:89], vcc
	s_cbranch_execz .LBB6_624
; %bb.623:                              ;   in Loop: Header=BB6_128 Depth=2
	v_and_b32_e32 v4, 7, v14
	v_ffbh_u32_e32 v0, v4
	v_min_u32_e32 v6, 32, v0
	v_subrev_u32_e32 v0, 28, v6
	v_lshrrev_b32_e32 v5, 3, v1
	v_cmp_gt_u32_e32 vcc, 8, v1
	v_lshlrev_b64 v[0:1], v0, v[14:15]
	v_sub_u32_e32 v1, 29, v6
	v_and_b32_e32 v0, 7, v0
	v_cndmask_b32_e32 v1, v5, v1, vcc
	v_cndmask_b32_e32 v0, v4, v0, vcc
	v_lshlrev_b32_e32 v4, 24, v14
	v_bfrev_b32_e32 v5, 60
	v_lshlrev_b32_e32 v0, 20, v0
	v_and_b32_e32 v4, 0x80000000, v4
	v_lshl_add_u32 v1, v1, 23, v5
	v_or3_b32 v0, v4, v1, v0
.LBB6_624:                              ;   in Loop: Header=BB6_128 Depth=2
	s_or_b64 exec, exec, s[88:89]
.LBB6_625:                              ;   in Loop: Header=BB6_128 Depth=2
	s_or_b64 exec, exec, s[78:79]
.LBB6_626:                              ;   in Loop: Header=BB6_128 Depth=2
	s_or_b64 exec, exec, s[20:21]
	v_mul_f32_e32 v1, v17, v0
	v_and_b32_e32 v52, 0x7f800000, v1
	v_cmp_ne_u64_e32 vcc, s[56:57], v[52:53]
                                        ; implicit-def: $vgpr0
                                        ; kill: killed $vgpr0
	s_and_saveexec_b64 s[20:21], vcc
	s_xor_b64 s[78:79], exec, s[20:21]
	s_cbranch_execz .LBB6_640
; %bb.627:                              ;   in Loop: Header=BB6_128 Depth=2
	v_and_b32_e32 v52, 0x7fffffff, v1
	v_cmp_gt_u64_e32 vcc, s[58:59], v[52:53]
	v_and_b32_sdwa v0, v1, s53 dst_sel:DWORD dst_unused:UNUSED_PAD src0_sel:BYTE_3 src1_sel:DWORD
                                        ; implicit-def: $vgpr4
                                        ; kill: killed $vgpr4
	s_and_saveexec_b64 s[20:21], vcc
	s_xor_b64 s[88:89], exec, s[20:21]
	s_cbranch_execz .LBB6_637
; %bb.628:                              ;   in Loop: Header=BB6_128 Depth=2
	v_mov_b32_e32 v4, 0
	v_cmp_ne_u32_e32 vcc, 0, v1
	buffer_store_dword v4, off, s[0:3], s33 offset:272 ; 4-byte Folded Spill
	s_and_saveexec_b64 s[90:91], vcc
	s_cbranch_execz .LBB6_636
; %bb.629:                              ;   in Loop: Header=BB6_128 Depth=2
	v_and_b32_e32 v5, 0x7fffff, v1
	v_bfe_u32 v1, v1, 23, 8
	v_cmp_gt_u32_e64 s[20:21], s54, v1
	v_sub_u32_e32 v4, 0x79, v1
	v_cmp_eq_u32_e32 vcc, 0, v1
	v_cndmask_b32_e64 v4, 0, v4, s[20:21]
	v_mov_b32_e32 v9, 0x78
	v_or_b32_e32 v6, 0x800000, v5
	v_cndmask_b32_e32 v4, v4, v9, vcc
	v_cndmask_b32_e32 v52, v6, v5, vcc
	v_add_u32_e32 v5, 20, v4
	v_lshlrev_b64 v[5:6], v5, -1
	v_add_u32_e32 v9, 19, v4
	v_lshlrev_b64 v[14:15], v9, 1
	v_bfi_b32 v6, v6, 0, 0
	v_bfi_b32 v5, v5, 0, v52
	v_cmp_eq_u64_e64 s[20:21], v[5:6], v[14:15]
	v_lshrrev_b64 v[14:15], v4, v[52:53]
	v_mov_b32_e32 v16, v15
	v_mov_b32_e32 v15, v14
	s_and_saveexec_b64 s[92:93], s[20:21]
; %bb.630:                              ;   in Loop: Header=BB6_128 Depth=2
	v_bfe_u32 v5, v14, 20, 1
	v_add_co_u32_e64 v5, s[20:21], v14, v5
	v_add_co_u32_e64 v15, s[20:21], -1, v5
; %bb.631:                              ;   in Loop: Header=BB6_128 Depth=2
	s_or_b64 exec, exec, s[92:93]
	v_add_u32_e32 v1, 0xffffff81, v1
	v_mov_b32_e32 v5, 0xffffff82
	v_cndmask_b32_e32 v1, v1, v5, vcc
	v_lshrrev_b32_e32 v5, 23, v14
	v_add3_u32 v5, v4, v1, v5
	v_add_u32_e32 v4, 6, v5
	v_and_b32_e32 v1, 0xfffff, v15
	v_add_u32_e32 v52, v1, v14
	v_cmp_ne_u32_e32 vcc, 0, v4
                                        ; implicit-def: $vgpr14_vgpr15
                                        ; implicit-def: $vgpr1
	s_and_saveexec_b64 s[20:21], vcc
	s_xor_b64 s[20:21], exec, s[20:21]
; %bb.632:                              ;   in Loop: Header=BB6_128 Depth=2
	v_cmp_lt_u64_e32 vcc, s[60:61], v[52:53]
	v_add_u32_e32 v1, 7, v5
	v_cndmask_b32_e32 v1, v4, v1, vcc
	v_cndmask_b32_e64 v4, 0, 1, vcc
	v_lshrrev_b64 v[14:15], v4, v[52:53]
; %bb.633:                              ;   in Loop: Header=BB6_128 Depth=2
	s_andn2_saveexec_b64 s[20:21], s[20:21]
; %bb.634:                              ;   in Loop: Header=BB6_128 Depth=2
	v_mov_b32_e32 v14, v52
	v_bfe_u32 v1, v52, 23, 1
	v_mov_b32_e32 v15, v53
; %bb.635:                              ;   in Loop: Header=BB6_128 Depth=2
	s_or_b64 exec, exec, s[20:21]
	v_lshrrev_b64 v[4:5], 20, v[14:15]
	v_cmp_gt_i32_e32 vcc, 16, v1
	v_cndmask_b32_e32 v5, 0, v5, vcc
	v_cndmask_b32_e32 v4, 7, v4, vcc
	v_cmp_eq_u32_e32 vcc, 0, v1
	v_min_i32_e32 v1, 15, v1
	v_cmp_eq_u64_e64 s[20:21], 0, v[4:5]
	v_lshlrev_b32_e32 v1, 3, v1
	v_and_b32_e32 v1, 0xf8, v1
	v_and_or_b32 v1, v4, 7, v1
	s_and_b64 s[20:21], vcc, s[20:21]
	v_cndmask_b32_e64 v1, v1, 0, s[20:21]
	v_or_b32_e32 v0, v1, v0
	buffer_store_dword v0, off, s[0:3], s33 offset:272 ; 4-byte Folded Spill
.LBB6_636:                              ;   in Loop: Header=BB6_128 Depth=2
	s_or_b64 exec, exec, s[90:91]
                                        ; implicit-def: $vgpr0
.LBB6_637:                              ;   in Loop: Header=BB6_128 Depth=2
	s_andn2_saveexec_b64 s[20:21], s[88:89]
	s_cbranch_execz .LBB6_639
; %bb.638:                              ;   in Loop: Header=BB6_128 Depth=2
	v_or_b32_e32 v0, 0x7e, v0
	buffer_store_dword v0, off, s[0:3], s33 offset:272 ; 4-byte Folded Spill
.LBB6_639:                              ;   in Loop: Header=BB6_128 Depth=2
	s_or_b64 exec, exec, s[20:21]
                                        ; implicit-def: $vgpr1
.LBB6_640:                              ;   in Loop: Header=BB6_128 Depth=2
	s_andn2_saveexec_b64 s[20:21], s[78:79]
	s_cbranch_execz .LBB6_642
; %bb.641:                              ;   in Loop: Header=BB6_128 Depth=2
	v_or_b32_sdwa v0, v1, s51 dst_sel:DWORD dst_unused:UNUSED_PAD src0_sel:BYTE_3 src1_sel:DWORD
	buffer_store_dword v0, off, s[0:3], s33 offset:272 ; 4-byte Folded Spill
.LBB6_642:                              ;   in Loop: Header=BB6_128 Depth=2
	s_or_b64 exec, exec, s[20:21]
	v_cmp_lt_u64_e32 vcc, s[62:63], v[10:11]
	v_mov_b32_e32 v0, 0
	s_and_saveexec_b64 s[20:21], vcc
	s_cbranch_execz .LBB6_648
; %bb.643:                              ;   in Loop: Header=BB6_128 Depth=2
	v_lshrrev_b32_e32 v10, 24, v11
	v_cmp_ne_u32_e32 vcc, s53, v10
	v_bfrev_b32_e32 v0, 1
	s_and_saveexec_b64 s[78:79], vcc
	s_cbranch_execz .LBB6_647
; %bb.644:                              ;   in Loop: Header=BB6_128 Depth=2
	v_bfe_u32 v1, v11, 24, 7
	v_cmp_ne_u32_e32 vcc, s51, v1
	v_mov_b32_e32 v0, 0x7f800001
	s_and_saveexec_b64 s[88:89], vcc
	s_cbranch_execz .LBB6_646
; %bb.645:                              ;   in Loop: Header=BB6_128 Depth=2
	v_and_b32_e32 v4, 7, v10
	v_ffbh_u32_e32 v0, v4
	v_min_u32_e32 v6, 32, v0
	v_subrev_u32_e32 v0, 28, v6
	v_lshrrev_b32_e32 v5, 3, v1
	v_cmp_gt_u32_e32 vcc, 8, v1
	v_lshlrev_b64 v[0:1], v0, v[10:11]
	v_sub_u32_e32 v1, 29, v6
	v_and_b32_e32 v0, 7, v0
	v_cndmask_b32_e32 v1, v5, v1, vcc
	v_cndmask_b32_e32 v0, v4, v0, vcc
	v_lshlrev_b32_e32 v4, 24, v10
	v_bfrev_b32_e32 v5, 60
	v_lshlrev_b32_e32 v0, 20, v0
	v_and_b32_e32 v4, 0x80000000, v4
	v_lshl_add_u32 v1, v1, 23, v5
	v_or3_b32 v0, v4, v1, v0
.LBB6_646:                              ;   in Loop: Header=BB6_128 Depth=2
	s_or_b64 exec, exec, s[88:89]
.LBB6_647:                              ;   in Loop: Header=BB6_128 Depth=2
	s_or_b64 exec, exec, s[78:79]
.LBB6_648:                              ;   in Loop: Header=BB6_128 Depth=2
	s_or_b64 exec, exec, s[20:21]
	v_mul_f32_e32 v4, v17, v0
	v_and_b32_e32 v52, 0x7f800000, v4
	v_cmp_ne_u64_e32 vcc, s[56:57], v[52:53]
                                        ; implicit-def: $vgpr0
                                        ; kill: killed $vgpr0
	s_and_saveexec_b64 s[20:21], vcc
	s_xor_b64 s[78:79], exec, s[20:21]
	s_cbranch_execz .LBB6_662
; %bb.649:                              ;   in Loop: Header=BB6_128 Depth=2
	v_and_b32_e32 v52, 0x7fffffff, v4
	v_cmp_gt_u64_e32 vcc, s[58:59], v[52:53]
	v_and_b32_sdwa v0, v4, s53 dst_sel:DWORD dst_unused:UNUSED_PAD src0_sel:BYTE_3 src1_sel:DWORD
                                        ; implicit-def: $vgpr1
                                        ; kill: killed $vgpr1
	s_and_saveexec_b64 s[20:21], vcc
	s_xor_b64 s[88:89], exec, s[20:21]
	s_cbranch_execz .LBB6_659
; %bb.650:                              ;   in Loop: Header=BB6_128 Depth=2
	v_mov_b32_e32 v1, 0
	v_cmp_ne_u32_e32 vcc, 0, v4
	buffer_store_dword v1, off, s[0:3], s33 offset:292 ; 4-byte Folded Spill
	s_and_saveexec_b64 s[90:91], vcc
	s_cbranch_execz .LBB6_658
; %bb.651:                              ;   in Loop: Header=BB6_128 Depth=2
	v_bfe_u32 v1, v4, 23, 8
	v_and_b32_e32 v5, 0x7fffff, v4
	v_cmp_gt_u32_e64 s[20:21], s54, v1
	v_sub_u32_e32 v4, 0x79, v1
	v_cmp_eq_u32_e32 vcc, 0, v1
	v_cndmask_b32_e64 v4, 0, v4, s[20:21]
	v_mov_b32_e32 v9, 0x78
	v_or_b32_e32 v6, 0x800000, v5
	v_cndmask_b32_e32 v4, v4, v9, vcc
	v_cndmask_b32_e32 v52, v6, v5, vcc
	v_add_u32_e32 v5, 20, v4
	v_lshlrev_b64 v[5:6], v5, -1
	v_add_u32_e32 v9, 19, v4
	v_lshlrev_b64 v[9:10], v9, 1
	v_bfi_b32 v6, v6, 0, 0
	v_bfi_b32 v5, v5, 0, v52
	v_cmp_eq_u64_e64 s[20:21], v[5:6], v[9:10]
	v_lshrrev_b64 v[10:11], v4, v[52:53]
	v_mov_b32_e32 v15, v11
	v_mov_b32_e32 v14, v10
	s_and_saveexec_b64 s[92:93], s[20:21]
; %bb.652:                              ;   in Loop: Header=BB6_128 Depth=2
	v_bfe_u32 v5, v10, 20, 1
	v_add_co_u32_e64 v5, s[20:21], v10, v5
	v_add_co_u32_e64 v14, s[20:21], -1, v5
; %bb.653:                              ;   in Loop: Header=BB6_128 Depth=2
	s_or_b64 exec, exec, s[92:93]
	v_add_u32_e32 v1, 0xffffff81, v1
	v_mov_b32_e32 v5, 0xffffff82
	v_cndmask_b32_e32 v1, v1, v5, vcc
	v_lshrrev_b32_e32 v5, 23, v10
	v_add3_u32 v5, v4, v1, v5
	v_add_u32_e32 v4, 6, v5
	v_and_b32_e32 v1, 0xfffff, v14
	v_add_u32_e32 v52, v1, v10
	v_cmp_ne_u32_e32 vcc, 0, v4
                                        ; implicit-def: $vgpr10_vgpr11
                                        ; implicit-def: $vgpr1
	s_and_saveexec_b64 s[20:21], vcc
	s_xor_b64 s[20:21], exec, s[20:21]
; %bb.654:                              ;   in Loop: Header=BB6_128 Depth=2
	v_cmp_lt_u64_e32 vcc, s[60:61], v[52:53]
	v_add_u32_e32 v1, 7, v5
	v_cndmask_b32_e32 v1, v4, v1, vcc
	v_cndmask_b32_e64 v4, 0, 1, vcc
	v_lshrrev_b64 v[10:11], v4, v[52:53]
; %bb.655:                              ;   in Loop: Header=BB6_128 Depth=2
	s_andn2_saveexec_b64 s[20:21], s[20:21]
; %bb.656:                              ;   in Loop: Header=BB6_128 Depth=2
	v_mov_b32_e32 v10, v52
	v_bfe_u32 v1, v52, 23, 1
	v_mov_b32_e32 v11, v53
; %bb.657:                              ;   in Loop: Header=BB6_128 Depth=2
	s_or_b64 exec, exec, s[20:21]
	v_lshrrev_b64 v[4:5], 20, v[10:11]
	v_cmp_gt_i32_e32 vcc, 16, v1
	v_cndmask_b32_e32 v5, 0, v5, vcc
	v_cndmask_b32_e32 v4, 7, v4, vcc
	v_cmp_eq_u32_e32 vcc, 0, v1
	v_min_i32_e32 v1, 15, v1
	v_cmp_eq_u64_e64 s[20:21], 0, v[4:5]
	v_lshlrev_b32_e32 v1, 3, v1
	v_and_b32_e32 v1, 0xf8, v1
	v_and_or_b32 v1, v4, 7, v1
	s_and_b64 s[20:21], vcc, s[20:21]
	v_cndmask_b32_e64 v1, v1, 0, s[20:21]
	v_or_b32_e32 v0, v1, v0
	buffer_store_dword v0, off, s[0:3], s33 offset:292 ; 4-byte Folded Spill
.LBB6_658:                              ;   in Loop: Header=BB6_128 Depth=2
	s_or_b64 exec, exec, s[90:91]
                                        ; implicit-def: $vgpr0
.LBB6_659:                              ;   in Loop: Header=BB6_128 Depth=2
	s_andn2_saveexec_b64 s[20:21], s[88:89]
	s_cbranch_execz .LBB6_661
; %bb.660:                              ;   in Loop: Header=BB6_128 Depth=2
	v_or_b32_e32 v0, 0x7e, v0
	buffer_store_dword v0, off, s[0:3], s33 offset:292 ; 4-byte Folded Spill
.LBB6_661:                              ;   in Loop: Header=BB6_128 Depth=2
	s_or_b64 exec, exec, s[20:21]
                                        ; implicit-def: $vgpr4
.LBB6_662:                              ;   in Loop: Header=BB6_128 Depth=2
	s_andn2_saveexec_b64 s[20:21], s[78:79]
	s_cbranch_execz .LBB6_664
; %bb.663:                              ;   in Loop: Header=BB6_128 Depth=2
	v_or_b32_sdwa v0, v4, s51 dst_sel:DWORD dst_unused:UNUSED_PAD src0_sel:BYTE_3 src1_sel:DWORD
	buffer_store_dword v0, off, s[0:3], s33 offset:292 ; 4-byte Folded Spill
.LBB6_664:                              ;   in Loop: Header=BB6_128 Depth=2
	s_or_b64 exec, exec, s[20:21]
	v_cmp_ne_u16_sdwa s[78:79], v12, v53 src0_sel:BYTE_0 src1_sel:DWORD
	v_mov_b32_e32 v0, 0
	s_and_saveexec_b64 s[20:21], s[78:79]
	s_cbranch_execz .LBB6_670
; %bb.665:                              ;   in Loop: Header=BB6_128 Depth=2
	v_cmp_ne_u16_sdwa s[88:89], v12, s53 src0_sel:BYTE_0 src1_sel:DWORD
	v_bfrev_b32_e32 v0, 1
	s_and_saveexec_b64 s[78:79], s[88:89]
	s_cbranch_execz .LBB6_669
; %bb.666:                              ;   in Loop: Header=BB6_128 Depth=2
	v_and_b32_e32 v4, 0x7f, v12
	v_cmp_ne_u32_e32 vcc, s51, v4
	v_mov_b32_e32 v0, 0x7f800001
	s_and_saveexec_b64 s[88:89], vcc
	s_cbranch_execz .LBB6_668
; %bb.667:                              ;   in Loop: Header=BB6_128 Depth=2
	v_and_b32_e32 v0, 7, v12
	v_ffbh_u32_e32 v0, v0
	v_min_u32_e32 v0, 32, v0
	v_lshrrev_b32_e32 v5, 3, v4
	v_cmp_gt_u32_e32 vcc, 8, v4
	v_subrev_u32_e32 v4, 28, v0
	v_sub_u32_e32 v0, 29, v0
	v_cndmask_b32_e32 v4, 0, v4, vcc
	v_cndmask_b32_e32 v0, v5, v0, vcc
	v_lshlrev_b64 v[4:5], v4, v[12:13]
	v_lshlrev_b32_e32 v5, 24, v12
	v_lshlrev_b32_e32 v4, 20, v4
	v_bfrev_b32_e32 v1, 60
	v_and_b32_e32 v4, 0x700000, v4
	v_and_b32_e32 v5, 0x80000000, v5
	v_lshl_add_u32 v0, v0, 23, v1
	v_or3_b32 v0, v5, v0, v4
.LBB6_668:                              ;   in Loop: Header=BB6_128 Depth=2
	s_or_b64 exec, exec, s[88:89]
.LBB6_669:                              ;   in Loop: Header=BB6_128 Depth=2
	s_or_b64 exec, exec, s[78:79]
.LBB6_670:                              ;   in Loop: Header=BB6_128 Depth=2
	s_or_b64 exec, exec, s[20:21]
	v_mul_f32_e32 v4, v17, v0
	v_and_b32_e32 v52, 0x7f800000, v4
	v_cmp_ne_u64_e32 vcc, s[56:57], v[52:53]
                                        ; implicit-def: $vgpr48
	s_and_saveexec_b64 s[20:21], vcc
	s_xor_b64 s[78:79], exec, s[20:21]
	s_cbranch_execz .LBB6_684
; %bb.671:                              ;   in Loop: Header=BB6_128 Depth=2
	v_and_b32_e32 v52, 0x7fffffff, v4
	v_cmp_gt_u64_e32 vcc, s[58:59], v[52:53]
	v_and_b32_sdwa v0, v4, s53 dst_sel:DWORD dst_unused:UNUSED_PAD src0_sel:BYTE_3 src1_sel:DWORD
                                        ; implicit-def: $vgpr48
	s_and_saveexec_b64 s[20:21], vcc
	s_xor_b64 s[88:89], exec, s[20:21]
	s_cbranch_execz .LBB6_681
; %bb.672:                              ;   in Loop: Header=BB6_128 Depth=2
	v_mov_b32_e32 v48, 0
	v_cmp_ne_u32_e32 vcc, 0, v4
	s_and_saveexec_b64 s[90:91], vcc
	s_cbranch_execz .LBB6_680
; %bb.673:                              ;   in Loop: Header=BB6_128 Depth=2
	v_and_b32_e32 v6, 0x7fffff, v4
	v_bfe_u32 v4, v4, 23, 8
	v_cmp_gt_u32_e64 s[20:21], s54, v4
	v_sub_u32_e32 v5, 0x79, v4
	v_cmp_eq_u32_e32 vcc, 0, v4
	v_cndmask_b32_e64 v5, 0, v5, s[20:21]
	v_mov_b32_e32 v10, 0x78
	v_or_b32_e32 v9, 0x800000, v6
	v_cndmask_b32_e32 v5, v5, v10, vcc
	v_cndmask_b32_e32 v52, v9, v6, vcc
	v_add_u32_e32 v6, 20, v5
	v_lshlrev_b64 v[9:10], v6, -1
	v_add_u32_e32 v6, 19, v5
	v_lshlrev_b64 v[14:15], v6, 1
	v_bfi_b32 v10, v10, 0, 0
	v_bfi_b32 v9, v9, 0, v52
	v_cmp_eq_u64_e64 s[20:21], v[9:10], v[14:15]
	v_lshrrev_b64 v[10:11], v5, v[52:53]
	v_mov_b32_e32 v15, v11
	v_mov_b32_e32 v14, v10
	s_and_saveexec_b64 s[92:93], s[20:21]
; %bb.674:                              ;   in Loop: Header=BB6_128 Depth=2
	v_bfe_u32 v6, v10, 20, 1
	v_add_co_u32_e64 v6, s[20:21], v10, v6
	v_add_co_u32_e64 v14, s[20:21], -1, v6
; %bb.675:                              ;   in Loop: Header=BB6_128 Depth=2
	s_or_b64 exec, exec, s[92:93]
	v_add_u32_e32 v4, 0xffffff81, v4
	v_mov_b32_e32 v6, 0xffffff82
	v_cndmask_b32_e32 v4, v4, v6, vcc
	v_lshrrev_b32_e32 v6, 23, v10
	v_add3_u32 v6, v5, v4, v6
	v_add_u32_e32 v5, 6, v6
	v_and_b32_e32 v4, 0xfffff, v14
	v_add_u32_e32 v52, v4, v10
	v_cmp_ne_u32_e32 vcc, 0, v5
                                        ; implicit-def: $vgpr10_vgpr11
                                        ; implicit-def: $vgpr4
	s_and_saveexec_b64 s[20:21], vcc
	s_xor_b64 s[20:21], exec, s[20:21]
; %bb.676:                              ;   in Loop: Header=BB6_128 Depth=2
	v_cmp_lt_u64_e32 vcc, s[60:61], v[52:53]
	v_add_u32_e32 v4, 7, v6
	v_cndmask_b32_e32 v4, v5, v4, vcc
	v_cndmask_b32_e64 v5, 0, 1, vcc
	v_lshrrev_b64 v[10:11], v5, v[52:53]
; %bb.677:                              ;   in Loop: Header=BB6_128 Depth=2
	s_andn2_saveexec_b64 s[20:21], s[20:21]
; %bb.678:                              ;   in Loop: Header=BB6_128 Depth=2
	v_mov_b32_e32 v10, v52
	v_bfe_u32 v4, v52, 23, 1
	v_mov_b32_e32 v11, v53
; %bb.679:                              ;   in Loop: Header=BB6_128 Depth=2
	s_or_b64 exec, exec, s[20:21]
	v_lshrrev_b64 v[5:6], 20, v[10:11]
	v_cmp_gt_i32_e32 vcc, 16, v4
	v_cndmask_b32_e32 v6, 0, v6, vcc
	v_cndmask_b32_e32 v5, 7, v5, vcc
	v_cmp_eq_u32_e32 vcc, 0, v4
	v_min_i32_e32 v4, 15, v4
	v_cmp_eq_u64_e64 s[20:21], 0, v[5:6]
	v_lshlrev_b32_e32 v4, 3, v4
	v_and_b32_e32 v4, 0xf8, v4
	v_and_or_b32 v4, v5, 7, v4
	s_and_b64 s[20:21], vcc, s[20:21]
	v_cndmask_b32_e64 v4, v4, 0, s[20:21]
	v_or_b32_e32 v48, v4, v0
.LBB6_680:                              ;   in Loop: Header=BB6_128 Depth=2
	s_or_b64 exec, exec, s[90:91]
                                        ; implicit-def: $vgpr0
.LBB6_681:                              ;   in Loop: Header=BB6_128 Depth=2
	s_andn2_saveexec_b64 s[20:21], s[88:89]
; %bb.682:                              ;   in Loop: Header=BB6_128 Depth=2
	v_or_b32_e32 v48, 0x7e, v0
; %bb.683:                              ;   in Loop: Header=BB6_128 Depth=2
	s_or_b64 exec, exec, s[20:21]
                                        ; implicit-def: $vgpr4
.LBB6_684:                              ;   in Loop: Header=BB6_128 Depth=2
	s_andn2_saveexec_b64 s[20:21], s[78:79]
; %bb.685:                              ;   in Loop: Header=BB6_128 Depth=2
	v_or_b32_sdwa v48, v4, s51 dst_sel:DWORD dst_unused:UNUSED_PAD src0_sel:BYTE_3 src1_sel:DWORD
; %bb.686:                              ;   in Loop: Header=BB6_128 Depth=2
	s_or_b64 exec, exec, s[20:21]
	v_lshrrev_b16_e32 v10, 8, v12
	v_cmp_ne_u16_e32 vcc, 0, v10
	v_mov_b32_e32 v0, 0
	s_and_saveexec_b64 s[20:21], vcc
	s_cbranch_execz .LBB6_692
; %bb.687:                              ;   in Loop: Header=BB6_128 Depth=2
	v_cmp_ne_u16_e32 vcc, s53, v10
	v_bfrev_b32_e32 v0, 1
	s_and_saveexec_b64 s[78:79], vcc
	s_cbranch_execz .LBB6_691
; %bb.688:                              ;   in Loop: Header=BB6_128 Depth=2
	v_and_b32_e32 v4, 0x7f, v10
	v_cmp_ne_u32_e32 vcc, s51, v4
	v_mov_b32_e32 v0, 0x7f800001
	s_and_saveexec_b64 s[88:89], vcc
	s_cbranch_execz .LBB6_690
; %bb.689:                              ;   in Loop: Header=BB6_128 Depth=2
	v_and_b32_e32 v0, 7, v10
	v_lshrrev_b32_e32 v6, 3, v4
	v_cmp_gt_u32_e32 vcc, 8, v4
	v_ffbh_u32_e32 v4, v0
	v_min_u32_e32 v9, 32, v4
	v_subrev_u32_e32 v4, 28, v9
	v_lshlrev_b64 v[4:5], v4, v[10:11]
	v_sub_u32_e32 v5, 29, v9
	v_and_b32_e32 v4, 7, v4
	v_cndmask_b32_e32 v5, v6, v5, vcc
	v_cndmask_b32_e32 v0, v0, v4, vcc
	v_lshlrev_b32_e32 v4, 16, v12
	v_bfrev_b32_e32 v1, 60
	v_lshlrev_b32_e32 v0, 20, v0
	v_and_b32_e32 v4, 0x80000000, v4
	v_lshl_add_u32 v5, v5, 23, v1
	v_or3_b32 v0, v4, v5, v0
.LBB6_690:                              ;   in Loop: Header=BB6_128 Depth=2
	s_or_b64 exec, exec, s[88:89]
.LBB6_691:                              ;   in Loop: Header=BB6_128 Depth=2
	s_or_b64 exec, exec, s[78:79]
.LBB6_692:                              ;   in Loop: Header=BB6_128 Depth=2
	s_or_b64 exec, exec, s[20:21]
	v_mul_f32_e32 v4, v17, v0
	v_and_b32_e32 v52, 0x7f800000, v4
	v_cmp_ne_u64_e32 vcc, s[56:57], v[52:53]
                                        ; implicit-def: $vgpr43
	s_and_saveexec_b64 s[20:21], vcc
	s_xor_b64 s[78:79], exec, s[20:21]
	s_cbranch_execz .LBB6_706
; %bb.693:                              ;   in Loop: Header=BB6_128 Depth=2
	v_and_b32_e32 v52, 0x7fffffff, v4
	v_cmp_gt_u64_e32 vcc, s[58:59], v[52:53]
	v_and_b32_sdwa v0, v4, s53 dst_sel:DWORD dst_unused:UNUSED_PAD src0_sel:BYTE_3 src1_sel:DWORD
                                        ; implicit-def: $vgpr43
	s_and_saveexec_b64 s[20:21], vcc
	s_xor_b64 s[88:89], exec, s[20:21]
	s_cbranch_execz .LBB6_703
; %bb.694:                              ;   in Loop: Header=BB6_128 Depth=2
	v_mov_b32_e32 v43, 0
	v_cmp_ne_u32_e32 vcc, 0, v4
	s_and_saveexec_b64 s[90:91], vcc
	s_cbranch_execz .LBB6_702
; %bb.695:                              ;   in Loop: Header=BB6_128 Depth=2
	v_and_b32_e32 v6, 0x7fffff, v4
	v_bfe_u32 v4, v4, 23, 8
	v_cmp_gt_u32_e64 s[20:21], s54, v4
	v_sub_u32_e32 v5, 0x79, v4
	v_cmp_eq_u32_e32 vcc, 0, v4
	v_cndmask_b32_e64 v5, 0, v5, s[20:21]
	v_mov_b32_e32 v10, 0x78
	v_or_b32_e32 v9, 0x800000, v6
	v_cndmask_b32_e32 v5, v5, v10, vcc
	v_cndmask_b32_e32 v52, v9, v6, vcc
	v_add_u32_e32 v6, 20, v5
	v_lshlrev_b64 v[9:10], v6, -1
	v_add_u32_e32 v6, 19, v5
	v_lshlrev_b64 v[14:15], v6, 1
	v_bfi_b32 v10, v10, 0, 0
	v_bfi_b32 v9, v9, 0, v52
	v_cmp_eq_u64_e64 s[20:21], v[9:10], v[14:15]
	v_lshrrev_b64 v[10:11], v5, v[52:53]
	v_mov_b32_e32 v15, v11
	v_mov_b32_e32 v14, v10
	s_and_saveexec_b64 s[92:93], s[20:21]
; %bb.696:                              ;   in Loop: Header=BB6_128 Depth=2
	v_bfe_u32 v6, v10, 20, 1
	v_add_co_u32_e64 v6, s[20:21], v10, v6
	v_add_co_u32_e64 v14, s[20:21], -1, v6
; %bb.697:                              ;   in Loop: Header=BB6_128 Depth=2
	s_or_b64 exec, exec, s[92:93]
	v_add_u32_e32 v4, 0xffffff81, v4
	v_mov_b32_e32 v6, 0xffffff82
	v_cndmask_b32_e32 v4, v4, v6, vcc
	v_lshrrev_b32_e32 v6, 23, v10
	v_add3_u32 v6, v5, v4, v6
	v_add_u32_e32 v5, 6, v6
	v_and_b32_e32 v4, 0xfffff, v14
	v_add_u32_e32 v52, v4, v10
	v_cmp_ne_u32_e32 vcc, 0, v5
                                        ; implicit-def: $vgpr10_vgpr11
                                        ; implicit-def: $vgpr4
	s_and_saveexec_b64 s[20:21], vcc
	s_xor_b64 s[20:21], exec, s[20:21]
; %bb.698:                              ;   in Loop: Header=BB6_128 Depth=2
	v_cmp_lt_u64_e32 vcc, s[60:61], v[52:53]
	v_add_u32_e32 v4, 7, v6
	v_cndmask_b32_e32 v4, v5, v4, vcc
	v_cndmask_b32_e64 v5, 0, 1, vcc
	v_lshrrev_b64 v[10:11], v5, v[52:53]
; %bb.699:                              ;   in Loop: Header=BB6_128 Depth=2
	s_andn2_saveexec_b64 s[20:21], s[20:21]
; %bb.700:                              ;   in Loop: Header=BB6_128 Depth=2
	v_mov_b32_e32 v10, v52
	v_bfe_u32 v4, v52, 23, 1
	v_mov_b32_e32 v11, v53
; %bb.701:                              ;   in Loop: Header=BB6_128 Depth=2
	s_or_b64 exec, exec, s[20:21]
	v_lshrrev_b64 v[5:6], 20, v[10:11]
	v_cmp_gt_i32_e32 vcc, 16, v4
	v_cndmask_b32_e32 v6, 0, v6, vcc
	v_cndmask_b32_e32 v5, 7, v5, vcc
	v_cmp_eq_u32_e32 vcc, 0, v4
	v_min_i32_e32 v4, 15, v4
	v_cmp_eq_u64_e64 s[20:21], 0, v[5:6]
	v_lshlrev_b32_e32 v4, 3, v4
	v_and_b32_e32 v4, 0xf8, v4
	v_and_or_b32 v4, v5, 7, v4
	s_and_b64 s[20:21], vcc, s[20:21]
	v_cndmask_b32_e64 v4, v4, 0, s[20:21]
	v_or_b32_e32 v43, v4, v0
.LBB6_702:                              ;   in Loop: Header=BB6_128 Depth=2
	s_or_b64 exec, exec, s[90:91]
                                        ; implicit-def: $vgpr0
.LBB6_703:                              ;   in Loop: Header=BB6_128 Depth=2
	s_andn2_saveexec_b64 s[20:21], s[88:89]
; %bb.704:                              ;   in Loop: Header=BB6_128 Depth=2
	v_or_b32_e32 v43, 0x7e, v0
; %bb.705:                              ;   in Loop: Header=BB6_128 Depth=2
	s_or_b64 exec, exec, s[20:21]
                                        ; implicit-def: $vgpr4
.LBB6_706:                              ;   in Loop: Header=BB6_128 Depth=2
	s_andn2_saveexec_b64 s[20:21], s[78:79]
; %bb.707:                              ;   in Loop: Header=BB6_128 Depth=2
	v_or_b32_sdwa v43, v4, s51 dst_sel:DWORD dst_unused:UNUSED_PAD src0_sel:BYTE_3 src1_sel:DWORD
; %bb.708:                              ;   in Loop: Header=BB6_128 Depth=2
	s_or_b64 exec, exec, s[20:21]
	v_lshrrev_b32_e32 v10, 16, v12
	v_cmp_ne_u16_sdwa s[78:79], v10, v53 src0_sel:BYTE_0 src1_sel:DWORD
	v_mov_b32_e32 v0, 0
	s_and_saveexec_b64 s[20:21], s[78:79]
	s_cbranch_execz .LBB6_714
; %bb.709:                              ;   in Loop: Header=BB6_128 Depth=2
	v_cmp_ne_u16_sdwa s[88:89], v10, s53 src0_sel:BYTE_0 src1_sel:DWORD
	v_bfrev_b32_e32 v0, 1
	s_and_saveexec_b64 s[78:79], s[88:89]
	s_cbranch_execz .LBB6_713
; %bb.710:                              ;   in Loop: Header=BB6_128 Depth=2
	v_bfe_u32 v4, v12, 16, 7
	v_cmp_ne_u32_e32 vcc, s51, v4
	v_mov_b32_e32 v0, 0x7f800001
	s_and_saveexec_b64 s[88:89], vcc
	s_cbranch_execz .LBB6_712
; %bb.711:                              ;   in Loop: Header=BB6_128 Depth=2
	v_and_b32_e32 v0, 7, v10
	v_lshrrev_b32_e32 v6, 3, v4
	v_cmp_gt_u32_e32 vcc, 8, v4
	v_ffbh_u32_e32 v4, v0
	v_min_u32_e32 v9, 32, v4
	v_subrev_u32_e32 v4, 28, v9
	v_lshlrev_b64 v[4:5], v4, v[10:11]
	v_sub_u32_e32 v5, 29, v9
	v_and_b32_e32 v4, 7, v4
	v_cndmask_b32_e32 v5, v6, v5, vcc
	v_cndmask_b32_e32 v0, v0, v4, vcc
	v_lshlrev_b32_e32 v4, 24, v10
	v_bfrev_b32_e32 v1, 60
	v_lshlrev_b32_e32 v0, 20, v0
	v_and_b32_e32 v4, 0x80000000, v4
	v_lshl_add_u32 v5, v5, 23, v1
	v_or3_b32 v0, v4, v5, v0
.LBB6_712:                              ;   in Loop: Header=BB6_128 Depth=2
	s_or_b64 exec, exec, s[88:89]
.LBB6_713:                              ;   in Loop: Header=BB6_128 Depth=2
	s_or_b64 exec, exec, s[78:79]
.LBB6_714:                              ;   in Loop: Header=BB6_128 Depth=2
	s_or_b64 exec, exec, s[20:21]
	v_mul_f32_e32 v4, v17, v0
	v_and_b32_e32 v52, 0x7f800000, v4
	v_cmp_ne_u64_e32 vcc, s[56:57], v[52:53]
                                        ; implicit-def: $vgpr0
                                        ; kill: killed $vgpr0
	s_and_saveexec_b64 s[20:21], vcc
	s_xor_b64 s[78:79], exec, s[20:21]
	s_cbranch_execz .LBB6_728
; %bb.715:                              ;   in Loop: Header=BB6_128 Depth=2
	v_and_b32_e32 v52, 0x7fffffff, v4
	v_cmp_gt_u64_e32 vcc, s[58:59], v[52:53]
	v_and_b32_sdwa v0, v4, s53 dst_sel:DWORD dst_unused:UNUSED_PAD src0_sel:BYTE_3 src1_sel:DWORD
                                        ; implicit-def: $vgpr1
                                        ; kill: killed $vgpr1
	s_and_saveexec_b64 s[20:21], vcc
	s_xor_b64 s[88:89], exec, s[20:21]
	s_cbranch_execz .LBB6_725
; %bb.716:                              ;   in Loop: Header=BB6_128 Depth=2
	v_mov_b32_e32 v1, 0
	v_cmp_ne_u32_e32 vcc, 0, v4
	buffer_store_dword v1, off, s[0:3], s33 offset:260 ; 4-byte Folded Spill
	s_and_saveexec_b64 s[90:91], vcc
	s_cbranch_execz .LBB6_724
; %bb.717:                              ;   in Loop: Header=BB6_128 Depth=2
	v_and_b32_e32 v6, 0x7fffff, v4
	v_bfe_u32 v4, v4, 23, 8
	v_cmp_gt_u32_e64 s[20:21], s54, v4
	v_sub_u32_e32 v5, 0x79, v4
	v_cmp_eq_u32_e32 vcc, 0, v4
	v_cndmask_b32_e64 v5, 0, v5, s[20:21]
	v_mov_b32_e32 v10, 0x78
	v_or_b32_e32 v9, 0x800000, v6
	v_cndmask_b32_e32 v5, v5, v10, vcc
	v_cndmask_b32_e32 v52, v9, v6, vcc
	v_add_u32_e32 v6, 20, v5
	v_lshlrev_b64 v[9:10], v6, -1
	v_add_u32_e32 v6, 19, v5
	v_lshlrev_b64 v[14:15], v6, 1
	v_bfi_b32 v10, v10, 0, 0
	v_bfi_b32 v9, v9, 0, v52
	v_cmp_eq_u64_e64 s[20:21], v[9:10], v[14:15]
	v_lshrrev_b64 v[10:11], v5, v[52:53]
	v_mov_b32_e32 v15, v11
	v_mov_b32_e32 v14, v10
	s_and_saveexec_b64 s[92:93], s[20:21]
; %bb.718:                              ;   in Loop: Header=BB6_128 Depth=2
	v_bfe_u32 v6, v10, 20, 1
	v_add_co_u32_e64 v6, s[20:21], v10, v6
	v_add_co_u32_e64 v14, s[20:21], -1, v6
; %bb.719:                              ;   in Loop: Header=BB6_128 Depth=2
	s_or_b64 exec, exec, s[92:93]
	v_add_u32_e32 v4, 0xffffff81, v4
	v_mov_b32_e32 v6, 0xffffff82
	v_cndmask_b32_e32 v4, v4, v6, vcc
	v_lshrrev_b32_e32 v6, 23, v10
	v_add3_u32 v6, v5, v4, v6
	v_add_u32_e32 v5, 6, v6
	v_and_b32_e32 v4, 0xfffff, v14
	v_add_u32_e32 v52, v4, v10
	v_cmp_ne_u32_e32 vcc, 0, v5
                                        ; implicit-def: $vgpr10_vgpr11
                                        ; implicit-def: $vgpr4
	s_and_saveexec_b64 s[20:21], vcc
	s_xor_b64 s[20:21], exec, s[20:21]
; %bb.720:                              ;   in Loop: Header=BB6_128 Depth=2
	v_cmp_lt_u64_e32 vcc, s[60:61], v[52:53]
	v_add_u32_e32 v4, 7, v6
	v_cndmask_b32_e32 v4, v5, v4, vcc
	v_cndmask_b32_e64 v5, 0, 1, vcc
	v_lshrrev_b64 v[10:11], v5, v[52:53]
; %bb.721:                              ;   in Loop: Header=BB6_128 Depth=2
	s_andn2_saveexec_b64 s[20:21], s[20:21]
; %bb.722:                              ;   in Loop: Header=BB6_128 Depth=2
	v_mov_b32_e32 v10, v52
	v_bfe_u32 v4, v52, 23, 1
	v_mov_b32_e32 v11, v53
; %bb.723:                              ;   in Loop: Header=BB6_128 Depth=2
	s_or_b64 exec, exec, s[20:21]
	v_lshrrev_b64 v[5:6], 20, v[10:11]
	v_cmp_gt_i32_e32 vcc, 16, v4
	v_cndmask_b32_e32 v6, 0, v6, vcc
	v_cndmask_b32_e32 v5, 7, v5, vcc
	v_cmp_eq_u32_e32 vcc, 0, v4
	v_min_i32_e32 v4, 15, v4
	v_cmp_eq_u64_e64 s[20:21], 0, v[5:6]
	v_lshlrev_b32_e32 v4, 3, v4
	v_and_b32_e32 v4, 0xf8, v4
	v_and_or_b32 v4, v5, 7, v4
	s_and_b64 s[20:21], vcc, s[20:21]
	v_cndmask_b32_e64 v4, v4, 0, s[20:21]
	v_or_b32_e32 v0, v4, v0
	buffer_store_dword v0, off, s[0:3], s33 offset:260 ; 4-byte Folded Spill
.LBB6_724:                              ;   in Loop: Header=BB6_128 Depth=2
	s_or_b64 exec, exec, s[90:91]
                                        ; implicit-def: $vgpr0
.LBB6_725:                              ;   in Loop: Header=BB6_128 Depth=2
	s_andn2_saveexec_b64 s[20:21], s[88:89]
	s_cbranch_execz .LBB6_727
; %bb.726:                              ;   in Loop: Header=BB6_128 Depth=2
	v_or_b32_e32 v0, 0x7e, v0
	buffer_store_dword v0, off, s[0:3], s33 offset:260 ; 4-byte Folded Spill
.LBB6_727:                              ;   in Loop: Header=BB6_128 Depth=2
	s_or_b64 exec, exec, s[20:21]
                                        ; implicit-def: $vgpr4
.LBB6_728:                              ;   in Loop: Header=BB6_128 Depth=2
	s_andn2_saveexec_b64 s[20:21], s[78:79]
	s_cbranch_execz .LBB6_730
; %bb.729:                              ;   in Loop: Header=BB6_128 Depth=2
	v_or_b32_sdwa v0, v4, s51 dst_sel:DWORD dst_unused:UNUSED_PAD src0_sel:BYTE_3 src1_sel:DWORD
	buffer_store_dword v0, off, s[0:3], s33 offset:260 ; 4-byte Folded Spill
.LBB6_730:                              ;   in Loop: Header=BB6_128 Depth=2
	s_or_b64 exec, exec, s[20:21]
	v_cmp_lt_u32_e32 vcc, s63, v12
	v_mov_b32_e32 v0, 0
	s_and_saveexec_b64 s[20:21], vcc
	s_cbranch_execz .LBB6_736
; %bb.731:                              ;   in Loop: Header=BB6_128 Depth=2
	v_lshrrev_b32_e32 v10, 24, v12
	v_cmp_ne_u32_e32 vcc, s53, v10
	v_bfrev_b32_e32 v0, 1
	s_and_saveexec_b64 s[78:79], vcc
	s_cbranch_execz .LBB6_735
; %bb.732:                              ;   in Loop: Header=BB6_128 Depth=2
	v_bfe_u32 v4, v12, 24, 7
	v_cmp_ne_u32_e32 vcc, s51, v4
	v_mov_b32_e32 v0, 0x7f800001
	s_and_saveexec_b64 s[88:89], vcc
	s_cbranch_execz .LBB6_734
; %bb.733:                              ;   in Loop: Header=BB6_128 Depth=2
	v_and_b32_e32 v0, 7, v10
	v_lshrrev_b32_e32 v6, 3, v4
	v_cmp_gt_u32_e32 vcc, 8, v4
	v_ffbh_u32_e32 v4, v0
	v_min_u32_e32 v9, 32, v4
	v_subrev_u32_e32 v4, 28, v9
	v_lshlrev_b64 v[4:5], v4, v[10:11]
	v_sub_u32_e32 v5, 29, v9
	v_and_b32_e32 v4, 7, v4
	v_cndmask_b32_e32 v5, v6, v5, vcc
	v_cndmask_b32_e32 v0, v0, v4, vcc
	v_lshlrev_b32_e32 v4, 24, v10
	v_bfrev_b32_e32 v1, 60
	v_lshlrev_b32_e32 v0, 20, v0
	v_and_b32_e32 v4, 0x80000000, v4
	v_lshl_add_u32 v5, v5, 23, v1
	v_or3_b32 v0, v4, v5, v0
.LBB6_734:                              ;   in Loop: Header=BB6_128 Depth=2
	s_or_b64 exec, exec, s[88:89]
.LBB6_735:                              ;   in Loop: Header=BB6_128 Depth=2
	s_or_b64 exec, exec, s[78:79]
.LBB6_736:                              ;   in Loop: Header=BB6_128 Depth=2
	s_or_b64 exec, exec, s[20:21]
	v_mul_f32_e32 v4, v17, v0
	v_and_b32_e32 v52, 0x7f800000, v4
	v_cmp_ne_u64_e32 vcc, s[56:57], v[52:53]
                                        ; implicit-def: $vgpr0
                                        ; kill: killed $vgpr0
	s_and_saveexec_b64 s[20:21], vcc
	s_xor_b64 s[78:79], exec, s[20:21]
	s_cbranch_execz .LBB6_750
; %bb.737:                              ;   in Loop: Header=BB6_128 Depth=2
	v_and_b32_e32 v52, 0x7fffffff, v4
	v_cmp_gt_u64_e32 vcc, s[58:59], v[52:53]
	v_and_b32_sdwa v0, v4, s53 dst_sel:DWORD dst_unused:UNUSED_PAD src0_sel:BYTE_3 src1_sel:DWORD
                                        ; implicit-def: $vgpr1
                                        ; kill: killed $vgpr1
	s_and_saveexec_b64 s[20:21], vcc
	s_xor_b64 s[88:89], exec, s[20:21]
	s_cbranch_execz .LBB6_747
; %bb.738:                              ;   in Loop: Header=BB6_128 Depth=2
	v_mov_b32_e32 v1, 0
	v_cmp_ne_u32_e32 vcc, 0, v4
	buffer_store_dword v1, off, s[0:3], s33 offset:276 ; 4-byte Folded Spill
	s_and_saveexec_b64 s[90:91], vcc
	s_cbranch_execz .LBB6_746
; %bb.739:                              ;   in Loop: Header=BB6_128 Depth=2
	v_and_b32_e32 v6, 0x7fffff, v4
	v_bfe_u32 v4, v4, 23, 8
	v_cmp_gt_u32_e64 s[20:21], s54, v4
	v_sub_u32_e32 v5, 0x79, v4
	v_cmp_eq_u32_e32 vcc, 0, v4
	v_cndmask_b32_e64 v5, 0, v5, s[20:21]
	v_mov_b32_e32 v10, 0x78
	v_or_b32_e32 v9, 0x800000, v6
	v_cndmask_b32_e32 v5, v5, v10, vcc
	v_cndmask_b32_e32 v52, v9, v6, vcc
	v_add_u32_e32 v6, 20, v5
	v_lshlrev_b64 v[9:10], v6, -1
	v_add_u32_e32 v6, 19, v5
	v_lshlrev_b64 v[14:15], v6, 1
	v_bfi_b32 v10, v10, 0, 0
	v_bfi_b32 v9, v9, 0, v52
	v_cmp_eq_u64_e64 s[20:21], v[9:10], v[14:15]
	v_lshrrev_b64 v[10:11], v5, v[52:53]
	v_mov_b32_e32 v15, v11
	v_mov_b32_e32 v14, v10
	s_and_saveexec_b64 s[92:93], s[20:21]
; %bb.740:                              ;   in Loop: Header=BB6_128 Depth=2
	v_bfe_u32 v6, v10, 20, 1
	v_add_co_u32_e64 v6, s[20:21], v10, v6
	v_add_co_u32_e64 v14, s[20:21], -1, v6
; %bb.741:                              ;   in Loop: Header=BB6_128 Depth=2
	s_or_b64 exec, exec, s[92:93]
	v_add_u32_e32 v4, 0xffffff81, v4
	v_mov_b32_e32 v6, 0xffffff82
	v_cndmask_b32_e32 v4, v4, v6, vcc
	v_lshrrev_b32_e32 v6, 23, v10
	v_add3_u32 v6, v5, v4, v6
	v_add_u32_e32 v5, 6, v6
	v_and_b32_e32 v4, 0xfffff, v14
	v_add_u32_e32 v52, v4, v10
	v_cmp_ne_u32_e32 vcc, 0, v5
                                        ; implicit-def: $vgpr10_vgpr11
                                        ; implicit-def: $vgpr4
	s_and_saveexec_b64 s[20:21], vcc
	s_xor_b64 s[20:21], exec, s[20:21]
; %bb.742:                              ;   in Loop: Header=BB6_128 Depth=2
	v_cmp_lt_u64_e32 vcc, s[60:61], v[52:53]
	v_add_u32_e32 v4, 7, v6
	v_cndmask_b32_e32 v4, v5, v4, vcc
	v_cndmask_b32_e64 v5, 0, 1, vcc
	v_lshrrev_b64 v[10:11], v5, v[52:53]
; %bb.743:                              ;   in Loop: Header=BB6_128 Depth=2
	s_andn2_saveexec_b64 s[20:21], s[20:21]
; %bb.744:                              ;   in Loop: Header=BB6_128 Depth=2
	v_mov_b32_e32 v10, v52
	v_bfe_u32 v4, v52, 23, 1
	v_mov_b32_e32 v11, v53
; %bb.745:                              ;   in Loop: Header=BB6_128 Depth=2
	s_or_b64 exec, exec, s[20:21]
	v_lshrrev_b64 v[5:6], 20, v[10:11]
	v_cmp_gt_i32_e32 vcc, 16, v4
	v_cndmask_b32_e32 v6, 0, v6, vcc
	v_cndmask_b32_e32 v5, 7, v5, vcc
	v_cmp_eq_u32_e32 vcc, 0, v4
	v_min_i32_e32 v4, 15, v4
	v_cmp_eq_u64_e64 s[20:21], 0, v[5:6]
	v_lshlrev_b32_e32 v4, 3, v4
	v_and_b32_e32 v4, 0xf8, v4
	v_and_or_b32 v4, v5, 7, v4
	s_and_b64 s[20:21], vcc, s[20:21]
	v_cndmask_b32_e64 v4, v4, 0, s[20:21]
	v_or_b32_e32 v0, v4, v0
	buffer_store_dword v0, off, s[0:3], s33 offset:276 ; 4-byte Folded Spill
.LBB6_746:                              ;   in Loop: Header=BB6_128 Depth=2
	s_or_b64 exec, exec, s[90:91]
                                        ; implicit-def: $vgpr0
.LBB6_747:                              ;   in Loop: Header=BB6_128 Depth=2
	s_andn2_saveexec_b64 s[20:21], s[88:89]
	s_cbranch_execz .LBB6_749
; %bb.748:                              ;   in Loop: Header=BB6_128 Depth=2
	v_or_b32_e32 v0, 0x7e, v0
	buffer_store_dword v0, off, s[0:3], s33 offset:276 ; 4-byte Folded Spill
.LBB6_749:                              ;   in Loop: Header=BB6_128 Depth=2
	s_or_b64 exec, exec, s[20:21]
                                        ; implicit-def: $vgpr4
.LBB6_750:                              ;   in Loop: Header=BB6_128 Depth=2
	s_andn2_saveexec_b64 s[20:21], s[78:79]
	s_cbranch_execz .LBB6_752
; %bb.751:                              ;   in Loop: Header=BB6_128 Depth=2
	v_or_b32_sdwa v0, v4, s51 dst_sel:DWORD dst_unused:UNUSED_PAD src0_sel:BYTE_3 src1_sel:DWORD
	buffer_store_dword v0, off, s[0:3], s33 offset:276 ; 4-byte Folded Spill
.LBB6_752:                              ;   in Loop: Header=BB6_128 Depth=2
	s_or_b64 exec, exec, s[20:21]
	v_mov_b32_e32 v52, v13
	v_cmp_ne_u16_sdwa s[78:79], v13, v53 src0_sel:BYTE_0 src1_sel:DWORD
	v_mov_b32_e32 v0, 0
	s_and_saveexec_b64 s[20:21], s[78:79]
	s_cbranch_execz .LBB6_758
; %bb.753:                              ;   in Loop: Header=BB6_128 Depth=2
	v_cmp_ne_u16_sdwa s[88:89], v13, s53 src0_sel:BYTE_0 src1_sel:DWORD
	v_bfrev_b32_e32 v0, 1
	s_and_saveexec_b64 s[78:79], s[88:89]
	s_cbranch_execz .LBB6_757
; %bb.754:                              ;   in Loop: Header=BB6_128 Depth=2
	v_and_b32_e32 v4, 0x7f, v13
	v_cmp_ne_u32_e32 vcc, s51, v4
	v_mov_b32_e32 v0, 0x7f800001
	s_and_saveexec_b64 s[88:89], vcc
	s_cbranch_execz .LBB6_756
; %bb.755:                              ;   in Loop: Header=BB6_128 Depth=2
	v_and_b32_e32 v0, 7, v13
	v_ffbh_u32_e32 v0, v0
	v_min_u32_e32 v0, 32, v0
	v_lshrrev_b32_e32 v5, 3, v4
	v_cmp_gt_u32_e32 vcc, 8, v4
	v_subrev_u32_e32 v4, 28, v0
	v_sub_u32_e32 v0, 29, v0
	v_cndmask_b32_e32 v4, 0, v4, vcc
	v_cndmask_b32_e32 v0, v5, v0, vcc
	v_lshlrev_b64 v[4:5], v4, v[52:53]
	v_lshlrev_b32_e32 v5, 24, v52
	v_lshlrev_b32_e32 v4, 20, v4
	v_bfrev_b32_e32 v1, 60
	v_and_b32_e32 v4, 0x700000, v4
	v_and_b32_e32 v5, 0x80000000, v5
	v_lshl_add_u32 v0, v0, 23, v1
	v_or3_b32 v0, v5, v0, v4
.LBB6_756:                              ;   in Loop: Header=BB6_128 Depth=2
	s_or_b64 exec, exec, s[88:89]
.LBB6_757:                              ;   in Loop: Header=BB6_128 Depth=2
	s_or_b64 exec, exec, s[78:79]
.LBB6_758:                              ;   in Loop: Header=BB6_128 Depth=2
	s_or_b64 exec, exec, s[20:21]
	v_mul_f32_e32 v4, v17, v0
	v_and_b32_e32 v5, 0x7f800000, v4
	v_mov_b32_e32 v6, v53
	v_cmp_ne_u64_e32 vcc, s[56:57], v[5:6]
                                        ; implicit-def: $vgpr35
	s_and_saveexec_b64 s[20:21], vcc
	s_xor_b64 s[78:79], exec, s[20:21]
	s_cbranch_execz .LBB6_772
; %bb.759:                              ;   in Loop: Header=BB6_128 Depth=2
	v_and_b32_e32 v5, 0x7fffffff, v4
	v_mov_b32_e32 v6, v53
	v_cmp_gt_u64_e32 vcc, s[58:59], v[5:6]
	v_and_b32_sdwa v0, v4, s53 dst_sel:DWORD dst_unused:UNUSED_PAD src0_sel:BYTE_3 src1_sel:DWORD
                                        ; implicit-def: $vgpr35
	s_and_saveexec_b64 s[20:21], vcc
	s_xor_b64 s[88:89], exec, s[20:21]
	s_cbranch_execz .LBB6_769
; %bb.760:                              ;   in Loop: Header=BB6_128 Depth=2
	v_mov_b32_e32 v35, 0
	v_cmp_ne_u32_e32 vcc, 0, v4
	s_and_saveexec_b64 s[90:91], vcc
	s_cbranch_execz .LBB6_768
; %bb.761:                              ;   in Loop: Header=BB6_128 Depth=2
	v_and_b32_e32 v6, 0x7fffff, v4
	v_bfe_u32 v4, v4, 23, 8
	v_cmp_gt_u32_e64 s[20:21], s54, v4
	v_sub_u32_e32 v5, 0x79, v4
	v_cmp_eq_u32_e32 vcc, 0, v4
	v_cndmask_b32_e64 v5, 0, v5, s[20:21]
	v_mov_b32_e32 v10, 0x78
	v_or_b32_e32 v9, 0x800000, v6
	v_cndmask_b32_e32 v5, v5, v10, vcc
	v_cndmask_b32_e32 v9, v9, v6, vcc
	v_add_u32_e32 v6, 20, v5
	v_mov_b32_e32 v10, v53
	v_lshlrev_b64 v[14:15], v6, -1
	v_add_u32_e32 v6, 19, v5
	v_lshlrev_b64 v[18:19], v6, 1
	v_lshrrev_b64 v[10:11], v5, v[9:10]
	v_bfi_b32 v15, v15, 0, 0
	v_bfi_b32 v14, v14, 0, v9
	v_cmp_eq_u64_e64 s[20:21], v[14:15], v[18:19]
	v_mov_b32_e32 v15, v11
	v_mov_b32_e32 v14, v10
	s_and_saveexec_b64 s[92:93], s[20:21]
; %bb.762:                              ;   in Loop: Header=BB6_128 Depth=2
	v_bfe_u32 v6, v10, 20, 1
	v_add_co_u32_e64 v6, s[20:21], v10, v6
	v_add_co_u32_e64 v14, s[20:21], -1, v6
; %bb.763:                              ;   in Loop: Header=BB6_128 Depth=2
	s_or_b64 exec, exec, s[92:93]
	v_add_u32_e32 v4, 0xffffff81, v4
	v_mov_b32_e32 v6, 0xffffff82
	v_cndmask_b32_e32 v4, v4, v6, vcc
	v_lshrrev_b32_e32 v6, 23, v10
	v_add3_u32 v6, v5, v4, v6
	v_add_u32_e32 v5, 6, v6
	v_and_b32_e32 v4, 0xfffff, v14
	v_add_u32_e32 v10, v4, v10
	v_mov_b32_e32 v11, v53
	v_cmp_ne_u32_e32 vcc, 0, v5
                                        ; implicit-def: $vgpr4
	s_and_saveexec_b64 s[20:21], vcc
	s_xor_b64 s[20:21], exec, s[20:21]
; %bb.764:                              ;   in Loop: Header=BB6_128 Depth=2
	v_cmp_lt_u64_e32 vcc, s[60:61], v[10:11]
	v_add_u32_e32 v4, 7, v6
	v_cndmask_b32_e32 v4, v5, v4, vcc
	v_cndmask_b32_e64 v5, 0, 1, vcc
	v_lshrrev_b64 v[10:11], v5, v[10:11]
; %bb.765:                              ;   in Loop: Header=BB6_128 Depth=2
	s_andn2_saveexec_b64 s[20:21], s[20:21]
; %bb.766:                              ;   in Loop: Header=BB6_128 Depth=2
	v_bfe_u32 v4, v10, 23, 1
; %bb.767:                              ;   in Loop: Header=BB6_128 Depth=2
	s_or_b64 exec, exec, s[20:21]
	v_lshrrev_b64 v[5:6], 20, v[10:11]
	v_cmp_gt_i32_e32 vcc, 16, v4
	v_cndmask_b32_e32 v6, 0, v6, vcc
	v_cndmask_b32_e32 v5, 7, v5, vcc
	v_cmp_eq_u32_e32 vcc, 0, v4
	v_min_i32_e32 v4, 15, v4
	v_cmp_eq_u64_e64 s[20:21], 0, v[5:6]
	v_lshlrev_b32_e32 v4, 3, v4
	v_and_b32_e32 v4, 0xf8, v4
	v_and_or_b32 v4, v5, 7, v4
	s_and_b64 s[20:21], vcc, s[20:21]
	v_cndmask_b32_e64 v4, v4, 0, s[20:21]
	v_or_b32_e32 v35, v4, v0
.LBB6_768:                              ;   in Loop: Header=BB6_128 Depth=2
	s_or_b64 exec, exec, s[90:91]
                                        ; implicit-def: $vgpr0
.LBB6_769:                              ;   in Loop: Header=BB6_128 Depth=2
	s_andn2_saveexec_b64 s[20:21], s[88:89]
; %bb.770:                              ;   in Loop: Header=BB6_128 Depth=2
	v_or_b32_e32 v35, 0x7e, v0
; %bb.771:                              ;   in Loop: Header=BB6_128 Depth=2
	s_or_b64 exec, exec, s[20:21]
                                        ; implicit-def: $vgpr4
.LBB6_772:                              ;   in Loop: Header=BB6_128 Depth=2
	s_andn2_saveexec_b64 s[20:21], s[78:79]
; %bb.773:                              ;   in Loop: Header=BB6_128 Depth=2
	v_or_b32_sdwa v35, v4, s51 dst_sel:DWORD dst_unused:UNUSED_PAD src0_sel:BYTE_3 src1_sel:DWORD
; %bb.774:                              ;   in Loop: Header=BB6_128 Depth=2
	s_or_b64 exec, exec, s[20:21]
	v_lshrrev_b16_e32 v10, 8, v52
	v_cmp_ne_u16_e32 vcc, 0, v10
	v_mov_b32_e32 v0, 0
	s_and_saveexec_b64 s[20:21], vcc
	s_cbranch_execz .LBB6_780
; %bb.775:                              ;   in Loop: Header=BB6_128 Depth=2
	v_cmp_ne_u16_e32 vcc, s53, v10
	v_bfrev_b32_e32 v0, 1
	s_and_saveexec_b64 s[78:79], vcc
	s_cbranch_execz .LBB6_779
; %bb.776:                              ;   in Loop: Header=BB6_128 Depth=2
	v_and_b32_e32 v4, 0x7f, v10
	v_cmp_ne_u32_e32 vcc, s51, v4
	v_mov_b32_e32 v0, 0x7f800001
	s_and_saveexec_b64 s[88:89], vcc
	s_cbranch_execz .LBB6_778
; %bb.777:                              ;   in Loop: Header=BB6_128 Depth=2
	v_and_b32_e32 v0, 7, v10
	v_lshrrev_b32_e32 v6, 3, v4
	v_cmp_gt_u32_e32 vcc, 8, v4
	v_ffbh_u32_e32 v4, v0
	v_min_u32_e32 v9, 32, v4
	v_subrev_u32_e32 v4, 28, v9
	v_lshlrev_b64 v[4:5], v4, v[10:11]
	v_sub_u32_e32 v5, 29, v9
	v_and_b32_e32 v4, 7, v4
	v_cndmask_b32_e32 v5, v6, v5, vcc
	v_cndmask_b32_e32 v0, v0, v4, vcc
	v_lshlrev_b32_e32 v4, 16, v52
	v_bfrev_b32_e32 v1, 60
	v_lshlrev_b32_e32 v0, 20, v0
	v_and_b32_e32 v4, 0x80000000, v4
	v_lshl_add_u32 v5, v5, 23, v1
	v_or3_b32 v0, v4, v5, v0
.LBB6_778:                              ;   in Loop: Header=BB6_128 Depth=2
	s_or_b64 exec, exec, s[88:89]
.LBB6_779:                              ;   in Loop: Header=BB6_128 Depth=2
	s_or_b64 exec, exec, s[78:79]
.LBB6_780:                              ;   in Loop: Header=BB6_128 Depth=2
	s_or_b64 exec, exec, s[20:21]
	v_mul_f32_e32 v4, v17, v0
	v_and_b32_e32 v52, 0x7f800000, v4
	v_cmp_ne_u64_e32 vcc, s[56:57], v[52:53]
                                        ; implicit-def: $vgpr0
                                        ; kill: killed $vgpr0
	s_and_saveexec_b64 s[20:21], vcc
	s_xor_b64 s[78:79], exec, s[20:21]
	s_cbranch_execz .LBB6_794
; %bb.781:                              ;   in Loop: Header=BB6_128 Depth=2
	v_and_b32_e32 v52, 0x7fffffff, v4
	v_cmp_gt_u64_e32 vcc, s[58:59], v[52:53]
	v_and_b32_sdwa v0, v4, s53 dst_sel:DWORD dst_unused:UNUSED_PAD src0_sel:BYTE_3 src1_sel:DWORD
                                        ; implicit-def: $vgpr5
                                        ; kill: killed $vgpr5
	s_and_saveexec_b64 s[20:21], vcc
	s_xor_b64 s[88:89], exec, s[20:21]
	s_cbranch_execz .LBB6_791
; %bb.782:                              ;   in Loop: Header=BB6_128 Depth=2
	v_mov_b32_e32 v5, 0
	v_cmp_ne_u32_e32 vcc, 0, v4
	buffer_store_dword v5, off, s[0:3], s33 offset:232 ; 4-byte Folded Spill
	s_and_saveexec_b64 s[90:91], vcc
	s_cbranch_execz .LBB6_790
; %bb.783:                              ;   in Loop: Header=BB6_128 Depth=2
	v_and_b32_e32 v6, 0x7fffff, v4
	v_bfe_u32 v4, v4, 23, 8
	v_cmp_gt_u32_e64 s[20:21], s54, v4
	v_sub_u32_e32 v5, 0x79, v4
	v_cmp_eq_u32_e32 vcc, 0, v4
	v_cndmask_b32_e64 v5, 0, v5, s[20:21]
	v_mov_b32_e32 v10, 0x78
	v_or_b32_e32 v9, 0x800000, v6
	v_cndmask_b32_e32 v5, v5, v10, vcc
	v_cndmask_b32_e32 v52, v9, v6, vcc
	v_add_u32_e32 v6, 20, v5
	v_lshlrev_b64 v[9:10], v6, -1
	v_add_u32_e32 v6, 19, v5
	v_lshlrev_b64 v[14:15], v6, 1
	v_bfi_b32 v10, v10, 0, 0
	v_bfi_b32 v9, v9, 0, v52
	v_cmp_eq_u64_e64 s[20:21], v[9:10], v[14:15]
	v_lshrrev_b64 v[10:11], v5, v[52:53]
	v_mov_b32_e32 v15, v11
	v_mov_b32_e32 v14, v10
	s_and_saveexec_b64 s[92:93], s[20:21]
; %bb.784:                              ;   in Loop: Header=BB6_128 Depth=2
	v_bfe_u32 v6, v10, 20, 1
	v_add_co_u32_e64 v6, s[20:21], v10, v6
	v_add_co_u32_e64 v14, s[20:21], -1, v6
; %bb.785:                              ;   in Loop: Header=BB6_128 Depth=2
	s_or_b64 exec, exec, s[92:93]
	v_add_u32_e32 v4, 0xffffff81, v4
	v_mov_b32_e32 v6, 0xffffff82
	v_cndmask_b32_e32 v4, v4, v6, vcc
	v_lshrrev_b32_e32 v6, 23, v10
	v_add3_u32 v6, v5, v4, v6
	v_add_u32_e32 v5, 6, v6
	v_and_b32_e32 v4, 0xfffff, v14
	v_add_u32_e32 v52, v4, v10
	v_cmp_ne_u32_e32 vcc, 0, v5
                                        ; implicit-def: $vgpr10_vgpr11
                                        ; implicit-def: $vgpr4
	s_and_saveexec_b64 s[20:21], vcc
	s_xor_b64 s[20:21], exec, s[20:21]
; %bb.786:                              ;   in Loop: Header=BB6_128 Depth=2
	v_cmp_lt_u64_e32 vcc, s[60:61], v[52:53]
	v_add_u32_e32 v4, 7, v6
	v_cndmask_b32_e32 v4, v5, v4, vcc
	v_cndmask_b32_e64 v5, 0, 1, vcc
	v_lshrrev_b64 v[10:11], v5, v[52:53]
; %bb.787:                              ;   in Loop: Header=BB6_128 Depth=2
	s_andn2_saveexec_b64 s[20:21], s[20:21]
; %bb.788:                              ;   in Loop: Header=BB6_128 Depth=2
	v_mov_b32_e32 v10, v52
	v_bfe_u32 v4, v52, 23, 1
	v_mov_b32_e32 v11, v53
; %bb.789:                              ;   in Loop: Header=BB6_128 Depth=2
	s_or_b64 exec, exec, s[20:21]
	v_lshrrev_b64 v[5:6], 20, v[10:11]
	v_cmp_gt_i32_e32 vcc, 16, v4
	v_cndmask_b32_e32 v6, 0, v6, vcc
	v_cndmask_b32_e32 v5, 7, v5, vcc
	v_cmp_eq_u32_e32 vcc, 0, v4
	v_min_i32_e32 v4, 15, v4
	v_cmp_eq_u64_e64 s[20:21], 0, v[5:6]
	v_lshlrev_b32_e32 v4, 3, v4
	v_and_b32_e32 v4, 0xf8, v4
	v_and_or_b32 v4, v5, 7, v4
	s_and_b64 s[20:21], vcc, s[20:21]
	v_cndmask_b32_e64 v4, v4, 0, s[20:21]
	v_or_b32_e32 v0, v4, v0
	buffer_store_dword v0, off, s[0:3], s33 offset:232 ; 4-byte Folded Spill
.LBB6_790:                              ;   in Loop: Header=BB6_128 Depth=2
	s_or_b64 exec, exec, s[90:91]
                                        ; implicit-def: $vgpr0
.LBB6_791:                              ;   in Loop: Header=BB6_128 Depth=2
	s_andn2_saveexec_b64 s[20:21], s[88:89]
	s_cbranch_execz .LBB6_793
; %bb.792:                              ;   in Loop: Header=BB6_128 Depth=2
	v_or_b32_e32 v0, 0x7e, v0
	buffer_store_dword v0, off, s[0:3], s33 offset:232 ; 4-byte Folded Spill
.LBB6_793:                              ;   in Loop: Header=BB6_128 Depth=2
	s_or_b64 exec, exec, s[20:21]
                                        ; implicit-def: $vgpr4
.LBB6_794:                              ;   in Loop: Header=BB6_128 Depth=2
	s_andn2_saveexec_b64 s[20:21], s[78:79]
	s_cbranch_execz .LBB6_796
; %bb.795:                              ;   in Loop: Header=BB6_128 Depth=2
	v_or_b32_sdwa v0, v4, s51 dst_sel:DWORD dst_unused:UNUSED_PAD src0_sel:BYTE_3 src1_sel:DWORD
	buffer_store_dword v0, off, s[0:3], s33 offset:232 ; 4-byte Folded Spill
.LBB6_796:                              ;   in Loop: Header=BB6_128 Depth=2
	s_or_b64 exec, exec, s[20:21]
	v_lshrrev_b32_e32 v10, 16, v13
	v_cmp_ne_u16_sdwa s[78:79], v10, v53 src0_sel:BYTE_0 src1_sel:DWORD
	v_mov_b32_e32 v0, 0
	s_and_saveexec_b64 s[20:21], s[78:79]
	s_cbranch_execz .LBB6_802
; %bb.797:                              ;   in Loop: Header=BB6_128 Depth=2
	v_cmp_ne_u16_sdwa s[88:89], v10, s53 src0_sel:BYTE_0 src1_sel:DWORD
	v_bfrev_b32_e32 v0, 1
	s_and_saveexec_b64 s[78:79], s[88:89]
	s_cbranch_execz .LBB6_801
; %bb.798:                              ;   in Loop: Header=BB6_128 Depth=2
	v_bfe_u32 v4, v13, 16, 7
	v_cmp_ne_u32_e32 vcc, s51, v4
	v_mov_b32_e32 v0, 0x7f800001
	s_and_saveexec_b64 s[88:89], vcc
	s_cbranch_execz .LBB6_800
; %bb.799:                              ;   in Loop: Header=BB6_128 Depth=2
	v_and_b32_e32 v0, 7, v10
	v_lshrrev_b32_e32 v6, 3, v4
	v_cmp_gt_u32_e32 vcc, 8, v4
	v_ffbh_u32_e32 v4, v0
	v_min_u32_e32 v9, 32, v4
	v_subrev_u32_e32 v4, 28, v9
	v_lshlrev_b64 v[4:5], v4, v[10:11]
	v_sub_u32_e32 v5, 29, v9
	v_and_b32_e32 v4, 7, v4
	v_cndmask_b32_e32 v5, v6, v5, vcc
	v_cndmask_b32_e32 v0, v0, v4, vcc
	v_lshlrev_b32_e32 v4, 24, v10
	v_bfrev_b32_e32 v1, 60
	v_lshlrev_b32_e32 v0, 20, v0
	v_and_b32_e32 v4, 0x80000000, v4
	v_lshl_add_u32 v5, v5, 23, v1
	v_or3_b32 v0, v4, v5, v0
.LBB6_800:                              ;   in Loop: Header=BB6_128 Depth=2
	s_or_b64 exec, exec, s[88:89]
.LBB6_801:                              ;   in Loop: Header=BB6_128 Depth=2
	s_or_b64 exec, exec, s[78:79]
.LBB6_802:                              ;   in Loop: Header=BB6_128 Depth=2
	s_or_b64 exec, exec, s[20:21]
	v_mul_f32_e32 v4, v17, v0
	v_and_b32_e32 v52, 0x7f800000, v4
	v_cmp_ne_u64_e32 vcc, s[56:57], v[52:53]
                                        ; implicit-def: $vgpr0
                                        ; kill: killed $vgpr0
	s_and_saveexec_b64 s[20:21], vcc
	s_xor_b64 s[78:79], exec, s[20:21]
	s_cbranch_execz .LBB6_816
; %bb.803:                              ;   in Loop: Header=BB6_128 Depth=2
	v_and_b32_e32 v52, 0x7fffffff, v4
	v_cmp_gt_u64_e32 vcc, s[58:59], v[52:53]
	v_and_b32_sdwa v0, v4, s53 dst_sel:DWORD dst_unused:UNUSED_PAD src0_sel:BYTE_3 src1_sel:DWORD
                                        ; implicit-def: $vgpr1
                                        ; kill: killed $vgpr1
	s_and_saveexec_b64 s[20:21], vcc
	s_xor_b64 s[88:89], exec, s[20:21]
	s_cbranch_execz .LBB6_813
; %bb.804:                              ;   in Loop: Header=BB6_128 Depth=2
	v_mov_b32_e32 v1, 0
	v_cmp_ne_u32_e32 vcc, 0, v4
	buffer_store_dword v1, off, s[0:3], s33 offset:248 ; 4-byte Folded Spill
	s_and_saveexec_b64 s[90:91], vcc
	s_cbranch_execz .LBB6_812
; %bb.805:                              ;   in Loop: Header=BB6_128 Depth=2
	v_and_b32_e32 v6, 0x7fffff, v4
	v_bfe_u32 v4, v4, 23, 8
	v_cmp_gt_u32_e64 s[20:21], s54, v4
	v_sub_u32_e32 v5, 0x79, v4
	v_cmp_eq_u32_e32 vcc, 0, v4
	v_cndmask_b32_e64 v5, 0, v5, s[20:21]
	v_mov_b32_e32 v10, 0x78
	v_or_b32_e32 v9, 0x800000, v6
	v_cndmask_b32_e32 v5, v5, v10, vcc
	v_cndmask_b32_e32 v52, v9, v6, vcc
	v_add_u32_e32 v6, 20, v5
	v_lshlrev_b64 v[9:10], v6, -1
	v_add_u32_e32 v6, 19, v5
	v_lshlrev_b64 v[14:15], v6, 1
	v_bfi_b32 v10, v10, 0, 0
	v_bfi_b32 v9, v9, 0, v52
	v_cmp_eq_u64_e64 s[20:21], v[9:10], v[14:15]
	v_lshrrev_b64 v[10:11], v5, v[52:53]
	v_mov_b32_e32 v15, v11
	v_mov_b32_e32 v14, v10
	s_and_saveexec_b64 s[92:93], s[20:21]
; %bb.806:                              ;   in Loop: Header=BB6_128 Depth=2
	v_bfe_u32 v6, v10, 20, 1
	v_add_co_u32_e64 v6, s[20:21], v10, v6
	v_add_co_u32_e64 v14, s[20:21], -1, v6
; %bb.807:                              ;   in Loop: Header=BB6_128 Depth=2
	s_or_b64 exec, exec, s[92:93]
	v_add_u32_e32 v4, 0xffffff81, v4
	v_mov_b32_e32 v6, 0xffffff82
	v_cndmask_b32_e32 v4, v4, v6, vcc
	v_lshrrev_b32_e32 v6, 23, v10
	v_add3_u32 v6, v5, v4, v6
	v_add_u32_e32 v5, 6, v6
	v_and_b32_e32 v4, 0xfffff, v14
	v_add_u32_e32 v52, v4, v10
	v_cmp_ne_u32_e32 vcc, 0, v5
                                        ; implicit-def: $vgpr10_vgpr11
                                        ; implicit-def: $vgpr4
	s_and_saveexec_b64 s[20:21], vcc
	s_xor_b64 s[20:21], exec, s[20:21]
; %bb.808:                              ;   in Loop: Header=BB6_128 Depth=2
	v_cmp_lt_u64_e32 vcc, s[60:61], v[52:53]
	v_add_u32_e32 v4, 7, v6
	v_cndmask_b32_e32 v4, v5, v4, vcc
	v_cndmask_b32_e64 v5, 0, 1, vcc
	v_lshrrev_b64 v[10:11], v5, v[52:53]
; %bb.809:                              ;   in Loop: Header=BB6_128 Depth=2
	s_andn2_saveexec_b64 s[20:21], s[20:21]
; %bb.810:                              ;   in Loop: Header=BB6_128 Depth=2
	v_mov_b32_e32 v10, v52
	v_bfe_u32 v4, v52, 23, 1
	v_mov_b32_e32 v11, v53
; %bb.811:                              ;   in Loop: Header=BB6_128 Depth=2
	s_or_b64 exec, exec, s[20:21]
	v_lshrrev_b64 v[5:6], 20, v[10:11]
	v_cmp_gt_i32_e32 vcc, 16, v4
	v_cndmask_b32_e32 v6, 0, v6, vcc
	v_cndmask_b32_e32 v5, 7, v5, vcc
	v_cmp_eq_u32_e32 vcc, 0, v4
	v_min_i32_e32 v4, 15, v4
	v_cmp_eq_u64_e64 s[20:21], 0, v[5:6]
	v_lshlrev_b32_e32 v4, 3, v4
	v_and_b32_e32 v4, 0xf8, v4
	v_and_or_b32 v4, v5, 7, v4
	s_and_b64 s[20:21], vcc, s[20:21]
	v_cndmask_b32_e64 v4, v4, 0, s[20:21]
	v_or_b32_e32 v0, v4, v0
	buffer_store_dword v0, off, s[0:3], s33 offset:248 ; 4-byte Folded Spill
.LBB6_812:                              ;   in Loop: Header=BB6_128 Depth=2
	s_or_b64 exec, exec, s[90:91]
                                        ; implicit-def: $vgpr0
.LBB6_813:                              ;   in Loop: Header=BB6_128 Depth=2
	s_andn2_saveexec_b64 s[20:21], s[88:89]
	s_cbranch_execz .LBB6_815
; %bb.814:                              ;   in Loop: Header=BB6_128 Depth=2
	v_or_b32_e32 v0, 0x7e, v0
	buffer_store_dword v0, off, s[0:3], s33 offset:248 ; 4-byte Folded Spill
.LBB6_815:                              ;   in Loop: Header=BB6_128 Depth=2
	s_or_b64 exec, exec, s[20:21]
                                        ; implicit-def: $vgpr4
.LBB6_816:                              ;   in Loop: Header=BB6_128 Depth=2
	s_andn2_saveexec_b64 s[20:21], s[78:79]
	s_cbranch_execz .LBB6_818
; %bb.817:                              ;   in Loop: Header=BB6_128 Depth=2
	v_or_b32_sdwa v0, v4, s51 dst_sel:DWORD dst_unused:UNUSED_PAD src0_sel:BYTE_3 src1_sel:DWORD
	buffer_store_dword v0, off, s[0:3], s33 offset:248 ; 4-byte Folded Spill
.LBB6_818:                              ;   in Loop: Header=BB6_128 Depth=2
	s_or_b64 exec, exec, s[20:21]
	v_cmp_lt_u64_e32 vcc, s[62:63], v[12:13]
	v_mov_b32_e32 v0, 0
	s_and_saveexec_b64 s[20:21], vcc
	s_cbranch_execz .LBB6_824
; %bb.819:                              ;   in Loop: Header=BB6_128 Depth=2
	v_lshrrev_b32_e32 v10, 24, v13
	v_cmp_ne_u32_e32 vcc, s53, v10
	v_bfrev_b32_e32 v0, 1
	s_and_saveexec_b64 s[78:79], vcc
	s_cbranch_execz .LBB6_823
; %bb.820:                              ;   in Loop: Header=BB6_128 Depth=2
	v_bfe_u32 v4, v13, 24, 7
	v_cmp_ne_u32_e32 vcc, s51, v4
	v_mov_b32_e32 v0, 0x7f800001
	s_and_saveexec_b64 s[88:89], vcc
	s_cbranch_execz .LBB6_822
; %bb.821:                              ;   in Loop: Header=BB6_128 Depth=2
	v_and_b32_e32 v0, 7, v10
	v_lshrrev_b32_e32 v6, 3, v4
	v_cmp_gt_u32_e32 vcc, 8, v4
	v_ffbh_u32_e32 v4, v0
	v_min_u32_e32 v9, 32, v4
	v_subrev_u32_e32 v4, 28, v9
	v_lshlrev_b64 v[4:5], v4, v[10:11]
	v_sub_u32_e32 v5, 29, v9
	v_and_b32_e32 v4, 7, v4
	v_cndmask_b32_e32 v5, v6, v5, vcc
	v_cndmask_b32_e32 v0, v0, v4, vcc
	v_lshlrev_b32_e32 v4, 24, v10
	v_bfrev_b32_e32 v1, 60
	v_lshlrev_b32_e32 v0, 20, v0
	v_and_b32_e32 v4, 0x80000000, v4
	v_lshl_add_u32 v5, v5, 23, v1
	v_or3_b32 v0, v4, v5, v0
.LBB6_822:                              ;   in Loop: Header=BB6_128 Depth=2
	s_or_b64 exec, exec, s[88:89]
.LBB6_823:                              ;   in Loop: Header=BB6_128 Depth=2
	s_or_b64 exec, exec, s[78:79]
.LBB6_824:                              ;   in Loop: Header=BB6_128 Depth=2
	s_or_b64 exec, exec, s[20:21]
	v_mul_f32_e32 v4, v17, v0
	v_and_b32_e32 v52, 0x7f800000, v4
	v_cmp_ne_u64_e32 vcc, s[56:57], v[52:53]
                                        ; implicit-def: $vgpr0
                                        ; kill: killed $vgpr0
	s_and_saveexec_b64 s[20:21], vcc
	s_xor_b64 s[78:79], exec, s[20:21]
	s_cbranch_execz .LBB6_838
; %bb.825:                              ;   in Loop: Header=BB6_128 Depth=2
	v_and_b32_e32 v52, 0x7fffffff, v4
	v_cmp_gt_u64_e32 vcc, s[58:59], v[52:53]
	v_and_b32_sdwa v0, v4, s53 dst_sel:DWORD dst_unused:UNUSED_PAD src0_sel:BYTE_3 src1_sel:DWORD
                                        ; implicit-def: $vgpr1
                                        ; kill: killed $vgpr1
	s_and_saveexec_b64 s[20:21], vcc
	s_xor_b64 s[88:89], exec, s[20:21]
	s_cbranch_execz .LBB6_835
; %bb.826:                              ;   in Loop: Header=BB6_128 Depth=2
	v_mov_b32_e32 v1, 0
	v_cmp_ne_u32_e32 vcc, 0, v4
	buffer_store_dword v1, off, s[0:3], s33 offset:264 ; 4-byte Folded Spill
	s_and_saveexec_b64 s[90:91], vcc
	s_cbranch_execz .LBB6_834
; %bb.827:                              ;   in Loop: Header=BB6_128 Depth=2
	v_and_b32_e32 v6, 0x7fffff, v4
	v_bfe_u32 v4, v4, 23, 8
	v_cmp_gt_u32_e64 s[20:21], s54, v4
	v_sub_u32_e32 v5, 0x79, v4
	v_cmp_eq_u32_e32 vcc, 0, v4
	v_cndmask_b32_e64 v5, 0, v5, s[20:21]
	v_mov_b32_e32 v10, 0x78
	v_or_b32_e32 v9, 0x800000, v6
	v_cndmask_b32_e32 v5, v5, v10, vcc
	v_cndmask_b32_e32 v52, v9, v6, vcc
	v_add_u32_e32 v6, 20, v5
	v_lshlrev_b64 v[9:10], v6, -1
	v_add_u32_e32 v6, 19, v5
	v_lshlrev_b64 v[11:12], v6, 1
	v_bfi_b32 v10, v10, 0, 0
	v_bfi_b32 v9, v9, 0, v52
	v_cmp_eq_u64_e64 s[20:21], v[9:10], v[11:12]
	v_lshrrev_b64 v[10:11], v5, v[52:53]
	v_mov_b32_e32 v12, v11
	v_mov_b32_e32 v11, v10
	s_and_saveexec_b64 s[92:93], s[20:21]
; %bb.828:                              ;   in Loop: Header=BB6_128 Depth=2
	v_bfe_u32 v6, v10, 20, 1
	v_add_co_u32_e64 v6, s[20:21], v10, v6
	v_add_co_u32_e64 v11, s[20:21], -1, v6
; %bb.829:                              ;   in Loop: Header=BB6_128 Depth=2
	s_or_b64 exec, exec, s[92:93]
	v_add_u32_e32 v4, 0xffffff81, v4
	v_mov_b32_e32 v6, 0xffffff82
	v_cndmask_b32_e32 v4, v4, v6, vcc
	v_lshrrev_b32_e32 v6, 23, v10
	v_add3_u32 v6, v5, v4, v6
	v_add_u32_e32 v5, 6, v6
	v_and_b32_e32 v4, 0xfffff, v11
	v_add_u32_e32 v52, v4, v10
	v_cmp_ne_u32_e32 vcc, 0, v5
                                        ; implicit-def: $vgpr10_vgpr11
                                        ; implicit-def: $vgpr4
	s_and_saveexec_b64 s[20:21], vcc
	s_xor_b64 s[20:21], exec, s[20:21]
; %bb.830:                              ;   in Loop: Header=BB6_128 Depth=2
	v_cmp_lt_u64_e32 vcc, s[60:61], v[52:53]
	v_add_u32_e32 v4, 7, v6
	v_cndmask_b32_e32 v4, v5, v4, vcc
	v_cndmask_b32_e64 v5, 0, 1, vcc
	v_lshrrev_b64 v[10:11], v5, v[52:53]
; %bb.831:                              ;   in Loop: Header=BB6_128 Depth=2
	s_andn2_saveexec_b64 s[20:21], s[20:21]
; %bb.832:                              ;   in Loop: Header=BB6_128 Depth=2
	v_mov_b32_e32 v10, v52
	v_bfe_u32 v4, v52, 23, 1
	v_mov_b32_e32 v11, v53
; %bb.833:                              ;   in Loop: Header=BB6_128 Depth=2
	s_or_b64 exec, exec, s[20:21]
	v_lshrrev_b64 v[5:6], 20, v[10:11]
	v_cmp_gt_i32_e32 vcc, 16, v4
	v_cndmask_b32_e32 v6, 0, v6, vcc
	v_cndmask_b32_e32 v5, 7, v5, vcc
	v_cmp_eq_u32_e32 vcc, 0, v4
	v_min_i32_e32 v4, 15, v4
	v_cmp_eq_u64_e64 s[20:21], 0, v[5:6]
	v_lshlrev_b32_e32 v4, 3, v4
	v_and_b32_e32 v4, 0xf8, v4
	v_and_or_b32 v4, v5, 7, v4
	s_and_b64 s[20:21], vcc, s[20:21]
	v_cndmask_b32_e64 v4, v4, 0, s[20:21]
	v_or_b32_e32 v0, v4, v0
	buffer_store_dword v0, off, s[0:3], s33 offset:264 ; 4-byte Folded Spill
.LBB6_834:                              ;   in Loop: Header=BB6_128 Depth=2
	s_or_b64 exec, exec, s[90:91]
                                        ; implicit-def: $vgpr0
.LBB6_835:                              ;   in Loop: Header=BB6_128 Depth=2
	s_andn2_saveexec_b64 s[20:21], s[88:89]
	s_cbranch_execz .LBB6_837
; %bb.836:                              ;   in Loop: Header=BB6_128 Depth=2
	v_or_b32_e32 v0, 0x7e, v0
	buffer_store_dword v0, off, s[0:3], s33 offset:264 ; 4-byte Folded Spill
.LBB6_837:                              ;   in Loop: Header=BB6_128 Depth=2
	s_or_b64 exec, exec, s[20:21]
                                        ; implicit-def: $vgpr4
.LBB6_838:                              ;   in Loop: Header=BB6_128 Depth=2
	s_andn2_saveexec_b64 s[20:21], s[78:79]
	s_cbranch_execz .LBB6_840
; %bb.839:                              ;   in Loop: Header=BB6_128 Depth=2
	v_or_b32_sdwa v0, v4, s51 dst_sel:DWORD dst_unused:UNUSED_PAD src0_sel:BYTE_3 src1_sel:DWORD
	buffer_store_dword v0, off, s[0:3], s33 offset:264 ; 4-byte Folded Spill
.LBB6_840:                              ;   in Loop: Header=BB6_128 Depth=2
	s_or_b64 exec, exec, s[20:21]
	global_load_dwordx4 v[10:13], v[46:47], off offset:2048 glc slc
	v_mov_b32_e32 v0, 0
	s_waitcnt vmcnt(0)
	v_cmp_ne_u16_sdwa s[78:79], v10, v53 src0_sel:BYTE_0 src1_sel:DWORD
	s_and_saveexec_b64 s[20:21], s[78:79]
	s_cbranch_execz .LBB6_846
; %bb.841:                              ;   in Loop: Header=BB6_128 Depth=2
	v_cmp_ne_u16_sdwa s[88:89], v10, s53 src0_sel:BYTE_0 src1_sel:DWORD
	v_bfrev_b32_e32 v0, 1
	s_and_saveexec_b64 s[78:79], s[88:89]
	s_cbranch_execz .LBB6_845
; %bb.842:                              ;   in Loop: Header=BB6_128 Depth=2
	v_and_b32_e32 v4, 0x7f, v10
	v_cmp_ne_u32_e32 vcc, s51, v4
	v_mov_b32_e32 v0, 0x7f800001
	s_and_saveexec_b64 s[88:89], vcc
	s_cbranch_execz .LBB6_844
; %bb.843:                              ;   in Loop: Header=BB6_128 Depth=2
	v_and_b32_e32 v0, 7, v10
	v_ffbh_u32_e32 v0, v0
	v_min_u32_e32 v0, 32, v0
	v_lshrrev_b32_e32 v5, 3, v4
	v_cmp_gt_u32_e32 vcc, 8, v4
	v_subrev_u32_e32 v4, 28, v0
	v_sub_u32_e32 v0, 29, v0
	v_cndmask_b32_e32 v4, 0, v4, vcc
	v_cndmask_b32_e32 v0, v5, v0, vcc
	v_lshlrev_b64 v[4:5], v4, v[10:11]
	v_lshlrev_b32_e32 v5, 24, v10
	v_lshlrev_b32_e32 v4, 20, v4
	v_bfrev_b32_e32 v1, 60
	v_and_b32_e32 v4, 0x700000, v4
	v_and_b32_e32 v5, 0x80000000, v5
	v_lshl_add_u32 v0, v0, 23, v1
	v_or3_b32 v0, v5, v0, v4
.LBB6_844:                              ;   in Loop: Header=BB6_128 Depth=2
	s_or_b64 exec, exec, s[88:89]
.LBB6_845:                              ;   in Loop: Header=BB6_128 Depth=2
	s_or_b64 exec, exec, s[78:79]
.LBB6_846:                              ;   in Loop: Header=BB6_128 Depth=2
	s_or_b64 exec, exec, s[20:21]
	v_mul_f32_e32 v4, v17, v0
	v_and_b32_e32 v52, 0x7f800000, v4
	v_cmp_ne_u64_e32 vcc, s[56:57], v[52:53]
                                        ; implicit-def: $vgpr5
	s_and_saveexec_b64 s[20:21], vcc
	s_xor_b64 s[78:79], exec, s[20:21]
	s_cbranch_execz .LBB6_860
; %bb.847:                              ;   in Loop: Header=BB6_128 Depth=2
	v_and_b32_e32 v52, 0x7fffffff, v4
	v_cmp_gt_u64_e32 vcc, s[58:59], v[52:53]
	v_and_b32_sdwa v0, v4, s53 dst_sel:DWORD dst_unused:UNUSED_PAD src0_sel:BYTE_3 src1_sel:DWORD
                                        ; implicit-def: $vgpr5
	s_and_saveexec_b64 s[20:21], vcc
	s_xor_b64 s[88:89], exec, s[20:21]
	s_cbranch_execz .LBB6_857
; %bb.848:                              ;   in Loop: Header=BB6_128 Depth=2
	v_mov_b32_e32 v5, 0
	v_cmp_ne_u32_e32 vcc, 0, v4
	s_and_saveexec_b64 s[90:91], vcc
	s_cbranch_execz .LBB6_856
; %bb.849:                              ;   in Loop: Header=BB6_128 Depth=2
	v_and_b32_e32 v6, 0x7fffff, v4
	v_bfe_u32 v4, v4, 23, 8
	v_cmp_gt_u32_e64 s[20:21], s54, v4
	v_sub_u32_e32 v5, 0x79, v4
	v_cmp_eq_u32_e32 vcc, 0, v4
	v_cndmask_b32_e64 v5, 0, v5, s[20:21]
	v_mov_b32_e32 v14, 0x78
	v_or_b32_e32 v9, 0x800000, v6
	v_cndmask_b32_e32 v5, v5, v14, vcc
	v_cndmask_b32_e32 v52, v9, v6, vcc
	v_add_u32_e32 v6, 20, v5
	v_lshlrev_b64 v[14:15], v6, -1
	v_add_u32_e32 v6, 19, v5
	v_lshlrev_b64 v[18:19], v6, 1
	v_bfi_b32 v15, v15, 0, 0
	v_bfi_b32 v14, v14, 0, v52
	v_cmp_eq_u64_e64 s[20:21], v[14:15], v[18:19]
	v_lshrrev_b64 v[14:15], v5, v[52:53]
	v_mov_b32_e32 v16, v15
	v_mov_b32_e32 v15, v14
	s_and_saveexec_b64 s[92:93], s[20:21]
; %bb.850:                              ;   in Loop: Header=BB6_128 Depth=2
	v_bfe_u32 v6, v14, 20, 1
	v_add_co_u32_e64 v6, s[20:21], v14, v6
	v_add_co_u32_e64 v15, s[20:21], -1, v6
; %bb.851:                              ;   in Loop: Header=BB6_128 Depth=2
	s_or_b64 exec, exec, s[92:93]
	v_add_u32_e32 v4, 0xffffff81, v4
	v_mov_b32_e32 v6, 0xffffff82
	v_cndmask_b32_e32 v4, v4, v6, vcc
	v_lshrrev_b32_e32 v6, 23, v14
	v_add3_u32 v6, v5, v4, v6
	v_add_u32_e32 v5, 6, v6
	v_and_b32_e32 v4, 0xfffff, v15
	v_add_u32_e32 v52, v4, v14
	v_cmp_ne_u32_e32 vcc, 0, v5
                                        ; implicit-def: $vgpr14_vgpr15
                                        ; implicit-def: $vgpr4
	s_and_saveexec_b64 s[20:21], vcc
	s_xor_b64 s[20:21], exec, s[20:21]
; %bb.852:                              ;   in Loop: Header=BB6_128 Depth=2
	v_cmp_lt_u64_e32 vcc, s[60:61], v[52:53]
	v_add_u32_e32 v4, 7, v6
	v_cndmask_b32_e32 v4, v5, v4, vcc
	v_cndmask_b32_e64 v5, 0, 1, vcc
	v_lshrrev_b64 v[14:15], v5, v[52:53]
; %bb.853:                              ;   in Loop: Header=BB6_128 Depth=2
	s_andn2_saveexec_b64 s[20:21], s[20:21]
; %bb.854:                              ;   in Loop: Header=BB6_128 Depth=2
	v_mov_b32_e32 v14, v52
	v_bfe_u32 v4, v52, 23, 1
	v_mov_b32_e32 v15, v53
; %bb.855:                              ;   in Loop: Header=BB6_128 Depth=2
	s_or_b64 exec, exec, s[20:21]
	v_lshrrev_b64 v[5:6], 20, v[14:15]
	v_cmp_gt_i32_e32 vcc, 16, v4
	v_cndmask_b32_e32 v6, 0, v6, vcc
	v_cndmask_b32_e32 v5, 7, v5, vcc
	v_cmp_eq_u32_e32 vcc, 0, v4
	v_min_i32_e32 v4, 15, v4
	v_cmp_eq_u64_e64 s[20:21], 0, v[5:6]
	v_lshlrev_b32_e32 v4, 3, v4
	v_and_b32_e32 v4, 0xf8, v4
	v_and_or_b32 v4, v5, 7, v4
	s_and_b64 s[20:21], vcc, s[20:21]
	v_cndmask_b32_e64 v4, v4, 0, s[20:21]
	v_or_b32_e32 v5, v4, v0
.LBB6_856:                              ;   in Loop: Header=BB6_128 Depth=2
	s_or_b64 exec, exec, s[90:91]
                                        ; implicit-def: $vgpr0
.LBB6_857:                              ;   in Loop: Header=BB6_128 Depth=2
	s_andn2_saveexec_b64 s[20:21], s[88:89]
; %bb.858:                              ;   in Loop: Header=BB6_128 Depth=2
	v_or_b32_e32 v5, 0x7e, v0
; %bb.859:                              ;   in Loop: Header=BB6_128 Depth=2
	s_or_b64 exec, exec, s[20:21]
                                        ; implicit-def: $vgpr4
.LBB6_860:                              ;   in Loop: Header=BB6_128 Depth=2
	s_andn2_saveexec_b64 s[20:21], s[78:79]
; %bb.861:                              ;   in Loop: Header=BB6_128 Depth=2
	v_or_b32_sdwa v5, v4, s51 dst_sel:DWORD dst_unused:UNUSED_PAD src0_sel:BYTE_3 src1_sel:DWORD
; %bb.862:                              ;   in Loop: Header=BB6_128 Depth=2
	s_or_b64 exec, exec, s[20:21]
	v_lshrrev_b16_e32 v14, 8, v10
	v_cmp_ne_u16_e32 vcc, 0, v14
	v_mov_b32_e32 v0, 0
	s_and_saveexec_b64 s[20:21], vcc
	s_cbranch_execz .LBB6_868
; %bb.863:                              ;   in Loop: Header=BB6_128 Depth=2
	v_cmp_ne_u16_e32 vcc, s53, v14
	v_bfrev_b32_e32 v0, 1
	s_and_saveexec_b64 s[78:79], vcc
	s_cbranch_execz .LBB6_867
; %bb.864:                              ;   in Loop: Header=BB6_128 Depth=2
	v_and_b32_e32 v4, 0x7f, v14
	v_cmp_ne_u32_e32 vcc, s51, v4
	v_mov_b32_e32 v0, 0x7f800001
	s_and_saveexec_b64 s[88:89], vcc
	s_cbranch_execz .LBB6_866
; %bb.865:                              ;   in Loop: Header=BB6_128 Depth=2
	v_and_b32_e32 v0, 7, v14
	v_lshrrev_b32_e32 v6, 3, v4
	v_cmp_gt_u32_e32 vcc, 8, v4
	v_ffbh_u32_e32 v4, v0
	v_min_u32_e32 v4, 32, v4
	v_subrev_u32_e32 v9, 28, v4
	v_lshlrev_b64 v[14:15], v9, v[14:15]
	v_sub_u32_e32 v4, 29, v4
	v_and_b32_e32 v9, 7, v14
	v_cndmask_b32_e32 v4, v6, v4, vcc
	v_cndmask_b32_e32 v0, v0, v9, vcc
	v_lshlrev_b32_e32 v6, 16, v10
	v_bfrev_b32_e32 v1, 60
	v_lshlrev_b32_e32 v0, 20, v0
	v_and_b32_e32 v6, 0x80000000, v6
	v_lshl_add_u32 v4, v4, 23, v1
	v_or3_b32 v0, v6, v4, v0
.LBB6_866:                              ;   in Loop: Header=BB6_128 Depth=2
	s_or_b64 exec, exec, s[88:89]
.LBB6_867:                              ;   in Loop: Header=BB6_128 Depth=2
	s_or_b64 exec, exec, s[78:79]
.LBB6_868:                              ;   in Loop: Header=BB6_128 Depth=2
	s_or_b64 exec, exec, s[20:21]
	v_mul_f32_e32 v4, v17, v0
	v_and_b32_e32 v52, 0x7f800000, v4
	v_cmp_ne_u64_e32 vcc, s[56:57], v[52:53]
                                        ; implicit-def: $vgpr0
                                        ; kill: killed $vgpr0
	s_and_saveexec_b64 s[20:21], vcc
	s_xor_b64 s[78:79], exec, s[20:21]
	s_cbranch_execz .LBB6_882
; %bb.869:                              ;   in Loop: Header=BB6_128 Depth=2
	v_and_b32_e32 v52, 0x7fffffff, v4
	v_cmp_gt_u64_e32 vcc, s[58:59], v[52:53]
	v_and_b32_sdwa v0, v4, s53 dst_sel:DWORD dst_unused:UNUSED_PAD src0_sel:BYTE_3 src1_sel:DWORD
                                        ; implicit-def: $vgpr6
                                        ; kill: killed $vgpr6
	s_and_saveexec_b64 s[20:21], vcc
	s_xor_b64 s[88:89], exec, s[20:21]
	s_cbranch_execz .LBB6_879
; %bb.870:                              ;   in Loop: Header=BB6_128 Depth=2
	v_mov_b32_e32 v6, 0
	v_cmp_ne_u32_e32 vcc, 0, v4
	buffer_store_dword v6, off, s[0:3], s33 offset:216 ; 4-byte Folded Spill
	s_and_saveexec_b64 s[90:91], vcc
	s_cbranch_execz .LBB6_878
; %bb.871:                              ;   in Loop: Header=BB6_128 Depth=2
	v_and_b32_e32 v9, 0x7fffff, v4
	v_bfe_u32 v4, v4, 23, 8
	v_cmp_gt_u32_e64 s[20:21], s54, v4
	v_sub_u32_e32 v6, 0x79, v4
	v_cmp_eq_u32_e32 vcc, 0, v4
	v_cndmask_b32_e64 v6, 0, v6, s[20:21]
	v_mov_b32_e32 v15, 0x78
	v_or_b32_e32 v14, 0x800000, v9
	v_cndmask_b32_e32 v6, v6, v15, vcc
	v_cndmask_b32_e32 v52, v14, v9, vcc
	v_add_u32_e32 v9, 20, v6
	v_lshlrev_b64 v[14:15], v9, -1
	v_add_u32_e32 v9, 19, v6
	v_lshlrev_b64 v[18:19], v9, 1
	v_bfi_b32 v15, v15, 0, 0
	v_bfi_b32 v14, v14, 0, v52
	v_cmp_eq_u64_e64 s[20:21], v[14:15], v[18:19]
	v_lshrrev_b64 v[14:15], v6, v[52:53]
	v_mov_b32_e32 v16, v15
	v_mov_b32_e32 v15, v14
	s_and_saveexec_b64 s[92:93], s[20:21]
; %bb.872:                              ;   in Loop: Header=BB6_128 Depth=2
	v_bfe_u32 v9, v14, 20, 1
	v_add_co_u32_e64 v9, s[20:21], v14, v9
	v_add_co_u32_e64 v15, s[20:21], -1, v9
; %bb.873:                              ;   in Loop: Header=BB6_128 Depth=2
	s_or_b64 exec, exec, s[92:93]
	v_add_u32_e32 v4, 0xffffff81, v4
	v_mov_b32_e32 v9, 0xffffff82
	v_cndmask_b32_e32 v4, v4, v9, vcc
	v_lshrrev_b32_e32 v9, 23, v14
	v_add3_u32 v9, v6, v4, v9
	v_add_u32_e32 v6, 6, v9
	v_and_b32_e32 v4, 0xfffff, v15
	v_add_u32_e32 v52, v4, v14
	v_cmp_ne_u32_e32 vcc, 0, v6
                                        ; implicit-def: $vgpr14_vgpr15
                                        ; implicit-def: $vgpr4
	s_and_saveexec_b64 s[20:21], vcc
	s_xor_b64 s[20:21], exec, s[20:21]
; %bb.874:                              ;   in Loop: Header=BB6_128 Depth=2
	v_cmp_lt_u64_e32 vcc, s[60:61], v[52:53]
	v_add_u32_e32 v4, 7, v9
	v_cndmask_b32_e32 v4, v6, v4, vcc
	v_cndmask_b32_e64 v6, 0, 1, vcc
	v_lshrrev_b64 v[14:15], v6, v[52:53]
; %bb.875:                              ;   in Loop: Header=BB6_128 Depth=2
	s_andn2_saveexec_b64 s[20:21], s[20:21]
; %bb.876:                              ;   in Loop: Header=BB6_128 Depth=2
	v_mov_b32_e32 v14, v52
	v_bfe_u32 v4, v52, 23, 1
	v_mov_b32_e32 v15, v53
; %bb.877:                              ;   in Loop: Header=BB6_128 Depth=2
	s_or_b64 exec, exec, s[20:21]
	v_lshrrev_b64 v[14:15], 20, v[14:15]
	v_cmp_gt_i32_e32 vcc, 16, v4
	v_cndmask_b32_e32 v15, 0, v15, vcc
	v_cndmask_b32_e32 v14, 7, v14, vcc
	v_cmp_eq_u32_e32 vcc, 0, v4
	v_min_i32_e32 v4, 15, v4
	v_cmp_eq_u64_e64 s[20:21], 0, v[14:15]
	v_lshlrev_b32_e32 v4, 3, v4
	v_and_b32_e32 v4, 0xf8, v4
	v_and_or_b32 v4, v14, 7, v4
	s_and_b64 s[20:21], vcc, s[20:21]
	v_cndmask_b32_e64 v4, v4, 0, s[20:21]
	v_or_b32_e32 v0, v4, v0
	buffer_store_dword v0, off, s[0:3], s33 offset:216 ; 4-byte Folded Spill
.LBB6_878:                              ;   in Loop: Header=BB6_128 Depth=2
	s_or_b64 exec, exec, s[90:91]
                                        ; implicit-def: $vgpr0
.LBB6_879:                              ;   in Loop: Header=BB6_128 Depth=2
	s_andn2_saveexec_b64 s[20:21], s[88:89]
	s_cbranch_execz .LBB6_881
; %bb.880:                              ;   in Loop: Header=BB6_128 Depth=2
	v_or_b32_e32 v0, 0x7e, v0
	buffer_store_dword v0, off, s[0:3], s33 offset:216 ; 4-byte Folded Spill
.LBB6_881:                              ;   in Loop: Header=BB6_128 Depth=2
	s_or_b64 exec, exec, s[20:21]
                                        ; implicit-def: $vgpr4
.LBB6_882:                              ;   in Loop: Header=BB6_128 Depth=2
	s_andn2_saveexec_b64 s[20:21], s[78:79]
	s_cbranch_execz .LBB6_884
; %bb.883:                              ;   in Loop: Header=BB6_128 Depth=2
	v_or_b32_sdwa v0, v4, s51 dst_sel:DWORD dst_unused:UNUSED_PAD src0_sel:BYTE_3 src1_sel:DWORD
	buffer_store_dword v0, off, s[0:3], s33 offset:216 ; 4-byte Folded Spill
.LBB6_884:                              ;   in Loop: Header=BB6_128 Depth=2
	s_or_b64 exec, exec, s[20:21]
	v_lshrrev_b32_e32 v14, 16, v10
	v_cmp_ne_u16_sdwa s[78:79], v14, v53 src0_sel:BYTE_0 src1_sel:DWORD
	v_mov_b32_e32 v0, 0
	s_and_saveexec_b64 s[20:21], s[78:79]
	s_cbranch_execz .LBB6_890
; %bb.885:                              ;   in Loop: Header=BB6_128 Depth=2
	v_cmp_ne_u16_sdwa s[88:89], v14, s53 src0_sel:BYTE_0 src1_sel:DWORD
	v_bfrev_b32_e32 v0, 1
	s_and_saveexec_b64 s[78:79], s[88:89]
	s_cbranch_execz .LBB6_889
; %bb.886:                              ;   in Loop: Header=BB6_128 Depth=2
	v_bfe_u32 v4, v10, 16, 7
	v_cmp_ne_u32_e32 vcc, s51, v4
	v_mov_b32_e32 v0, 0x7f800001
	s_and_saveexec_b64 s[88:89], vcc
	s_cbranch_execz .LBB6_888
; %bb.887:                              ;   in Loop: Header=BB6_128 Depth=2
	v_and_b32_e32 v0, 7, v14
	v_lshrrev_b32_e32 v6, 3, v4
	v_cmp_gt_u32_e32 vcc, 8, v4
	v_ffbh_u32_e32 v4, v0
	v_min_u32_e32 v4, 32, v4
	v_subrev_u32_e32 v9, 28, v4
	v_lshlrev_b64 v[15:16], v9, v[14:15]
	v_sub_u32_e32 v4, 29, v4
	v_and_b32_e32 v9, 7, v15
	v_cndmask_b32_e32 v4, v6, v4, vcc
	v_cndmask_b32_e32 v0, v0, v9, vcc
	v_lshlrev_b32_e32 v6, 24, v14
	v_bfrev_b32_e32 v1, 60
	v_lshlrev_b32_e32 v0, 20, v0
	v_and_b32_e32 v6, 0x80000000, v6
	v_lshl_add_u32 v4, v4, 23, v1
	v_or3_b32 v0, v6, v4, v0
.LBB6_888:                              ;   in Loop: Header=BB6_128 Depth=2
	s_or_b64 exec, exec, s[88:89]
.LBB6_889:                              ;   in Loop: Header=BB6_128 Depth=2
	s_or_b64 exec, exec, s[78:79]
.LBB6_890:                              ;   in Loop: Header=BB6_128 Depth=2
	s_or_b64 exec, exec, s[20:21]
	v_mul_f32_e32 v4, v17, v0
	v_and_b32_e32 v52, 0x7f800000, v4
	v_cmp_ne_u64_e32 vcc, s[56:57], v[52:53]
                                        ; implicit-def: $vgpr0
                                        ; kill: killed $vgpr0
	s_and_saveexec_b64 s[20:21], vcc
	s_xor_b64 s[78:79], exec, s[20:21]
	s_cbranch_execz .LBB6_904
; %bb.891:                              ;   in Loop: Header=BB6_128 Depth=2
	v_and_b32_e32 v52, 0x7fffffff, v4
	v_cmp_gt_u64_e32 vcc, s[58:59], v[52:53]
	v_and_b32_sdwa v0, v4, s53 dst_sel:DWORD dst_unused:UNUSED_PAD src0_sel:BYTE_3 src1_sel:DWORD
                                        ; implicit-def: $vgpr6
                                        ; kill: killed $vgpr6
	s_and_saveexec_b64 s[20:21], vcc
	s_xor_b64 s[88:89], exec, s[20:21]
	s_cbranch_execz .LBB6_901
; %bb.892:                              ;   in Loop: Header=BB6_128 Depth=2
	v_mov_b32_e32 v6, 0
	v_cmp_ne_u32_e32 vcc, 0, v4
	buffer_store_dword v6, off, s[0:3], s33 offset:236 ; 4-byte Folded Spill
	s_and_saveexec_b64 s[90:91], vcc
	s_cbranch_execz .LBB6_900
; %bb.893:                              ;   in Loop: Header=BB6_128 Depth=2
	v_and_b32_e32 v9, 0x7fffff, v4
	v_bfe_u32 v4, v4, 23, 8
	v_cmp_gt_u32_e64 s[20:21], s54, v4
	v_sub_u32_e32 v6, 0x79, v4
	v_cmp_eq_u32_e32 vcc, 0, v4
	v_cndmask_b32_e64 v6, 0, v6, s[20:21]
	v_mov_b32_e32 v15, 0x78
	v_or_b32_e32 v14, 0x800000, v9
	v_cndmask_b32_e32 v6, v6, v15, vcc
	v_cndmask_b32_e32 v52, v14, v9, vcc
	v_add_u32_e32 v9, 20, v6
	v_lshlrev_b64 v[14:15], v9, -1
	v_add_u32_e32 v9, 19, v6
	v_lshlrev_b64 v[18:19], v9, 1
	v_bfi_b32 v15, v15, 0, 0
	v_bfi_b32 v14, v14, 0, v52
	v_cmp_eq_u64_e64 s[20:21], v[14:15], v[18:19]
	v_lshrrev_b64 v[14:15], v6, v[52:53]
	v_mov_b32_e32 v16, v15
	v_mov_b32_e32 v15, v14
	s_and_saveexec_b64 s[92:93], s[20:21]
; %bb.894:                              ;   in Loop: Header=BB6_128 Depth=2
	v_bfe_u32 v9, v14, 20, 1
	v_add_co_u32_e64 v9, s[20:21], v14, v9
	v_add_co_u32_e64 v15, s[20:21], -1, v9
; %bb.895:                              ;   in Loop: Header=BB6_128 Depth=2
	s_or_b64 exec, exec, s[92:93]
	v_add_u32_e32 v4, 0xffffff81, v4
	v_mov_b32_e32 v9, 0xffffff82
	v_cndmask_b32_e32 v4, v4, v9, vcc
	v_lshrrev_b32_e32 v9, 23, v14
	v_add3_u32 v9, v6, v4, v9
	v_add_u32_e32 v6, 6, v9
	v_and_b32_e32 v4, 0xfffff, v15
	v_add_u32_e32 v52, v4, v14
	v_cmp_ne_u32_e32 vcc, 0, v6
                                        ; implicit-def: $vgpr14_vgpr15
                                        ; implicit-def: $vgpr4
	s_and_saveexec_b64 s[20:21], vcc
	s_xor_b64 s[20:21], exec, s[20:21]
; %bb.896:                              ;   in Loop: Header=BB6_128 Depth=2
	v_cmp_lt_u64_e32 vcc, s[60:61], v[52:53]
	v_add_u32_e32 v4, 7, v9
	v_cndmask_b32_e32 v4, v6, v4, vcc
	v_cndmask_b32_e64 v6, 0, 1, vcc
	v_lshrrev_b64 v[14:15], v6, v[52:53]
; %bb.897:                              ;   in Loop: Header=BB6_128 Depth=2
	s_andn2_saveexec_b64 s[20:21], s[20:21]
; %bb.898:                              ;   in Loop: Header=BB6_128 Depth=2
	v_mov_b32_e32 v14, v52
	v_bfe_u32 v4, v52, 23, 1
	v_mov_b32_e32 v15, v53
; %bb.899:                              ;   in Loop: Header=BB6_128 Depth=2
	s_or_b64 exec, exec, s[20:21]
	v_lshrrev_b64 v[14:15], 20, v[14:15]
	v_cmp_gt_i32_e32 vcc, 16, v4
	v_cndmask_b32_e32 v15, 0, v15, vcc
	v_cndmask_b32_e32 v14, 7, v14, vcc
	v_cmp_eq_u32_e32 vcc, 0, v4
	v_min_i32_e32 v4, 15, v4
	v_cmp_eq_u64_e64 s[20:21], 0, v[14:15]
	v_lshlrev_b32_e32 v4, 3, v4
	v_and_b32_e32 v4, 0xf8, v4
	v_and_or_b32 v4, v14, 7, v4
	s_and_b64 s[20:21], vcc, s[20:21]
	v_cndmask_b32_e64 v4, v4, 0, s[20:21]
	v_or_b32_e32 v0, v4, v0
	buffer_store_dword v0, off, s[0:3], s33 offset:236 ; 4-byte Folded Spill
.LBB6_900:                              ;   in Loop: Header=BB6_128 Depth=2
	s_or_b64 exec, exec, s[90:91]
                                        ; implicit-def: $vgpr0
.LBB6_901:                              ;   in Loop: Header=BB6_128 Depth=2
	s_andn2_saveexec_b64 s[20:21], s[88:89]
	s_cbranch_execz .LBB6_903
; %bb.902:                              ;   in Loop: Header=BB6_128 Depth=2
	v_or_b32_e32 v0, 0x7e, v0
	buffer_store_dword v0, off, s[0:3], s33 offset:236 ; 4-byte Folded Spill
.LBB6_903:                              ;   in Loop: Header=BB6_128 Depth=2
	s_or_b64 exec, exec, s[20:21]
                                        ; implicit-def: $vgpr4
.LBB6_904:                              ;   in Loop: Header=BB6_128 Depth=2
	s_andn2_saveexec_b64 s[20:21], s[78:79]
	s_cbranch_execz .LBB6_906
; %bb.905:                              ;   in Loop: Header=BB6_128 Depth=2
	v_or_b32_sdwa v0, v4, s51 dst_sel:DWORD dst_unused:UNUSED_PAD src0_sel:BYTE_3 src1_sel:DWORD
	buffer_store_dword v0, off, s[0:3], s33 offset:236 ; 4-byte Folded Spill
.LBB6_906:                              ;   in Loop: Header=BB6_128 Depth=2
	s_or_b64 exec, exec, s[20:21]
	v_cmp_lt_u32_e32 vcc, s63, v10
	v_mov_b32_e32 v0, 0
	s_and_saveexec_b64 s[20:21], vcc
	s_cbranch_execz .LBB6_912
; %bb.907:                              ;   in Loop: Header=BB6_128 Depth=2
	v_lshrrev_b32_e32 v14, 24, v10
	v_cmp_ne_u32_e32 vcc, s53, v14
	v_bfrev_b32_e32 v0, 1
	s_and_saveexec_b64 s[78:79], vcc
	s_cbranch_execz .LBB6_911
; %bb.908:                              ;   in Loop: Header=BB6_128 Depth=2
	v_bfe_u32 v4, v10, 24, 7
	v_cmp_ne_u32_e32 vcc, s51, v4
	v_mov_b32_e32 v0, 0x7f800001
	s_and_saveexec_b64 s[88:89], vcc
	s_cbranch_execz .LBB6_910
; %bb.909:                              ;   in Loop: Header=BB6_128 Depth=2
	v_and_b32_e32 v0, 7, v14
	v_lshrrev_b32_e32 v6, 3, v4
	v_cmp_gt_u32_e32 vcc, 8, v4
	v_ffbh_u32_e32 v4, v0
	v_min_u32_e32 v4, 32, v4
	v_subrev_u32_e32 v9, 28, v4
	v_lshlrev_b64 v[15:16], v9, v[14:15]
	v_sub_u32_e32 v4, 29, v4
	v_and_b32_e32 v9, 7, v15
	v_cndmask_b32_e32 v4, v6, v4, vcc
	v_cndmask_b32_e32 v0, v0, v9, vcc
	v_lshlrev_b32_e32 v6, 24, v14
	v_bfrev_b32_e32 v1, 60
	v_lshlrev_b32_e32 v0, 20, v0
	v_and_b32_e32 v6, 0x80000000, v6
	v_lshl_add_u32 v4, v4, 23, v1
	v_or3_b32 v0, v6, v4, v0
.LBB6_910:                              ;   in Loop: Header=BB6_128 Depth=2
	s_or_b64 exec, exec, s[88:89]
.LBB6_911:                              ;   in Loop: Header=BB6_128 Depth=2
	s_or_b64 exec, exec, s[78:79]
.LBB6_912:                              ;   in Loop: Header=BB6_128 Depth=2
	s_or_b64 exec, exec, s[20:21]
	v_mul_f32_e32 v4, v17, v0
	v_and_b32_e32 v52, 0x7f800000, v4
	v_cmp_ne_u64_e32 vcc, s[56:57], v[52:53]
                                        ; implicit-def: $vgpr0
                                        ; kill: killed $vgpr0
	s_and_saveexec_b64 s[20:21], vcc
	s_xor_b64 s[78:79], exec, s[20:21]
	s_cbranch_execz .LBB6_926
; %bb.913:                              ;   in Loop: Header=BB6_128 Depth=2
	v_and_b32_e32 v52, 0x7fffffff, v4
	v_cmp_gt_u64_e32 vcc, s[58:59], v[52:53]
	v_and_b32_sdwa v0, v4, s53 dst_sel:DWORD dst_unused:UNUSED_PAD src0_sel:BYTE_3 src1_sel:DWORD
                                        ; implicit-def: $vgpr1
                                        ; kill: killed $vgpr1
	s_and_saveexec_b64 s[20:21], vcc
	s_xor_b64 s[88:89], exec, s[20:21]
	s_cbranch_execz .LBB6_923
; %bb.914:                              ;   in Loop: Header=BB6_128 Depth=2
	v_mov_b32_e32 v1, 0
	v_cmp_ne_u32_e32 vcc, 0, v4
	buffer_store_dword v1, off, s[0:3], s33 offset:252 ; 4-byte Folded Spill
	s_and_saveexec_b64 s[90:91], vcc
	s_cbranch_execz .LBB6_922
; %bb.915:                              ;   in Loop: Header=BB6_128 Depth=2
	v_and_b32_e32 v9, 0x7fffff, v4
	v_bfe_u32 v4, v4, 23, 8
	v_cmp_gt_u32_e64 s[20:21], s54, v4
	v_sub_u32_e32 v6, 0x79, v4
	v_cmp_eq_u32_e32 vcc, 0, v4
	v_cndmask_b32_e64 v6, 0, v6, s[20:21]
	v_mov_b32_e32 v15, 0x78
	v_or_b32_e32 v14, 0x800000, v9
	v_cndmask_b32_e32 v6, v6, v15, vcc
	v_cndmask_b32_e32 v52, v14, v9, vcc
	v_add_u32_e32 v9, 20, v6
	v_lshlrev_b64 v[14:15], v9, -1
	v_add_u32_e32 v9, 19, v6
	v_lshlrev_b64 v[18:19], v9, 1
	v_bfi_b32 v15, v15, 0, 0
	v_bfi_b32 v14, v14, 0, v52
	v_cmp_eq_u64_e64 s[20:21], v[14:15], v[18:19]
	v_lshrrev_b64 v[14:15], v6, v[52:53]
	v_mov_b32_e32 v16, v15
	v_mov_b32_e32 v15, v14
	s_and_saveexec_b64 s[92:93], s[20:21]
; %bb.916:                              ;   in Loop: Header=BB6_128 Depth=2
	v_bfe_u32 v9, v14, 20, 1
	v_add_co_u32_e64 v9, s[20:21], v14, v9
	v_add_co_u32_e64 v15, s[20:21], -1, v9
; %bb.917:                              ;   in Loop: Header=BB6_128 Depth=2
	s_or_b64 exec, exec, s[92:93]
	v_add_u32_e32 v4, 0xffffff81, v4
	v_mov_b32_e32 v9, 0xffffff82
	v_cndmask_b32_e32 v4, v4, v9, vcc
	v_lshrrev_b32_e32 v9, 23, v14
	v_add3_u32 v9, v6, v4, v9
	v_add_u32_e32 v6, 6, v9
	v_and_b32_e32 v4, 0xfffff, v15
	v_add_u32_e32 v52, v4, v14
	v_cmp_ne_u32_e32 vcc, 0, v6
                                        ; implicit-def: $vgpr14_vgpr15
                                        ; implicit-def: $vgpr4
	s_and_saveexec_b64 s[20:21], vcc
	s_xor_b64 s[20:21], exec, s[20:21]
; %bb.918:                              ;   in Loop: Header=BB6_128 Depth=2
	v_cmp_lt_u64_e32 vcc, s[60:61], v[52:53]
	v_add_u32_e32 v4, 7, v9
	v_cndmask_b32_e32 v4, v6, v4, vcc
	v_cndmask_b32_e64 v6, 0, 1, vcc
	v_lshrrev_b64 v[14:15], v6, v[52:53]
; %bb.919:                              ;   in Loop: Header=BB6_128 Depth=2
	s_andn2_saveexec_b64 s[20:21], s[20:21]
; %bb.920:                              ;   in Loop: Header=BB6_128 Depth=2
	v_mov_b32_e32 v14, v52
	v_bfe_u32 v4, v52, 23, 1
	v_mov_b32_e32 v15, v53
; %bb.921:                              ;   in Loop: Header=BB6_128 Depth=2
	s_or_b64 exec, exec, s[20:21]
	v_lshrrev_b64 v[14:15], 20, v[14:15]
	v_cmp_gt_i32_e32 vcc, 16, v4
	v_cndmask_b32_e32 v15, 0, v15, vcc
	v_cndmask_b32_e32 v14, 7, v14, vcc
	v_cmp_eq_u32_e32 vcc, 0, v4
	v_min_i32_e32 v4, 15, v4
	v_cmp_eq_u64_e64 s[20:21], 0, v[14:15]
	v_lshlrev_b32_e32 v4, 3, v4
	v_and_b32_e32 v4, 0xf8, v4
	v_and_or_b32 v4, v14, 7, v4
	s_and_b64 s[20:21], vcc, s[20:21]
	v_cndmask_b32_e64 v4, v4, 0, s[20:21]
	v_or_b32_e32 v0, v4, v0
	buffer_store_dword v0, off, s[0:3], s33 offset:252 ; 4-byte Folded Spill
.LBB6_922:                              ;   in Loop: Header=BB6_128 Depth=2
	s_or_b64 exec, exec, s[90:91]
                                        ; implicit-def: $vgpr0
.LBB6_923:                              ;   in Loop: Header=BB6_128 Depth=2
	s_andn2_saveexec_b64 s[20:21], s[88:89]
	s_cbranch_execz .LBB6_925
; %bb.924:                              ;   in Loop: Header=BB6_128 Depth=2
	v_or_b32_e32 v0, 0x7e, v0
	buffer_store_dword v0, off, s[0:3], s33 offset:252 ; 4-byte Folded Spill
.LBB6_925:                              ;   in Loop: Header=BB6_128 Depth=2
	s_or_b64 exec, exec, s[20:21]
                                        ; implicit-def: $vgpr4
.LBB6_926:                              ;   in Loop: Header=BB6_128 Depth=2
	s_andn2_saveexec_b64 s[20:21], s[78:79]
	s_cbranch_execz .LBB6_928
; %bb.927:                              ;   in Loop: Header=BB6_128 Depth=2
	v_or_b32_sdwa v0, v4, s51 dst_sel:DWORD dst_unused:UNUSED_PAD src0_sel:BYTE_3 src1_sel:DWORD
	buffer_store_dword v0, off, s[0:3], s33 offset:252 ; 4-byte Folded Spill
.LBB6_928:                              ;   in Loop: Header=BB6_128 Depth=2
	s_or_b64 exec, exec, s[20:21]
	v_mov_b32_e32 v52, v11
	v_cmp_ne_u16_sdwa s[78:79], v11, v53 src0_sel:BYTE_0 src1_sel:DWORD
	v_mov_b32_e32 v0, 0
	s_and_saveexec_b64 s[20:21], s[78:79]
	s_cbranch_execz .LBB6_934
; %bb.929:                              ;   in Loop: Header=BB6_128 Depth=2
	v_cmp_ne_u16_sdwa s[88:89], v11, s53 src0_sel:BYTE_0 src1_sel:DWORD
	v_bfrev_b32_e32 v0, 1
	s_and_saveexec_b64 s[78:79], s[88:89]
	s_cbranch_execz .LBB6_933
; %bb.930:                              ;   in Loop: Header=BB6_128 Depth=2
	v_and_b32_e32 v4, 0x7f, v11
	v_cmp_ne_u32_e32 vcc, s51, v4
	v_mov_b32_e32 v0, 0x7f800001
	s_and_saveexec_b64 s[88:89], vcc
	s_cbranch_execz .LBB6_932
; %bb.931:                              ;   in Loop: Header=BB6_128 Depth=2
	v_and_b32_e32 v0, 7, v11
	v_ffbh_u32_e32 v0, v0
	v_min_u32_e32 v0, 32, v0
	v_lshrrev_b32_e32 v6, 3, v4
	v_cmp_gt_u32_e32 vcc, 8, v4
	v_subrev_u32_e32 v4, 28, v0
	v_cndmask_b32_e32 v4, 0, v4, vcc
	v_lshlrev_b64 v[14:15], v4, v[52:53]
	v_sub_u32_e32 v0, 29, v0
	v_cndmask_b32_e32 v0, v6, v0, vcc
	v_lshlrev_b32_e32 v4, 20, v14
	v_lshlrev_b32_e32 v6, 24, v52
	v_bfrev_b32_e32 v1, 60
	v_and_b32_e32 v4, 0x700000, v4
	v_and_b32_e32 v6, 0x80000000, v6
	v_lshl_add_u32 v0, v0, 23, v1
	v_or3_b32 v0, v6, v0, v4
.LBB6_932:                              ;   in Loop: Header=BB6_128 Depth=2
	s_or_b64 exec, exec, s[88:89]
.LBB6_933:                              ;   in Loop: Header=BB6_128 Depth=2
	s_or_b64 exec, exec, s[78:79]
.LBB6_934:                              ;   in Loop: Header=BB6_128 Depth=2
	s_or_b64 exec, exec, s[20:21]
	v_mul_f32_e32 v4, v17, v0
	v_and_b32_e32 v14, 0x7f800000, v4
	v_mov_b32_e32 v15, v53
	v_cmp_ne_u64_e32 vcc, s[56:57], v[14:15]
                                        ; implicit-def: $vgpr51
	s_and_saveexec_b64 s[20:21], vcc
	s_xor_b64 s[78:79], exec, s[20:21]
	s_cbranch_execz .LBB6_948
; %bb.935:                              ;   in Loop: Header=BB6_128 Depth=2
	v_and_b32_e32 v14, 0x7fffffff, v4
	v_mov_b32_e32 v15, v53
	v_cmp_gt_u64_e32 vcc, s[58:59], v[14:15]
	v_and_b32_sdwa v0, v4, s53 dst_sel:DWORD dst_unused:UNUSED_PAD src0_sel:BYTE_3 src1_sel:DWORD
                                        ; implicit-def: $vgpr51
	s_and_saveexec_b64 s[20:21], vcc
	s_xor_b64 s[88:89], exec, s[20:21]
	s_cbranch_execz .LBB6_945
; %bb.936:                              ;   in Loop: Header=BB6_128 Depth=2
	v_mov_b32_e32 v51, 0
	v_cmp_ne_u32_e32 vcc, 0, v4
	s_and_saveexec_b64 s[90:91], vcc
	s_cbranch_execz .LBB6_944
; %bb.937:                              ;   in Loop: Header=BB6_128 Depth=2
	v_and_b32_e32 v9, 0x7fffff, v4
	v_bfe_u32 v4, v4, 23, 8
	v_cmp_gt_u32_e64 s[20:21], s54, v4
	v_sub_u32_e32 v6, 0x79, v4
	v_cmp_eq_u32_e32 vcc, 0, v4
	v_cndmask_b32_e64 v6, 0, v6, s[20:21]
	v_mov_b32_e32 v15, 0x78
	v_or_b32_e32 v14, 0x800000, v9
	v_cndmask_b32_e32 v6, v6, v15, vcc
	v_cndmask_b32_e32 v14, v14, v9, vcc
	v_add_u32_e32 v9, 20, v6
	v_lshlrev_b64 v[18:19], v9, -1
	v_mov_b32_e32 v15, v53
	v_add_u32_e32 v9, 19, v6
	v_bfi_b32 v18, v18, 0, v14
	v_lshlrev_b64 v[20:21], v9, 1
	v_lshrrev_b64 v[14:15], v6, v[14:15]
	v_bfi_b32 v19, v19, 0, 0
	v_cmp_eq_u64_e64 s[20:21], v[18:19], v[20:21]
	v_mov_b32_e32 v16, v15
	v_mov_b32_e32 v15, v14
	s_and_saveexec_b64 s[92:93], s[20:21]
; %bb.938:                              ;   in Loop: Header=BB6_128 Depth=2
	v_bfe_u32 v9, v14, 20, 1
	v_add_co_u32_e64 v9, s[20:21], v14, v9
	v_add_co_u32_e64 v15, s[20:21], -1, v9
; %bb.939:                              ;   in Loop: Header=BB6_128 Depth=2
	s_or_b64 exec, exec, s[92:93]
	v_add_u32_e32 v4, 0xffffff81, v4
	v_mov_b32_e32 v9, 0xffffff82
	v_cndmask_b32_e32 v4, v4, v9, vcc
	v_lshrrev_b32_e32 v9, 23, v14
	v_add3_u32 v9, v6, v4, v9
	v_add_u32_e32 v6, 6, v9
	v_and_b32_e32 v4, 0xfffff, v15
	v_add_u32_e32 v14, v4, v14
	v_mov_b32_e32 v15, v53
	v_cmp_ne_u32_e32 vcc, 0, v6
                                        ; implicit-def: $vgpr4
	s_and_saveexec_b64 s[20:21], vcc
	s_xor_b64 s[20:21], exec, s[20:21]
; %bb.940:                              ;   in Loop: Header=BB6_128 Depth=2
	v_cmp_lt_u64_e32 vcc, s[60:61], v[14:15]
	v_add_u32_e32 v4, 7, v9
	v_cndmask_b32_e32 v4, v6, v4, vcc
	v_cndmask_b32_e64 v6, 0, 1, vcc
	v_lshrrev_b64 v[14:15], v6, v[14:15]
; %bb.941:                              ;   in Loop: Header=BB6_128 Depth=2
	s_andn2_saveexec_b64 s[20:21], s[20:21]
; %bb.942:                              ;   in Loop: Header=BB6_128 Depth=2
	v_bfe_u32 v4, v14, 23, 1
; %bb.943:                              ;   in Loop: Header=BB6_128 Depth=2
	s_or_b64 exec, exec, s[20:21]
	v_lshrrev_b64 v[14:15], 20, v[14:15]
	v_cmp_gt_i32_e32 vcc, 16, v4
	v_cndmask_b32_e32 v15, 0, v15, vcc
	v_cndmask_b32_e32 v14, 7, v14, vcc
	v_cmp_eq_u32_e32 vcc, 0, v4
	v_min_i32_e32 v4, 15, v4
	v_cmp_eq_u64_e64 s[20:21], 0, v[14:15]
	v_lshlrev_b32_e32 v4, 3, v4
	v_and_b32_e32 v4, 0xf8, v4
	v_and_or_b32 v4, v14, 7, v4
	s_and_b64 s[20:21], vcc, s[20:21]
	v_cndmask_b32_e64 v4, v4, 0, s[20:21]
	v_or_b32_e32 v51, v4, v0
.LBB6_944:                              ;   in Loop: Header=BB6_128 Depth=2
	s_or_b64 exec, exec, s[90:91]
                                        ; implicit-def: $vgpr0
.LBB6_945:                              ;   in Loop: Header=BB6_128 Depth=2
	s_andn2_saveexec_b64 s[20:21], s[88:89]
; %bb.946:                              ;   in Loop: Header=BB6_128 Depth=2
	v_or_b32_e32 v51, 0x7e, v0
; %bb.947:                              ;   in Loop: Header=BB6_128 Depth=2
	s_or_b64 exec, exec, s[20:21]
                                        ; implicit-def: $vgpr4
.LBB6_948:                              ;   in Loop: Header=BB6_128 Depth=2
	s_andn2_saveexec_b64 s[20:21], s[78:79]
; %bb.949:                              ;   in Loop: Header=BB6_128 Depth=2
	v_or_b32_sdwa v51, v4, s51 dst_sel:DWORD dst_unused:UNUSED_PAD src0_sel:BYTE_3 src1_sel:DWORD
; %bb.950:                              ;   in Loop: Header=BB6_128 Depth=2
	s_or_b64 exec, exec, s[20:21]
	v_lshrrev_b16_e32 v14, 8, v52
	v_cmp_ne_u16_e32 vcc, 0, v14
	v_mov_b32_e32 v0, 0
	s_and_saveexec_b64 s[20:21], vcc
	s_cbranch_execz .LBB6_956
; %bb.951:                              ;   in Loop: Header=BB6_128 Depth=2
	v_cmp_ne_u16_e32 vcc, s53, v14
	v_bfrev_b32_e32 v0, 1
	s_and_saveexec_b64 s[78:79], vcc
	s_cbranch_execz .LBB6_955
; %bb.952:                              ;   in Loop: Header=BB6_128 Depth=2
	v_and_b32_e32 v4, 0x7f, v14
	v_cmp_ne_u32_e32 vcc, s51, v4
	v_mov_b32_e32 v0, 0x7f800001
	s_and_saveexec_b64 s[88:89], vcc
	s_cbranch_execz .LBB6_954
; %bb.953:                              ;   in Loop: Header=BB6_128 Depth=2
	v_and_b32_e32 v0, 7, v14
	v_lshrrev_b32_e32 v6, 3, v4
	v_cmp_gt_u32_e32 vcc, 8, v4
	v_ffbh_u32_e32 v4, v0
	v_min_u32_e32 v4, 32, v4
	v_subrev_u32_e32 v9, 28, v4
	v_lshlrev_b64 v[14:15], v9, v[14:15]
	v_sub_u32_e32 v4, 29, v4
	v_and_b32_e32 v9, 7, v14
	v_cndmask_b32_e32 v4, v6, v4, vcc
	v_cndmask_b32_e32 v0, v0, v9, vcc
	v_lshlrev_b32_e32 v6, 16, v52
	v_bfrev_b32_e32 v1, 60
	v_lshlrev_b32_e32 v0, 20, v0
	v_and_b32_e32 v6, 0x80000000, v6
	v_lshl_add_u32 v4, v4, 23, v1
	v_or3_b32 v0, v6, v4, v0
.LBB6_954:                              ;   in Loop: Header=BB6_128 Depth=2
	s_or_b64 exec, exec, s[88:89]
.LBB6_955:                              ;   in Loop: Header=BB6_128 Depth=2
	s_or_b64 exec, exec, s[78:79]
.LBB6_956:                              ;   in Loop: Header=BB6_128 Depth=2
	s_or_b64 exec, exec, s[20:21]
	v_mul_f32_e32 v4, v17, v0
	v_and_b32_e32 v52, 0x7f800000, v4
	v_cmp_ne_u64_e32 vcc, s[56:57], v[52:53]
                                        ; implicit-def: $vgpr0
                                        ; kill: killed $vgpr0
	s_and_saveexec_b64 s[20:21], vcc
	s_xor_b64 s[78:79], exec, s[20:21]
	s_cbranch_execz .LBB6_970
; %bb.957:                              ;   in Loop: Header=BB6_128 Depth=2
	v_and_b32_e32 v52, 0x7fffffff, v4
	v_cmp_gt_u64_e32 vcc, s[58:59], v[52:53]
	v_and_b32_sdwa v0, v4, s53 dst_sel:DWORD dst_unused:UNUSED_PAD src0_sel:BYTE_3 src1_sel:DWORD
                                        ; implicit-def: $vgpr6
                                        ; kill: killed $vgpr6
	s_and_saveexec_b64 s[20:21], vcc
	s_xor_b64 s[88:89], exec, s[20:21]
	s_cbranch_execz .LBB6_967
; %bb.958:                              ;   in Loop: Header=BB6_128 Depth=2
	v_mov_b32_e32 v6, 0
	v_cmp_ne_u32_e32 vcc, 0, v4
	buffer_store_dword v6, off, s[0:3], s33 offset:200 ; 4-byte Folded Spill
	s_and_saveexec_b64 s[90:91], vcc
	s_cbranch_execz .LBB6_966
; %bb.959:                              ;   in Loop: Header=BB6_128 Depth=2
	v_and_b32_e32 v9, 0x7fffff, v4
	v_bfe_u32 v4, v4, 23, 8
	v_cmp_gt_u32_e64 s[20:21], s54, v4
	v_sub_u32_e32 v6, 0x79, v4
	v_cmp_eq_u32_e32 vcc, 0, v4
	v_cndmask_b32_e64 v6, 0, v6, s[20:21]
	v_mov_b32_e32 v15, 0x78
	v_or_b32_e32 v14, 0x800000, v9
	v_cndmask_b32_e32 v6, v6, v15, vcc
	v_cndmask_b32_e32 v52, v14, v9, vcc
	v_add_u32_e32 v9, 20, v6
	v_lshlrev_b64 v[14:15], v9, -1
	v_add_u32_e32 v9, 19, v6
	v_lshlrev_b64 v[18:19], v9, 1
	v_bfi_b32 v15, v15, 0, 0
	v_bfi_b32 v14, v14, 0, v52
	v_cmp_eq_u64_e64 s[20:21], v[14:15], v[18:19]
	v_lshrrev_b64 v[14:15], v6, v[52:53]
	v_mov_b32_e32 v16, v15
	v_mov_b32_e32 v15, v14
	s_and_saveexec_b64 s[92:93], s[20:21]
; %bb.960:                              ;   in Loop: Header=BB6_128 Depth=2
	v_bfe_u32 v9, v14, 20, 1
	v_add_co_u32_e64 v9, s[20:21], v14, v9
	v_add_co_u32_e64 v15, s[20:21], -1, v9
; %bb.961:                              ;   in Loop: Header=BB6_128 Depth=2
	s_or_b64 exec, exec, s[92:93]
	v_add_u32_e32 v4, 0xffffff81, v4
	v_mov_b32_e32 v9, 0xffffff82
	v_cndmask_b32_e32 v4, v4, v9, vcc
	v_lshrrev_b32_e32 v9, 23, v14
	v_add3_u32 v9, v6, v4, v9
	v_add_u32_e32 v6, 6, v9
	v_and_b32_e32 v4, 0xfffff, v15
	v_add_u32_e32 v52, v4, v14
	v_cmp_ne_u32_e32 vcc, 0, v6
                                        ; implicit-def: $vgpr14_vgpr15
                                        ; implicit-def: $vgpr4
	s_and_saveexec_b64 s[20:21], vcc
	s_xor_b64 s[20:21], exec, s[20:21]
; %bb.962:                              ;   in Loop: Header=BB6_128 Depth=2
	v_cmp_lt_u64_e32 vcc, s[60:61], v[52:53]
	v_add_u32_e32 v4, 7, v9
	v_cndmask_b32_e32 v4, v6, v4, vcc
	v_cndmask_b32_e64 v6, 0, 1, vcc
	v_lshrrev_b64 v[14:15], v6, v[52:53]
; %bb.963:                              ;   in Loop: Header=BB6_128 Depth=2
	s_andn2_saveexec_b64 s[20:21], s[20:21]
; %bb.964:                              ;   in Loop: Header=BB6_128 Depth=2
	v_mov_b32_e32 v14, v52
	v_bfe_u32 v4, v52, 23, 1
	v_mov_b32_e32 v15, v53
; %bb.965:                              ;   in Loop: Header=BB6_128 Depth=2
	s_or_b64 exec, exec, s[20:21]
	v_lshrrev_b64 v[14:15], 20, v[14:15]
	v_cmp_gt_i32_e32 vcc, 16, v4
	v_cndmask_b32_e32 v15, 0, v15, vcc
	v_cndmask_b32_e32 v14, 7, v14, vcc
	v_cmp_eq_u32_e32 vcc, 0, v4
	v_min_i32_e32 v4, 15, v4
	v_cmp_eq_u64_e64 s[20:21], 0, v[14:15]
	v_lshlrev_b32_e32 v4, 3, v4
	v_and_b32_e32 v4, 0xf8, v4
	v_and_or_b32 v4, v14, 7, v4
	s_and_b64 s[20:21], vcc, s[20:21]
	v_cndmask_b32_e64 v4, v4, 0, s[20:21]
	v_or_b32_e32 v0, v4, v0
	buffer_store_dword v0, off, s[0:3], s33 offset:200 ; 4-byte Folded Spill
.LBB6_966:                              ;   in Loop: Header=BB6_128 Depth=2
	s_or_b64 exec, exec, s[90:91]
                                        ; implicit-def: $vgpr0
.LBB6_967:                              ;   in Loop: Header=BB6_128 Depth=2
	s_andn2_saveexec_b64 s[20:21], s[88:89]
	s_cbranch_execz .LBB6_969
; %bb.968:                              ;   in Loop: Header=BB6_128 Depth=2
	v_or_b32_e32 v0, 0x7e, v0
	buffer_store_dword v0, off, s[0:3], s33 offset:200 ; 4-byte Folded Spill
.LBB6_969:                              ;   in Loop: Header=BB6_128 Depth=2
	s_or_b64 exec, exec, s[20:21]
                                        ; implicit-def: $vgpr4
.LBB6_970:                              ;   in Loop: Header=BB6_128 Depth=2
	s_andn2_saveexec_b64 s[20:21], s[78:79]
	s_cbranch_execz .LBB6_972
; %bb.971:                              ;   in Loop: Header=BB6_128 Depth=2
	v_or_b32_sdwa v0, v4, s51 dst_sel:DWORD dst_unused:UNUSED_PAD src0_sel:BYTE_3 src1_sel:DWORD
	buffer_store_dword v0, off, s[0:3], s33 offset:200 ; 4-byte Folded Spill
.LBB6_972:                              ;   in Loop: Header=BB6_128 Depth=2
	s_or_b64 exec, exec, s[20:21]
	v_lshrrev_b32_e32 v14, 16, v11
	v_cmp_ne_u16_sdwa s[78:79], v14, v53 src0_sel:BYTE_0 src1_sel:DWORD
	v_mov_b32_e32 v0, 0
	s_and_saveexec_b64 s[20:21], s[78:79]
	s_cbranch_execz .LBB6_978
; %bb.973:                              ;   in Loop: Header=BB6_128 Depth=2
	v_cmp_ne_u16_sdwa s[88:89], v14, s53 src0_sel:BYTE_0 src1_sel:DWORD
	v_bfrev_b32_e32 v0, 1
	s_and_saveexec_b64 s[78:79], s[88:89]
	s_cbranch_execz .LBB6_977
; %bb.974:                              ;   in Loop: Header=BB6_128 Depth=2
	v_bfe_u32 v4, v11, 16, 7
	v_cmp_ne_u32_e32 vcc, s51, v4
	v_mov_b32_e32 v0, 0x7f800001
	s_and_saveexec_b64 s[88:89], vcc
	s_cbranch_execz .LBB6_976
; %bb.975:                              ;   in Loop: Header=BB6_128 Depth=2
	v_and_b32_e32 v0, 7, v14
	v_lshrrev_b32_e32 v6, 3, v4
	v_cmp_gt_u32_e32 vcc, 8, v4
	v_ffbh_u32_e32 v4, v0
	v_min_u32_e32 v4, 32, v4
	v_subrev_u32_e32 v9, 28, v4
	v_lshlrev_b64 v[15:16], v9, v[14:15]
	v_sub_u32_e32 v4, 29, v4
	v_and_b32_e32 v9, 7, v15
	v_cndmask_b32_e32 v4, v6, v4, vcc
	v_cndmask_b32_e32 v0, v0, v9, vcc
	v_lshlrev_b32_e32 v6, 24, v14
	v_bfrev_b32_e32 v1, 60
	v_lshlrev_b32_e32 v0, 20, v0
	v_and_b32_e32 v6, 0x80000000, v6
	v_lshl_add_u32 v4, v4, 23, v1
	v_or3_b32 v0, v6, v4, v0
.LBB6_976:                              ;   in Loop: Header=BB6_128 Depth=2
	s_or_b64 exec, exec, s[88:89]
.LBB6_977:                              ;   in Loop: Header=BB6_128 Depth=2
	s_or_b64 exec, exec, s[78:79]
.LBB6_978:                              ;   in Loop: Header=BB6_128 Depth=2
	s_or_b64 exec, exec, s[20:21]
	v_mul_f32_e32 v4, v17, v0
	v_and_b32_e32 v52, 0x7f800000, v4
	v_cmp_ne_u64_e32 vcc, s[56:57], v[52:53]
                                        ; implicit-def: $vgpr0
                                        ; kill: killed $vgpr0
	s_and_saveexec_b64 s[20:21], vcc
	s_xor_b64 s[78:79], exec, s[20:21]
	s_cbranch_execz .LBB6_992
; %bb.979:                              ;   in Loop: Header=BB6_128 Depth=2
	v_and_b32_e32 v52, 0x7fffffff, v4
	v_cmp_gt_u64_e32 vcc, s[58:59], v[52:53]
	v_and_b32_sdwa v0, v4, s53 dst_sel:DWORD dst_unused:UNUSED_PAD src0_sel:BYTE_3 src1_sel:DWORD
                                        ; implicit-def: $vgpr6
                                        ; kill: killed $vgpr6
	s_and_saveexec_b64 s[20:21], vcc
	s_xor_b64 s[88:89], exec, s[20:21]
	s_cbranch_execz .LBB6_989
; %bb.980:                              ;   in Loop: Header=BB6_128 Depth=2
	v_mov_b32_e32 v6, 0
	v_cmp_ne_u32_e32 vcc, 0, v4
	buffer_store_dword v6, off, s[0:3], s33 offset:220 ; 4-byte Folded Spill
	s_and_saveexec_b64 s[90:91], vcc
	s_cbranch_execz .LBB6_988
; %bb.981:                              ;   in Loop: Header=BB6_128 Depth=2
	v_and_b32_e32 v9, 0x7fffff, v4
	v_bfe_u32 v4, v4, 23, 8
	v_cmp_gt_u32_e64 s[20:21], s54, v4
	v_sub_u32_e32 v6, 0x79, v4
	v_cmp_eq_u32_e32 vcc, 0, v4
	v_cndmask_b32_e64 v6, 0, v6, s[20:21]
	v_mov_b32_e32 v15, 0x78
	v_or_b32_e32 v14, 0x800000, v9
	v_cndmask_b32_e32 v6, v6, v15, vcc
	v_cndmask_b32_e32 v52, v14, v9, vcc
	v_add_u32_e32 v9, 20, v6
	v_lshlrev_b64 v[14:15], v9, -1
	v_add_u32_e32 v9, 19, v6
	v_lshlrev_b64 v[18:19], v9, 1
	v_bfi_b32 v15, v15, 0, 0
	v_bfi_b32 v14, v14, 0, v52
	v_cmp_eq_u64_e64 s[20:21], v[14:15], v[18:19]
	v_lshrrev_b64 v[14:15], v6, v[52:53]
	v_mov_b32_e32 v16, v15
	v_mov_b32_e32 v15, v14
	s_and_saveexec_b64 s[92:93], s[20:21]
; %bb.982:                              ;   in Loop: Header=BB6_128 Depth=2
	v_bfe_u32 v9, v14, 20, 1
	v_add_co_u32_e64 v9, s[20:21], v14, v9
	v_add_co_u32_e64 v15, s[20:21], -1, v9
; %bb.983:                              ;   in Loop: Header=BB6_128 Depth=2
	s_or_b64 exec, exec, s[92:93]
	v_add_u32_e32 v4, 0xffffff81, v4
	v_mov_b32_e32 v9, 0xffffff82
	v_cndmask_b32_e32 v4, v4, v9, vcc
	v_lshrrev_b32_e32 v9, 23, v14
	v_add3_u32 v9, v6, v4, v9
	v_add_u32_e32 v6, 6, v9
	v_and_b32_e32 v4, 0xfffff, v15
	v_add_u32_e32 v52, v4, v14
	v_cmp_ne_u32_e32 vcc, 0, v6
                                        ; implicit-def: $vgpr14_vgpr15
                                        ; implicit-def: $vgpr4
	s_and_saveexec_b64 s[20:21], vcc
	s_xor_b64 s[20:21], exec, s[20:21]
; %bb.984:                              ;   in Loop: Header=BB6_128 Depth=2
	v_cmp_lt_u64_e32 vcc, s[60:61], v[52:53]
	v_add_u32_e32 v4, 7, v9
	v_cndmask_b32_e32 v4, v6, v4, vcc
	v_cndmask_b32_e64 v6, 0, 1, vcc
	v_lshrrev_b64 v[14:15], v6, v[52:53]
; %bb.985:                              ;   in Loop: Header=BB6_128 Depth=2
	s_andn2_saveexec_b64 s[20:21], s[20:21]
; %bb.986:                              ;   in Loop: Header=BB6_128 Depth=2
	v_mov_b32_e32 v14, v52
	v_bfe_u32 v4, v52, 23, 1
	v_mov_b32_e32 v15, v53
; %bb.987:                              ;   in Loop: Header=BB6_128 Depth=2
	s_or_b64 exec, exec, s[20:21]
	v_lshrrev_b64 v[14:15], 20, v[14:15]
	v_cmp_gt_i32_e32 vcc, 16, v4
	v_cndmask_b32_e32 v15, 0, v15, vcc
	v_cndmask_b32_e32 v14, 7, v14, vcc
	v_cmp_eq_u32_e32 vcc, 0, v4
	v_min_i32_e32 v4, 15, v4
	v_cmp_eq_u64_e64 s[20:21], 0, v[14:15]
	v_lshlrev_b32_e32 v4, 3, v4
	v_and_b32_e32 v4, 0xf8, v4
	v_and_or_b32 v4, v14, 7, v4
	s_and_b64 s[20:21], vcc, s[20:21]
	v_cndmask_b32_e64 v4, v4, 0, s[20:21]
	v_or_b32_e32 v0, v4, v0
	buffer_store_dword v0, off, s[0:3], s33 offset:220 ; 4-byte Folded Spill
.LBB6_988:                              ;   in Loop: Header=BB6_128 Depth=2
	s_or_b64 exec, exec, s[90:91]
                                        ; implicit-def: $vgpr0
.LBB6_989:                              ;   in Loop: Header=BB6_128 Depth=2
	s_andn2_saveexec_b64 s[20:21], s[88:89]
	s_cbranch_execz .LBB6_991
; %bb.990:                              ;   in Loop: Header=BB6_128 Depth=2
	v_or_b32_e32 v0, 0x7e, v0
	buffer_store_dword v0, off, s[0:3], s33 offset:220 ; 4-byte Folded Spill
.LBB6_991:                              ;   in Loop: Header=BB6_128 Depth=2
	s_or_b64 exec, exec, s[20:21]
                                        ; implicit-def: $vgpr4
.LBB6_992:                              ;   in Loop: Header=BB6_128 Depth=2
	s_andn2_saveexec_b64 s[20:21], s[78:79]
	s_cbranch_execz .LBB6_994
; %bb.993:                              ;   in Loop: Header=BB6_128 Depth=2
	v_or_b32_sdwa v0, v4, s51 dst_sel:DWORD dst_unused:UNUSED_PAD src0_sel:BYTE_3 src1_sel:DWORD
	buffer_store_dword v0, off, s[0:3], s33 offset:220 ; 4-byte Folded Spill
.LBB6_994:                              ;   in Loop: Header=BB6_128 Depth=2
	s_or_b64 exec, exec, s[20:21]
	v_cmp_lt_u64_e32 vcc, s[62:63], v[10:11]
	v_mov_b32_e32 v0, 0
	s_and_saveexec_b64 s[20:21], vcc
	s_cbranch_execz .LBB6_1000
; %bb.995:                              ;   in Loop: Header=BB6_128 Depth=2
	v_lshrrev_b32_e32 v10, 24, v11
	v_cmp_ne_u32_e32 vcc, s53, v10
	v_bfrev_b32_e32 v0, 1
	s_and_saveexec_b64 s[78:79], vcc
	s_cbranch_execz .LBB6_999
; %bb.996:                              ;   in Loop: Header=BB6_128 Depth=2
	v_bfe_u32 v4, v11, 24, 7
	v_cmp_ne_u32_e32 vcc, s51, v4
	v_mov_b32_e32 v0, 0x7f800001
	s_and_saveexec_b64 s[88:89], vcc
	s_cbranch_execz .LBB6_998
; %bb.997:                              ;   in Loop: Header=BB6_128 Depth=2
	v_and_b32_e32 v0, 7, v10
	v_lshrrev_b32_e32 v6, 3, v4
	v_cmp_gt_u32_e32 vcc, 8, v4
	v_ffbh_u32_e32 v4, v0
	v_min_u32_e32 v4, 32, v4
	v_subrev_u32_e32 v9, 28, v4
	v_lshlrev_b64 v[14:15], v9, v[10:11]
	v_sub_u32_e32 v4, 29, v4
	v_and_b32_e32 v9, 7, v14
	v_cndmask_b32_e32 v4, v6, v4, vcc
	v_cndmask_b32_e32 v0, v0, v9, vcc
	v_lshlrev_b32_e32 v6, 24, v10
	v_bfrev_b32_e32 v1, 60
	v_lshlrev_b32_e32 v0, 20, v0
	v_and_b32_e32 v6, 0x80000000, v6
	v_lshl_add_u32 v4, v4, 23, v1
	v_or3_b32 v0, v6, v4, v0
.LBB6_998:                              ;   in Loop: Header=BB6_128 Depth=2
	s_or_b64 exec, exec, s[88:89]
.LBB6_999:                              ;   in Loop: Header=BB6_128 Depth=2
	s_or_b64 exec, exec, s[78:79]
.LBB6_1000:                             ;   in Loop: Header=BB6_128 Depth=2
	s_or_b64 exec, exec, s[20:21]
	v_mul_f32_e32 v4, v17, v0
	v_and_b32_e32 v52, 0x7f800000, v4
	v_cmp_ne_u64_e32 vcc, s[56:57], v[52:53]
                                        ; implicit-def: $vgpr0
                                        ; kill: killed $vgpr0
	s_and_saveexec_b64 s[20:21], vcc
	s_xor_b64 s[78:79], exec, s[20:21]
	s_cbranch_execz .LBB6_1014
; %bb.1001:                             ;   in Loop: Header=BB6_128 Depth=2
	v_and_b32_e32 v52, 0x7fffffff, v4
	v_cmp_gt_u64_e32 vcc, s[58:59], v[52:53]
	v_and_b32_sdwa v0, v4, s53 dst_sel:DWORD dst_unused:UNUSED_PAD src0_sel:BYTE_3 src1_sel:DWORD
                                        ; implicit-def: $vgpr6
                                        ; kill: killed $vgpr6
	s_and_saveexec_b64 s[20:21], vcc
	s_xor_b64 s[88:89], exec, s[20:21]
	s_cbranch_execz .LBB6_1011
; %bb.1002:                             ;   in Loop: Header=BB6_128 Depth=2
	v_mov_b32_e32 v6, 0
	v_cmp_ne_u32_e32 vcc, 0, v4
	buffer_store_dword v6, off, s[0:3], s33 offset:240 ; 4-byte Folded Spill
	s_and_saveexec_b64 s[90:91], vcc
	s_cbranch_execz .LBB6_1010
; %bb.1003:                             ;   in Loop: Header=BB6_128 Depth=2
	v_and_b32_e32 v9, 0x7fffff, v4
	v_bfe_u32 v4, v4, 23, 8
	v_cmp_gt_u32_e64 s[20:21], s54, v4
	v_sub_u32_e32 v6, 0x79, v4
	v_cmp_eq_u32_e32 vcc, 0, v4
	v_cndmask_b32_e64 v6, 0, v6, s[20:21]
	v_mov_b32_e32 v11, 0x78
	v_or_b32_e32 v10, 0x800000, v9
	v_cndmask_b32_e32 v6, v6, v11, vcc
	v_cndmask_b32_e32 v52, v10, v9, vcc
	v_add_u32_e32 v9, 20, v6
	v_lshlrev_b64 v[9:10], v9, -1
	v_add_u32_e32 v11, 19, v6
	v_lshlrev_b64 v[14:15], v11, 1
	v_bfi_b32 v10, v10, 0, 0
	v_bfi_b32 v9, v9, 0, v52
	v_cmp_eq_u64_e64 s[20:21], v[9:10], v[14:15]
	v_lshrrev_b64 v[10:11], v6, v[52:53]
	v_mov_b32_e32 v15, v11
	v_mov_b32_e32 v14, v10
	s_and_saveexec_b64 s[92:93], s[20:21]
; %bb.1004:                             ;   in Loop: Header=BB6_128 Depth=2
	v_bfe_u32 v9, v10, 20, 1
	v_add_co_u32_e64 v9, s[20:21], v10, v9
	v_add_co_u32_e64 v14, s[20:21], -1, v9
; %bb.1005:                             ;   in Loop: Header=BB6_128 Depth=2
	s_or_b64 exec, exec, s[92:93]
	v_add_u32_e32 v4, 0xffffff81, v4
	v_mov_b32_e32 v9, 0xffffff82
	v_cndmask_b32_e32 v4, v4, v9, vcc
	v_lshrrev_b32_e32 v9, 23, v10
	v_add3_u32 v9, v6, v4, v9
	v_add_u32_e32 v6, 6, v9
	v_and_b32_e32 v4, 0xfffff, v14
	v_add_u32_e32 v52, v4, v10
	v_cmp_ne_u32_e32 vcc, 0, v6
                                        ; implicit-def: $vgpr10_vgpr11
                                        ; implicit-def: $vgpr4
	s_and_saveexec_b64 s[20:21], vcc
	s_xor_b64 s[20:21], exec, s[20:21]
; %bb.1006:                             ;   in Loop: Header=BB6_128 Depth=2
	v_cmp_lt_u64_e32 vcc, s[60:61], v[52:53]
	v_add_u32_e32 v4, 7, v9
	v_cndmask_b32_e32 v4, v6, v4, vcc
	v_cndmask_b32_e64 v6, 0, 1, vcc
	v_lshrrev_b64 v[10:11], v6, v[52:53]
; %bb.1007:                             ;   in Loop: Header=BB6_128 Depth=2
	s_andn2_saveexec_b64 s[20:21], s[20:21]
; %bb.1008:                             ;   in Loop: Header=BB6_128 Depth=2
	v_mov_b32_e32 v10, v52
	v_bfe_u32 v4, v52, 23, 1
	v_mov_b32_e32 v11, v53
; %bb.1009:                             ;   in Loop: Header=BB6_128 Depth=2
	s_or_b64 exec, exec, s[20:21]
	v_lshrrev_b64 v[9:10], 20, v[10:11]
	v_cmp_gt_i32_e32 vcc, 16, v4
	v_cndmask_b32_e32 v10, 0, v10, vcc
	v_cndmask_b32_e32 v9, 7, v9, vcc
	v_cmp_eq_u32_e32 vcc, 0, v4
	v_min_i32_e32 v4, 15, v4
	v_cmp_eq_u64_e64 s[20:21], 0, v[9:10]
	v_lshlrev_b32_e32 v4, 3, v4
	v_and_b32_e32 v4, 0xf8, v4
	v_and_or_b32 v4, v9, 7, v4
	s_and_b64 s[20:21], vcc, s[20:21]
	v_cndmask_b32_e64 v4, v4, 0, s[20:21]
	v_or_b32_e32 v0, v4, v0
	buffer_store_dword v0, off, s[0:3], s33 offset:240 ; 4-byte Folded Spill
.LBB6_1010:                             ;   in Loop: Header=BB6_128 Depth=2
	s_or_b64 exec, exec, s[90:91]
                                        ; implicit-def: $vgpr0
.LBB6_1011:                             ;   in Loop: Header=BB6_128 Depth=2
	s_andn2_saveexec_b64 s[20:21], s[88:89]
	s_cbranch_execz .LBB6_1013
; %bb.1012:                             ;   in Loop: Header=BB6_128 Depth=2
	v_or_b32_e32 v0, 0x7e, v0
	buffer_store_dword v0, off, s[0:3], s33 offset:240 ; 4-byte Folded Spill
.LBB6_1013:                             ;   in Loop: Header=BB6_128 Depth=2
	s_or_b64 exec, exec, s[20:21]
                                        ; implicit-def: $vgpr4
.LBB6_1014:                             ;   in Loop: Header=BB6_128 Depth=2
	s_andn2_saveexec_b64 s[20:21], s[78:79]
	s_cbranch_execz .LBB6_1016
; %bb.1015:                             ;   in Loop: Header=BB6_128 Depth=2
	v_or_b32_sdwa v0, v4, s51 dst_sel:DWORD dst_unused:UNUSED_PAD src0_sel:BYTE_3 src1_sel:DWORD
	buffer_store_dword v0, off, s[0:3], s33 offset:240 ; 4-byte Folded Spill
.LBB6_1016:                             ;   in Loop: Header=BB6_128 Depth=2
	s_or_b64 exec, exec, s[20:21]
	v_cmp_ne_u16_sdwa s[78:79], v12, v53 src0_sel:BYTE_0 src1_sel:DWORD
	v_mov_b32_e32 v0, 0
	s_and_saveexec_b64 s[20:21], s[78:79]
	s_cbranch_execz .LBB6_1022
; %bb.1017:                             ;   in Loop: Header=BB6_128 Depth=2
	v_cmp_ne_u16_sdwa s[88:89], v12, s53 src0_sel:BYTE_0 src1_sel:DWORD
	v_bfrev_b32_e32 v0, 1
	s_and_saveexec_b64 s[78:79], s[88:89]
	s_cbranch_execz .LBB6_1021
; %bb.1018:                             ;   in Loop: Header=BB6_128 Depth=2
	v_and_b32_e32 v4, 0x7f, v12
	v_cmp_ne_u32_e32 vcc, s51, v4
	v_mov_b32_e32 v0, 0x7f800001
	s_and_saveexec_b64 s[88:89], vcc
	s_cbranch_execz .LBB6_1020
; %bb.1019:                             ;   in Loop: Header=BB6_128 Depth=2
	v_and_b32_e32 v0, 7, v12
	v_ffbh_u32_e32 v0, v0
	v_min_u32_e32 v0, 32, v0
	v_lshrrev_b32_e32 v6, 3, v4
	v_cmp_gt_u32_e32 vcc, 8, v4
	v_subrev_u32_e32 v4, 28, v0
	v_cndmask_b32_e32 v4, 0, v4, vcc
	v_lshlrev_b64 v[9:10], v4, v[12:13]
	v_sub_u32_e32 v0, 29, v0
	v_cndmask_b32_e32 v0, v6, v0, vcc
	v_lshlrev_b32_e32 v4, 20, v9
	v_lshlrev_b32_e32 v6, 24, v12
	v_bfrev_b32_e32 v1, 60
	v_and_b32_e32 v4, 0x700000, v4
	v_and_b32_e32 v6, 0x80000000, v6
	v_lshl_add_u32 v0, v0, 23, v1
	v_or3_b32 v0, v6, v0, v4
.LBB6_1020:                             ;   in Loop: Header=BB6_128 Depth=2
	s_or_b64 exec, exec, s[88:89]
.LBB6_1021:                             ;   in Loop: Header=BB6_128 Depth=2
	s_or_b64 exec, exec, s[78:79]
.LBB6_1022:                             ;   in Loop: Header=BB6_128 Depth=2
	s_or_b64 exec, exec, s[20:21]
	v_mul_f32_e32 v4, v17, v0
	v_and_b32_e32 v52, 0x7f800000, v4
	v_cmp_ne_u64_e32 vcc, s[56:57], v[52:53]
                                        ; implicit-def: $vgpr29
	s_and_saveexec_b64 s[20:21], vcc
	s_xor_b64 s[78:79], exec, s[20:21]
	s_cbranch_execz .LBB6_1036
; %bb.1023:                             ;   in Loop: Header=BB6_128 Depth=2
	v_and_b32_e32 v52, 0x7fffffff, v4
	v_cmp_gt_u64_e32 vcc, s[58:59], v[52:53]
	v_and_b32_sdwa v0, v4, s53 dst_sel:DWORD dst_unused:UNUSED_PAD src0_sel:BYTE_3 src1_sel:DWORD
                                        ; implicit-def: $vgpr29
	s_and_saveexec_b64 s[20:21], vcc
	s_xor_b64 s[88:89], exec, s[20:21]
	s_cbranch_execz .LBB6_1033
; %bb.1024:                             ;   in Loop: Header=BB6_128 Depth=2
	v_mov_b32_e32 v29, 0
	v_cmp_ne_u32_e32 vcc, 0, v4
	s_and_saveexec_b64 s[90:91], vcc
	s_cbranch_execz .LBB6_1032
; %bb.1025:                             ;   in Loop: Header=BB6_128 Depth=2
	v_and_b32_e32 v9, 0x7fffff, v4
	v_bfe_u32 v4, v4, 23, 8
	v_cmp_gt_u32_e64 s[20:21], s54, v4
	v_sub_u32_e32 v6, 0x79, v4
	v_cmp_eq_u32_e32 vcc, 0, v4
	v_cndmask_b32_e64 v6, 0, v6, s[20:21]
	v_mov_b32_e32 v11, 0x78
	v_or_b32_e32 v10, 0x800000, v9
	v_cndmask_b32_e32 v6, v6, v11, vcc
	v_cndmask_b32_e32 v52, v10, v9, vcc
	v_add_u32_e32 v9, 20, v6
	v_lshlrev_b64 v[9:10], v9, -1
	v_add_u32_e32 v11, 19, v6
	v_lshlrev_b64 v[14:15], v11, 1
	v_bfi_b32 v10, v10, 0, 0
	v_bfi_b32 v9, v9, 0, v52
	v_cmp_eq_u64_e64 s[20:21], v[9:10], v[14:15]
	v_lshrrev_b64 v[10:11], v6, v[52:53]
	v_mov_b32_e32 v15, v11
	v_mov_b32_e32 v14, v10
	s_and_saveexec_b64 s[92:93], s[20:21]
; %bb.1026:                             ;   in Loop: Header=BB6_128 Depth=2
	v_bfe_u32 v9, v10, 20, 1
	v_add_co_u32_e64 v9, s[20:21], v10, v9
	v_add_co_u32_e64 v14, s[20:21], -1, v9
; %bb.1027:                             ;   in Loop: Header=BB6_128 Depth=2
	s_or_b64 exec, exec, s[92:93]
	v_add_u32_e32 v4, 0xffffff81, v4
	v_mov_b32_e32 v9, 0xffffff82
	v_cndmask_b32_e32 v4, v4, v9, vcc
	v_lshrrev_b32_e32 v9, 23, v10
	v_add3_u32 v9, v6, v4, v9
	v_add_u32_e32 v6, 6, v9
	v_and_b32_e32 v4, 0xfffff, v14
	v_add_u32_e32 v52, v4, v10
	v_cmp_ne_u32_e32 vcc, 0, v6
                                        ; implicit-def: $vgpr10_vgpr11
                                        ; implicit-def: $vgpr4
	s_and_saveexec_b64 s[20:21], vcc
	s_xor_b64 s[20:21], exec, s[20:21]
; %bb.1028:                             ;   in Loop: Header=BB6_128 Depth=2
	v_cmp_lt_u64_e32 vcc, s[60:61], v[52:53]
	v_add_u32_e32 v4, 7, v9
	v_cndmask_b32_e32 v4, v6, v4, vcc
	v_cndmask_b32_e64 v6, 0, 1, vcc
	v_lshrrev_b64 v[10:11], v6, v[52:53]
; %bb.1029:                             ;   in Loop: Header=BB6_128 Depth=2
	s_andn2_saveexec_b64 s[20:21], s[20:21]
; %bb.1030:                             ;   in Loop: Header=BB6_128 Depth=2
	v_mov_b32_e32 v10, v52
	v_bfe_u32 v4, v52, 23, 1
	v_mov_b32_e32 v11, v53
; %bb.1031:                             ;   in Loop: Header=BB6_128 Depth=2
	s_or_b64 exec, exec, s[20:21]
	v_lshrrev_b64 v[9:10], 20, v[10:11]
	v_cmp_gt_i32_e32 vcc, 16, v4
	v_cndmask_b32_e32 v10, 0, v10, vcc
	v_cndmask_b32_e32 v9, 7, v9, vcc
	v_cmp_eq_u32_e32 vcc, 0, v4
	v_min_i32_e32 v4, 15, v4
	v_cmp_eq_u64_e64 s[20:21], 0, v[9:10]
	v_lshlrev_b32_e32 v4, 3, v4
	v_and_b32_e32 v4, 0xf8, v4
	v_and_or_b32 v4, v9, 7, v4
	s_and_b64 s[20:21], vcc, s[20:21]
	v_cndmask_b32_e64 v4, v4, 0, s[20:21]
	v_or_b32_e32 v29, v4, v0
.LBB6_1032:                             ;   in Loop: Header=BB6_128 Depth=2
	s_or_b64 exec, exec, s[90:91]
                                        ; implicit-def: $vgpr0
.LBB6_1033:                             ;   in Loop: Header=BB6_128 Depth=2
	s_andn2_saveexec_b64 s[20:21], s[88:89]
; %bb.1034:                             ;   in Loop: Header=BB6_128 Depth=2
	v_or_b32_e32 v29, 0x7e, v0
; %bb.1035:                             ;   in Loop: Header=BB6_128 Depth=2
	s_or_b64 exec, exec, s[20:21]
                                        ; implicit-def: $vgpr4
.LBB6_1036:                             ;   in Loop: Header=BB6_128 Depth=2
	s_andn2_saveexec_b64 s[20:21], s[78:79]
; %bb.1037:                             ;   in Loop: Header=BB6_128 Depth=2
	v_or_b32_sdwa v29, v4, s51 dst_sel:DWORD dst_unused:UNUSED_PAD src0_sel:BYTE_3 src1_sel:DWORD
; %bb.1038:                             ;   in Loop: Header=BB6_128 Depth=2
	s_or_b64 exec, exec, s[20:21]
	v_lshrrev_b16_e32 v10, 8, v12
	v_cmp_ne_u16_e32 vcc, 0, v10
	v_mov_b32_e32 v0, 0
	s_and_saveexec_b64 s[20:21], vcc
	s_cbranch_execz .LBB6_1044
; %bb.1039:                             ;   in Loop: Header=BB6_128 Depth=2
	v_cmp_ne_u16_e32 vcc, s53, v10
	v_bfrev_b32_e32 v0, 1
	s_and_saveexec_b64 s[78:79], vcc
	s_cbranch_execz .LBB6_1043
; %bb.1040:                             ;   in Loop: Header=BB6_128 Depth=2
	v_and_b32_e32 v4, 0x7f, v10
	v_cmp_ne_u32_e32 vcc, s51, v4
	v_mov_b32_e32 v0, 0x7f800001
	s_and_saveexec_b64 s[88:89], vcc
	s_cbranch_execz .LBB6_1042
; %bb.1041:                             ;   in Loop: Header=BB6_128 Depth=2
	v_and_b32_e32 v0, 7, v10
	v_lshrrev_b32_e32 v6, 3, v4
	v_cmp_gt_u32_e32 vcc, 8, v4
	v_ffbh_u32_e32 v4, v0
	v_min_u32_e32 v4, 32, v4
	v_subrev_u32_e32 v9, 28, v4
	v_lshlrev_b64 v[9:10], v9, v[10:11]
	v_sub_u32_e32 v4, 29, v4
	v_and_b32_e32 v9, 7, v9
	v_cndmask_b32_e32 v4, v6, v4, vcc
	v_cndmask_b32_e32 v0, v0, v9, vcc
	v_lshlrev_b32_e32 v6, 16, v12
	v_bfrev_b32_e32 v1, 60
	v_lshlrev_b32_e32 v0, 20, v0
	v_and_b32_e32 v6, 0x80000000, v6
	v_lshl_add_u32 v4, v4, 23, v1
	v_or3_b32 v0, v6, v4, v0
.LBB6_1042:                             ;   in Loop: Header=BB6_128 Depth=2
	s_or_b64 exec, exec, s[88:89]
.LBB6_1043:                             ;   in Loop: Header=BB6_128 Depth=2
	s_or_b64 exec, exec, s[78:79]
.LBB6_1044:                             ;   in Loop: Header=BB6_128 Depth=2
	s_or_b64 exec, exec, s[20:21]
	v_mul_f32_e32 v4, v17, v0
	v_and_b32_e32 v52, 0x7f800000, v4
	v_cmp_ne_u64_e32 vcc, s[56:57], v[52:53]
                                        ; implicit-def: $vgpr0
                                        ; kill: killed $vgpr0
	s_and_saveexec_b64 s[20:21], vcc
	s_xor_b64 s[78:79], exec, s[20:21]
	s_cbranch_execz .LBB6_1058
; %bb.1045:                             ;   in Loop: Header=BB6_128 Depth=2
	v_and_b32_e32 v52, 0x7fffffff, v4
	v_cmp_gt_u64_e32 vcc, s[58:59], v[52:53]
	v_and_b32_sdwa v0, v4, s53 dst_sel:DWORD dst_unused:UNUSED_PAD src0_sel:BYTE_3 src1_sel:DWORD
                                        ; implicit-def: $vgpr6
                                        ; kill: killed $vgpr6
	s_and_saveexec_b64 s[20:21], vcc
	s_xor_b64 s[88:89], exec, s[20:21]
	s_cbranch_execz .LBB6_1055
; %bb.1046:                             ;   in Loop: Header=BB6_128 Depth=2
	v_mov_b32_e32 v6, 0
	v_cmp_ne_u32_e32 vcc, 0, v4
	buffer_store_dword v6, off, s[0:3], s33 offset:188 ; 4-byte Folded Spill
	s_and_saveexec_b64 s[90:91], vcc
	s_cbranch_execz .LBB6_1054
; %bb.1047:                             ;   in Loop: Header=BB6_128 Depth=2
	v_and_b32_e32 v9, 0x7fffff, v4
	v_bfe_u32 v4, v4, 23, 8
	v_cmp_gt_u32_e64 s[20:21], s54, v4
	v_sub_u32_e32 v6, 0x79, v4
	v_cmp_eq_u32_e32 vcc, 0, v4
	v_cndmask_b32_e64 v6, 0, v6, s[20:21]
	v_mov_b32_e32 v11, 0x78
	v_or_b32_e32 v10, 0x800000, v9
	v_cndmask_b32_e32 v6, v6, v11, vcc
	v_cndmask_b32_e32 v52, v10, v9, vcc
	v_add_u32_e32 v9, 20, v6
	v_lshlrev_b64 v[9:10], v9, -1
	v_add_u32_e32 v11, 19, v6
	v_lshlrev_b64 v[14:15], v11, 1
	v_bfi_b32 v10, v10, 0, 0
	v_bfi_b32 v9, v9, 0, v52
	v_cmp_eq_u64_e64 s[20:21], v[9:10], v[14:15]
	v_lshrrev_b64 v[10:11], v6, v[52:53]
	v_mov_b32_e32 v15, v11
	v_mov_b32_e32 v14, v10
	s_and_saveexec_b64 s[92:93], s[20:21]
; %bb.1048:                             ;   in Loop: Header=BB6_128 Depth=2
	v_bfe_u32 v9, v10, 20, 1
	v_add_co_u32_e64 v9, s[20:21], v10, v9
	v_add_co_u32_e64 v14, s[20:21], -1, v9
; %bb.1049:                             ;   in Loop: Header=BB6_128 Depth=2
	s_or_b64 exec, exec, s[92:93]
	v_add_u32_e32 v4, 0xffffff81, v4
	v_mov_b32_e32 v9, 0xffffff82
	v_cndmask_b32_e32 v4, v4, v9, vcc
	v_lshrrev_b32_e32 v9, 23, v10
	v_add3_u32 v9, v6, v4, v9
	v_add_u32_e32 v6, 6, v9
	v_and_b32_e32 v4, 0xfffff, v14
	v_add_u32_e32 v52, v4, v10
	v_cmp_ne_u32_e32 vcc, 0, v6
                                        ; implicit-def: $vgpr10_vgpr11
                                        ; implicit-def: $vgpr4
	s_and_saveexec_b64 s[20:21], vcc
	s_xor_b64 s[20:21], exec, s[20:21]
; %bb.1050:                             ;   in Loop: Header=BB6_128 Depth=2
	v_cmp_lt_u64_e32 vcc, s[60:61], v[52:53]
	v_add_u32_e32 v4, 7, v9
	v_cndmask_b32_e32 v4, v6, v4, vcc
	v_cndmask_b32_e64 v6, 0, 1, vcc
	v_lshrrev_b64 v[10:11], v6, v[52:53]
; %bb.1051:                             ;   in Loop: Header=BB6_128 Depth=2
	s_andn2_saveexec_b64 s[20:21], s[20:21]
; %bb.1052:                             ;   in Loop: Header=BB6_128 Depth=2
	v_mov_b32_e32 v10, v52
	v_bfe_u32 v4, v52, 23, 1
	v_mov_b32_e32 v11, v53
; %bb.1053:                             ;   in Loop: Header=BB6_128 Depth=2
	s_or_b64 exec, exec, s[20:21]
	v_lshrrev_b64 v[9:10], 20, v[10:11]
	v_cmp_gt_i32_e32 vcc, 16, v4
	v_cndmask_b32_e32 v10, 0, v10, vcc
	v_cndmask_b32_e32 v9, 7, v9, vcc
	v_cmp_eq_u32_e32 vcc, 0, v4
	v_min_i32_e32 v4, 15, v4
	v_cmp_eq_u64_e64 s[20:21], 0, v[9:10]
	v_lshlrev_b32_e32 v4, 3, v4
	v_and_b32_e32 v4, 0xf8, v4
	v_and_or_b32 v4, v9, 7, v4
	s_and_b64 s[20:21], vcc, s[20:21]
	v_cndmask_b32_e64 v4, v4, 0, s[20:21]
	v_or_b32_e32 v0, v4, v0
	buffer_store_dword v0, off, s[0:3], s33 offset:188 ; 4-byte Folded Spill
.LBB6_1054:                             ;   in Loop: Header=BB6_128 Depth=2
	s_or_b64 exec, exec, s[90:91]
                                        ; implicit-def: $vgpr0
.LBB6_1055:                             ;   in Loop: Header=BB6_128 Depth=2
	s_andn2_saveexec_b64 s[20:21], s[88:89]
	s_cbranch_execz .LBB6_1057
; %bb.1056:                             ;   in Loop: Header=BB6_128 Depth=2
	v_or_b32_e32 v0, 0x7e, v0
	buffer_store_dword v0, off, s[0:3], s33 offset:188 ; 4-byte Folded Spill
.LBB6_1057:                             ;   in Loop: Header=BB6_128 Depth=2
	s_or_b64 exec, exec, s[20:21]
                                        ; implicit-def: $vgpr4
.LBB6_1058:                             ;   in Loop: Header=BB6_128 Depth=2
	s_andn2_saveexec_b64 s[20:21], s[78:79]
	s_cbranch_execz .LBB6_1060
; %bb.1059:                             ;   in Loop: Header=BB6_128 Depth=2
	v_or_b32_sdwa v0, v4, s51 dst_sel:DWORD dst_unused:UNUSED_PAD src0_sel:BYTE_3 src1_sel:DWORD
	buffer_store_dword v0, off, s[0:3], s33 offset:188 ; 4-byte Folded Spill
.LBB6_1060:                             ;   in Loop: Header=BB6_128 Depth=2
	s_or_b64 exec, exec, s[20:21]
	v_lshrrev_b32_e32 v10, 16, v12
	v_cmp_ne_u16_sdwa s[78:79], v10, v53 src0_sel:BYTE_0 src1_sel:DWORD
	v_mov_b32_e32 v0, 0
	s_and_saveexec_b64 s[20:21], s[78:79]
	s_cbranch_execz .LBB6_1066
; %bb.1061:                             ;   in Loop: Header=BB6_128 Depth=2
	v_cmp_ne_u16_sdwa s[88:89], v10, s53 src0_sel:BYTE_0 src1_sel:DWORD
	v_bfrev_b32_e32 v0, 1
	s_and_saveexec_b64 s[78:79], s[88:89]
	s_cbranch_execz .LBB6_1065
; %bb.1062:                             ;   in Loop: Header=BB6_128 Depth=2
	v_bfe_u32 v4, v12, 16, 7
	v_cmp_ne_u32_e32 vcc, s51, v4
	v_mov_b32_e32 v0, 0x7f800001
	s_and_saveexec_b64 s[88:89], vcc
	s_cbranch_execz .LBB6_1064
; %bb.1063:                             ;   in Loop: Header=BB6_128 Depth=2
	v_and_b32_e32 v0, 7, v10
	v_lshrrev_b32_e32 v6, 3, v4
	v_cmp_gt_u32_e32 vcc, 8, v4
	v_ffbh_u32_e32 v4, v0
	v_min_u32_e32 v4, 32, v4
	v_subrev_u32_e32 v9, 28, v4
	v_lshlrev_b64 v[14:15], v9, v[10:11]
	v_sub_u32_e32 v4, 29, v4
	v_and_b32_e32 v9, 7, v14
	v_cndmask_b32_e32 v4, v6, v4, vcc
	v_cndmask_b32_e32 v0, v0, v9, vcc
	v_lshlrev_b32_e32 v6, 24, v10
	v_bfrev_b32_e32 v1, 60
	v_lshlrev_b32_e32 v0, 20, v0
	v_and_b32_e32 v6, 0x80000000, v6
	v_lshl_add_u32 v4, v4, 23, v1
	v_or3_b32 v0, v6, v4, v0
.LBB6_1064:                             ;   in Loop: Header=BB6_128 Depth=2
	s_or_b64 exec, exec, s[88:89]
.LBB6_1065:                             ;   in Loop: Header=BB6_128 Depth=2
	s_or_b64 exec, exec, s[78:79]
.LBB6_1066:                             ;   in Loop: Header=BB6_128 Depth=2
	s_or_b64 exec, exec, s[20:21]
	v_mul_f32_e32 v4, v17, v0
	v_and_b32_e32 v52, 0x7f800000, v4
	v_cmp_ne_u64_e32 vcc, s[56:57], v[52:53]
                                        ; implicit-def: $vgpr0
                                        ; kill: killed $vgpr0
	s_and_saveexec_b64 s[20:21], vcc
	s_xor_b64 s[78:79], exec, s[20:21]
	s_cbranch_execz .LBB6_1080
; %bb.1067:                             ;   in Loop: Header=BB6_128 Depth=2
	v_and_b32_e32 v52, 0x7fffffff, v4
	v_cmp_gt_u64_e32 vcc, s[58:59], v[52:53]
	v_and_b32_sdwa v0, v4, s53 dst_sel:DWORD dst_unused:UNUSED_PAD src0_sel:BYTE_3 src1_sel:DWORD
                                        ; implicit-def: $vgpr6
                                        ; kill: killed $vgpr6
	s_and_saveexec_b64 s[20:21], vcc
	s_xor_b64 s[88:89], exec, s[20:21]
	s_cbranch_execz .LBB6_1077
; %bb.1068:                             ;   in Loop: Header=BB6_128 Depth=2
	v_mov_b32_e32 v6, 0
	v_cmp_ne_u32_e32 vcc, 0, v4
	buffer_store_dword v6, off, s[0:3], s33 offset:208 ; 4-byte Folded Spill
	s_and_saveexec_b64 s[90:91], vcc
	s_cbranch_execz .LBB6_1076
; %bb.1069:                             ;   in Loop: Header=BB6_128 Depth=2
	v_and_b32_e32 v9, 0x7fffff, v4
	v_bfe_u32 v4, v4, 23, 8
	v_cmp_gt_u32_e64 s[20:21], s54, v4
	v_sub_u32_e32 v6, 0x79, v4
	v_cmp_eq_u32_e32 vcc, 0, v4
	v_cndmask_b32_e64 v6, 0, v6, s[20:21]
	v_mov_b32_e32 v11, 0x78
	v_or_b32_e32 v10, 0x800000, v9
	v_cndmask_b32_e32 v6, v6, v11, vcc
	v_cndmask_b32_e32 v52, v10, v9, vcc
	v_add_u32_e32 v9, 20, v6
	v_lshlrev_b64 v[9:10], v9, -1
	v_add_u32_e32 v11, 19, v6
	v_lshlrev_b64 v[14:15], v11, 1
	v_bfi_b32 v10, v10, 0, 0
	v_bfi_b32 v9, v9, 0, v52
	v_cmp_eq_u64_e64 s[20:21], v[9:10], v[14:15]
	v_lshrrev_b64 v[10:11], v6, v[52:53]
	v_mov_b32_e32 v15, v11
	v_mov_b32_e32 v14, v10
	s_and_saveexec_b64 s[92:93], s[20:21]
; %bb.1070:                             ;   in Loop: Header=BB6_128 Depth=2
	v_bfe_u32 v9, v10, 20, 1
	v_add_co_u32_e64 v9, s[20:21], v10, v9
	v_add_co_u32_e64 v14, s[20:21], -1, v9
; %bb.1071:                             ;   in Loop: Header=BB6_128 Depth=2
	s_or_b64 exec, exec, s[92:93]
	v_add_u32_e32 v4, 0xffffff81, v4
	v_mov_b32_e32 v9, 0xffffff82
	v_cndmask_b32_e32 v4, v4, v9, vcc
	v_lshrrev_b32_e32 v9, 23, v10
	v_add3_u32 v9, v6, v4, v9
	v_add_u32_e32 v6, 6, v9
	v_and_b32_e32 v4, 0xfffff, v14
	v_add_u32_e32 v52, v4, v10
	v_cmp_ne_u32_e32 vcc, 0, v6
                                        ; implicit-def: $vgpr10_vgpr11
                                        ; implicit-def: $vgpr4
	s_and_saveexec_b64 s[20:21], vcc
	s_xor_b64 s[20:21], exec, s[20:21]
; %bb.1072:                             ;   in Loop: Header=BB6_128 Depth=2
	v_cmp_lt_u64_e32 vcc, s[60:61], v[52:53]
	v_add_u32_e32 v4, 7, v9
	v_cndmask_b32_e32 v4, v6, v4, vcc
	v_cndmask_b32_e64 v6, 0, 1, vcc
	v_lshrrev_b64 v[10:11], v6, v[52:53]
; %bb.1073:                             ;   in Loop: Header=BB6_128 Depth=2
	s_andn2_saveexec_b64 s[20:21], s[20:21]
; %bb.1074:                             ;   in Loop: Header=BB6_128 Depth=2
	v_mov_b32_e32 v10, v52
	v_bfe_u32 v4, v52, 23, 1
	v_mov_b32_e32 v11, v53
; %bb.1075:                             ;   in Loop: Header=BB6_128 Depth=2
	s_or_b64 exec, exec, s[20:21]
	v_lshrrev_b64 v[9:10], 20, v[10:11]
	v_cmp_gt_i32_e32 vcc, 16, v4
	v_cndmask_b32_e32 v10, 0, v10, vcc
	v_cndmask_b32_e32 v9, 7, v9, vcc
	v_cmp_eq_u32_e32 vcc, 0, v4
	v_min_i32_e32 v4, 15, v4
	v_cmp_eq_u64_e64 s[20:21], 0, v[9:10]
	v_lshlrev_b32_e32 v4, 3, v4
	v_and_b32_e32 v4, 0xf8, v4
	v_and_or_b32 v4, v9, 7, v4
	s_and_b64 s[20:21], vcc, s[20:21]
	v_cndmask_b32_e64 v4, v4, 0, s[20:21]
	v_or_b32_e32 v0, v4, v0
	buffer_store_dword v0, off, s[0:3], s33 offset:208 ; 4-byte Folded Spill
.LBB6_1076:                             ;   in Loop: Header=BB6_128 Depth=2
	s_or_b64 exec, exec, s[90:91]
                                        ; implicit-def: $vgpr0
.LBB6_1077:                             ;   in Loop: Header=BB6_128 Depth=2
	s_andn2_saveexec_b64 s[20:21], s[88:89]
	s_cbranch_execz .LBB6_1079
; %bb.1078:                             ;   in Loop: Header=BB6_128 Depth=2
	v_or_b32_e32 v0, 0x7e, v0
	buffer_store_dword v0, off, s[0:3], s33 offset:208 ; 4-byte Folded Spill
.LBB6_1079:                             ;   in Loop: Header=BB6_128 Depth=2
	s_or_b64 exec, exec, s[20:21]
                                        ; implicit-def: $vgpr4
.LBB6_1080:                             ;   in Loop: Header=BB6_128 Depth=2
	s_andn2_saveexec_b64 s[20:21], s[78:79]
	s_cbranch_execz .LBB6_1082
; %bb.1081:                             ;   in Loop: Header=BB6_128 Depth=2
	v_or_b32_sdwa v0, v4, s51 dst_sel:DWORD dst_unused:UNUSED_PAD src0_sel:BYTE_3 src1_sel:DWORD
	buffer_store_dword v0, off, s[0:3], s33 offset:208 ; 4-byte Folded Spill
.LBB6_1082:                             ;   in Loop: Header=BB6_128 Depth=2
	s_or_b64 exec, exec, s[20:21]
	v_cmp_lt_u32_e32 vcc, s63, v12
	v_mov_b32_e32 v0, 0
	s_and_saveexec_b64 s[20:21], vcc
	s_cbranch_execz .LBB6_1088
; %bb.1083:                             ;   in Loop: Header=BB6_128 Depth=2
	v_lshrrev_b32_e32 v10, 24, v12
	v_cmp_ne_u32_e32 vcc, s53, v10
	v_bfrev_b32_e32 v0, 1
	s_and_saveexec_b64 s[78:79], vcc
	s_cbranch_execz .LBB6_1087
; %bb.1084:                             ;   in Loop: Header=BB6_128 Depth=2
	v_bfe_u32 v4, v12, 24, 7
	v_cmp_ne_u32_e32 vcc, s51, v4
	v_mov_b32_e32 v0, 0x7f800001
	s_and_saveexec_b64 s[88:89], vcc
	s_cbranch_execz .LBB6_1086
; %bb.1085:                             ;   in Loop: Header=BB6_128 Depth=2
	v_and_b32_e32 v0, 7, v10
	v_lshrrev_b32_e32 v6, 3, v4
	v_cmp_gt_u32_e32 vcc, 8, v4
	v_ffbh_u32_e32 v4, v0
	v_min_u32_e32 v4, 32, v4
	v_subrev_u32_e32 v9, 28, v4
	v_lshlrev_b64 v[14:15], v9, v[10:11]
	v_sub_u32_e32 v4, 29, v4
	v_and_b32_e32 v9, 7, v14
	v_cndmask_b32_e32 v4, v6, v4, vcc
	v_cndmask_b32_e32 v0, v0, v9, vcc
	v_lshlrev_b32_e32 v6, 24, v10
	v_bfrev_b32_e32 v1, 60
	v_lshlrev_b32_e32 v0, 20, v0
	v_and_b32_e32 v6, 0x80000000, v6
	v_lshl_add_u32 v4, v4, 23, v1
	v_or3_b32 v0, v6, v4, v0
.LBB6_1086:                             ;   in Loop: Header=BB6_128 Depth=2
	s_or_b64 exec, exec, s[88:89]
.LBB6_1087:                             ;   in Loop: Header=BB6_128 Depth=2
	s_or_b64 exec, exec, s[78:79]
.LBB6_1088:                             ;   in Loop: Header=BB6_128 Depth=2
	s_or_b64 exec, exec, s[20:21]
	v_mul_f32_e32 v4, v17, v0
	v_and_b32_e32 v52, 0x7f800000, v4
	v_cmp_ne_u64_e32 vcc, s[56:57], v[52:53]
                                        ; implicit-def: $vgpr0
                                        ; kill: killed $vgpr0
	s_and_saveexec_b64 s[20:21], vcc
	s_xor_b64 s[78:79], exec, s[20:21]
	s_cbranch_execz .LBB6_1102
; %bb.1089:                             ;   in Loop: Header=BB6_128 Depth=2
	v_and_b32_e32 v52, 0x7fffffff, v4
	v_cmp_gt_u64_e32 vcc, s[58:59], v[52:53]
	v_and_b32_sdwa v0, v4, s53 dst_sel:DWORD dst_unused:UNUSED_PAD src0_sel:BYTE_3 src1_sel:DWORD
                                        ; implicit-def: $vgpr6
                                        ; kill: killed $vgpr6
	s_and_saveexec_b64 s[20:21], vcc
	s_xor_b64 s[88:89], exec, s[20:21]
	s_cbranch_execz .LBB6_1099
; %bb.1090:                             ;   in Loop: Header=BB6_128 Depth=2
	v_mov_b32_e32 v6, 0
	v_cmp_ne_u32_e32 vcc, 0, v4
	buffer_store_dword v6, off, s[0:3], s33 offset:224 ; 4-byte Folded Spill
	s_and_saveexec_b64 s[90:91], vcc
	s_cbranch_execz .LBB6_1098
; %bb.1091:                             ;   in Loop: Header=BB6_128 Depth=2
	v_and_b32_e32 v9, 0x7fffff, v4
	v_bfe_u32 v4, v4, 23, 8
	v_cmp_gt_u32_e64 s[20:21], s54, v4
	v_sub_u32_e32 v6, 0x79, v4
	v_cmp_eq_u32_e32 vcc, 0, v4
	v_cndmask_b32_e64 v6, 0, v6, s[20:21]
	v_mov_b32_e32 v11, 0x78
	v_or_b32_e32 v10, 0x800000, v9
	v_cndmask_b32_e32 v6, v6, v11, vcc
	v_cndmask_b32_e32 v52, v10, v9, vcc
	v_add_u32_e32 v9, 20, v6
	v_lshlrev_b64 v[9:10], v9, -1
	v_add_u32_e32 v11, 19, v6
	v_lshlrev_b64 v[14:15], v11, 1
	v_bfi_b32 v10, v10, 0, 0
	v_bfi_b32 v9, v9, 0, v52
	v_cmp_eq_u64_e64 s[20:21], v[9:10], v[14:15]
	v_lshrrev_b64 v[10:11], v6, v[52:53]
	v_mov_b32_e32 v15, v11
	v_mov_b32_e32 v14, v10
	s_and_saveexec_b64 s[92:93], s[20:21]
; %bb.1092:                             ;   in Loop: Header=BB6_128 Depth=2
	v_bfe_u32 v9, v10, 20, 1
	v_add_co_u32_e64 v9, s[20:21], v10, v9
	v_add_co_u32_e64 v14, s[20:21], -1, v9
; %bb.1093:                             ;   in Loop: Header=BB6_128 Depth=2
	s_or_b64 exec, exec, s[92:93]
	v_add_u32_e32 v4, 0xffffff81, v4
	v_mov_b32_e32 v9, 0xffffff82
	v_cndmask_b32_e32 v4, v4, v9, vcc
	v_lshrrev_b32_e32 v9, 23, v10
	v_add3_u32 v9, v6, v4, v9
	v_add_u32_e32 v6, 6, v9
	v_and_b32_e32 v4, 0xfffff, v14
	v_add_u32_e32 v52, v4, v10
	v_cmp_ne_u32_e32 vcc, 0, v6
                                        ; implicit-def: $vgpr10_vgpr11
                                        ; implicit-def: $vgpr4
	s_and_saveexec_b64 s[20:21], vcc
	s_xor_b64 s[20:21], exec, s[20:21]
; %bb.1094:                             ;   in Loop: Header=BB6_128 Depth=2
	v_cmp_lt_u64_e32 vcc, s[60:61], v[52:53]
	v_add_u32_e32 v4, 7, v9
	v_cndmask_b32_e32 v4, v6, v4, vcc
	v_cndmask_b32_e64 v6, 0, 1, vcc
	v_lshrrev_b64 v[10:11], v6, v[52:53]
; %bb.1095:                             ;   in Loop: Header=BB6_128 Depth=2
	s_andn2_saveexec_b64 s[20:21], s[20:21]
; %bb.1096:                             ;   in Loop: Header=BB6_128 Depth=2
	v_mov_b32_e32 v10, v52
	v_bfe_u32 v4, v52, 23, 1
	v_mov_b32_e32 v11, v53
; %bb.1097:                             ;   in Loop: Header=BB6_128 Depth=2
	s_or_b64 exec, exec, s[20:21]
	v_lshrrev_b64 v[9:10], 20, v[10:11]
	v_cmp_gt_i32_e32 vcc, 16, v4
	v_cndmask_b32_e32 v10, 0, v10, vcc
	v_cndmask_b32_e32 v9, 7, v9, vcc
	v_cmp_eq_u32_e32 vcc, 0, v4
	v_min_i32_e32 v4, 15, v4
	v_cmp_eq_u64_e64 s[20:21], 0, v[9:10]
	v_lshlrev_b32_e32 v4, 3, v4
	v_and_b32_e32 v4, 0xf8, v4
	v_and_or_b32 v4, v9, 7, v4
	s_and_b64 s[20:21], vcc, s[20:21]
	v_cndmask_b32_e64 v4, v4, 0, s[20:21]
	v_or_b32_e32 v0, v4, v0
	buffer_store_dword v0, off, s[0:3], s33 offset:224 ; 4-byte Folded Spill
.LBB6_1098:                             ;   in Loop: Header=BB6_128 Depth=2
	s_or_b64 exec, exec, s[90:91]
                                        ; implicit-def: $vgpr0
.LBB6_1099:                             ;   in Loop: Header=BB6_128 Depth=2
	s_andn2_saveexec_b64 s[20:21], s[88:89]
	s_cbranch_execz .LBB6_1101
; %bb.1100:                             ;   in Loop: Header=BB6_128 Depth=2
	v_or_b32_e32 v0, 0x7e, v0
	buffer_store_dword v0, off, s[0:3], s33 offset:224 ; 4-byte Folded Spill
.LBB6_1101:                             ;   in Loop: Header=BB6_128 Depth=2
	s_or_b64 exec, exec, s[20:21]
                                        ; implicit-def: $vgpr4
.LBB6_1102:                             ;   in Loop: Header=BB6_128 Depth=2
	s_andn2_saveexec_b64 s[20:21], s[78:79]
	s_cbranch_execz .LBB6_1104
; %bb.1103:                             ;   in Loop: Header=BB6_128 Depth=2
	v_or_b32_sdwa v0, v4, s51 dst_sel:DWORD dst_unused:UNUSED_PAD src0_sel:BYTE_3 src1_sel:DWORD
	buffer_store_dword v0, off, s[0:3], s33 offset:224 ; 4-byte Folded Spill
.LBB6_1104:                             ;   in Loop: Header=BB6_128 Depth=2
	s_or_b64 exec, exec, s[20:21]
	v_mov_b32_e32 v52, v13
	v_cmp_ne_u16_sdwa s[78:79], v13, v53 src0_sel:BYTE_0 src1_sel:DWORD
	v_mov_b32_e32 v0, 0
	s_and_saveexec_b64 s[20:21], s[78:79]
	s_cbranch_execz .LBB6_1110
; %bb.1105:                             ;   in Loop: Header=BB6_128 Depth=2
	v_cmp_ne_u16_sdwa s[88:89], v13, s53 src0_sel:BYTE_0 src1_sel:DWORD
	v_bfrev_b32_e32 v0, 1
	s_and_saveexec_b64 s[78:79], s[88:89]
	s_cbranch_execz .LBB6_1109
; %bb.1106:                             ;   in Loop: Header=BB6_128 Depth=2
	v_and_b32_e32 v4, 0x7f, v13
	v_cmp_ne_u32_e32 vcc, s51, v4
	v_mov_b32_e32 v0, 0x7f800001
	s_and_saveexec_b64 s[88:89], vcc
	s_cbranch_execz .LBB6_1108
; %bb.1107:                             ;   in Loop: Header=BB6_128 Depth=2
	v_and_b32_e32 v0, 7, v13
	v_ffbh_u32_e32 v0, v0
	v_min_u32_e32 v0, 32, v0
	v_lshrrev_b32_e32 v6, 3, v4
	v_cmp_gt_u32_e32 vcc, 8, v4
	v_subrev_u32_e32 v4, 28, v0
	v_cndmask_b32_e32 v4, 0, v4, vcc
	v_lshlrev_b64 v[9:10], v4, v[52:53]
	v_sub_u32_e32 v0, 29, v0
	v_cndmask_b32_e32 v0, v6, v0, vcc
	v_lshlrev_b32_e32 v4, 20, v9
	v_lshlrev_b32_e32 v6, 24, v52
	v_bfrev_b32_e32 v1, 60
	v_and_b32_e32 v4, 0x700000, v4
	v_and_b32_e32 v6, 0x80000000, v6
	v_lshl_add_u32 v0, v0, 23, v1
	v_or3_b32 v0, v6, v0, v4
.LBB6_1108:                             ;   in Loop: Header=BB6_128 Depth=2
	s_or_b64 exec, exec, s[88:89]
.LBB6_1109:                             ;   in Loop: Header=BB6_128 Depth=2
	s_or_b64 exec, exec, s[78:79]
.LBB6_1110:                             ;   in Loop: Header=BB6_128 Depth=2
	s_or_b64 exec, exec, s[20:21]
	v_mul_f32_e32 v4, v17, v0
	v_and_b32_e32 v9, 0x7f800000, v4
	v_mov_b32_e32 v10, v53
	v_cmp_ne_u64_e32 vcc, s[56:57], v[9:10]
                                        ; implicit-def: $vgpr49
	s_and_saveexec_b64 s[20:21], vcc
	s_xor_b64 s[78:79], exec, s[20:21]
	s_cbranch_execz .LBB6_1124
; %bb.1111:                             ;   in Loop: Header=BB6_128 Depth=2
	v_and_b32_e32 v9, 0x7fffffff, v4
	v_mov_b32_e32 v10, v53
	v_cmp_gt_u64_e32 vcc, s[58:59], v[9:10]
	v_and_b32_sdwa v0, v4, s53 dst_sel:DWORD dst_unused:UNUSED_PAD src0_sel:BYTE_3 src1_sel:DWORD
                                        ; implicit-def: $vgpr49
	s_and_saveexec_b64 s[20:21], vcc
	s_xor_b64 s[88:89], exec, s[20:21]
	s_cbranch_execz .LBB6_1121
; %bb.1112:                             ;   in Loop: Header=BB6_128 Depth=2
	v_mov_b32_e32 v49, 0
	v_cmp_ne_u32_e32 vcc, 0, v4
	s_and_saveexec_b64 s[90:91], vcc
	s_cbranch_execz .LBB6_1120
; %bb.1113:                             ;   in Loop: Header=BB6_128 Depth=2
	v_and_b32_e32 v9, 0x7fffff, v4
	v_bfe_u32 v4, v4, 23, 8
	v_cmp_gt_u32_e64 s[20:21], s54, v4
	v_sub_u32_e32 v6, 0x79, v4
	v_cmp_eq_u32_e32 vcc, 0, v4
	v_cndmask_b32_e64 v6, 0, v6, s[20:21]
	v_mov_b32_e32 v11, 0x78
	v_cndmask_b32_e32 v6, v6, v11, vcc
	v_or_b32_e32 v10, 0x800000, v9
	v_add_u32_e32 v11, 20, v6
	v_cndmask_b32_e32 v9, v10, v9, vcc
	v_mov_b32_e32 v10, v53
	v_lshlrev_b64 v[14:15], v11, -1
	v_add_u32_e32 v11, 19, v6
	v_lshlrev_b64 v[18:19], v11, 1
	v_lshrrev_b64 v[10:11], v6, v[9:10]
	v_bfi_b32 v15, v15, 0, 0
	v_bfi_b32 v14, v14, 0, v9
	v_cmp_eq_u64_e64 s[20:21], v[14:15], v[18:19]
	v_mov_b32_e32 v15, v11
	v_mov_b32_e32 v14, v10
	s_and_saveexec_b64 s[92:93], s[20:21]
; %bb.1114:                             ;   in Loop: Header=BB6_128 Depth=2
	v_bfe_u32 v9, v10, 20, 1
	v_add_co_u32_e64 v9, s[20:21], v10, v9
	v_add_co_u32_e64 v14, s[20:21], -1, v9
; %bb.1115:                             ;   in Loop: Header=BB6_128 Depth=2
	s_or_b64 exec, exec, s[92:93]
	v_add_u32_e32 v4, 0xffffff81, v4
	v_mov_b32_e32 v9, 0xffffff82
	v_cndmask_b32_e32 v4, v4, v9, vcc
	v_lshrrev_b32_e32 v9, 23, v10
	v_add3_u32 v9, v6, v4, v9
	v_add_u32_e32 v6, 6, v9
	v_and_b32_e32 v4, 0xfffff, v14
	v_add_u32_e32 v10, v4, v10
	v_mov_b32_e32 v11, v53
	v_cmp_ne_u32_e32 vcc, 0, v6
                                        ; implicit-def: $vgpr4
	s_and_saveexec_b64 s[20:21], vcc
	s_xor_b64 s[20:21], exec, s[20:21]
; %bb.1116:                             ;   in Loop: Header=BB6_128 Depth=2
	v_cmp_lt_u64_e32 vcc, s[60:61], v[10:11]
	v_add_u32_e32 v4, 7, v9
	v_cndmask_b32_e32 v4, v6, v4, vcc
	v_cndmask_b32_e64 v6, 0, 1, vcc
	v_lshrrev_b64 v[10:11], v6, v[10:11]
; %bb.1117:                             ;   in Loop: Header=BB6_128 Depth=2
	s_andn2_saveexec_b64 s[20:21], s[20:21]
; %bb.1118:                             ;   in Loop: Header=BB6_128 Depth=2
	v_bfe_u32 v4, v10, 23, 1
; %bb.1119:                             ;   in Loop: Header=BB6_128 Depth=2
	s_or_b64 exec, exec, s[20:21]
	v_lshrrev_b64 v[9:10], 20, v[10:11]
	v_cmp_gt_i32_e32 vcc, 16, v4
	v_cndmask_b32_e32 v10, 0, v10, vcc
	v_cndmask_b32_e32 v9, 7, v9, vcc
	v_cmp_eq_u32_e32 vcc, 0, v4
	v_min_i32_e32 v4, 15, v4
	v_cmp_eq_u64_e64 s[20:21], 0, v[9:10]
	v_lshlrev_b32_e32 v4, 3, v4
	v_and_b32_e32 v4, 0xf8, v4
	v_and_or_b32 v4, v9, 7, v4
	s_and_b64 s[20:21], vcc, s[20:21]
	v_cndmask_b32_e64 v4, v4, 0, s[20:21]
	v_or_b32_e32 v49, v4, v0
.LBB6_1120:                             ;   in Loop: Header=BB6_128 Depth=2
	s_or_b64 exec, exec, s[90:91]
                                        ; implicit-def: $vgpr0
.LBB6_1121:                             ;   in Loop: Header=BB6_128 Depth=2
	s_andn2_saveexec_b64 s[20:21], s[88:89]
; %bb.1122:                             ;   in Loop: Header=BB6_128 Depth=2
	v_or_b32_e32 v49, 0x7e, v0
; %bb.1123:                             ;   in Loop: Header=BB6_128 Depth=2
	s_or_b64 exec, exec, s[20:21]
                                        ; implicit-def: $vgpr4
.LBB6_1124:                             ;   in Loop: Header=BB6_128 Depth=2
	s_andn2_saveexec_b64 s[20:21], s[78:79]
; %bb.1125:                             ;   in Loop: Header=BB6_128 Depth=2
	v_or_b32_sdwa v49, v4, s51 dst_sel:DWORD dst_unused:UNUSED_PAD src0_sel:BYTE_3 src1_sel:DWORD
; %bb.1126:                             ;   in Loop: Header=BB6_128 Depth=2
	s_or_b64 exec, exec, s[20:21]
	v_lshrrev_b16_e32 v10, 8, v52
	v_cmp_ne_u16_e32 vcc, 0, v10
	v_mov_b32_e32 v0, 0
	s_and_saveexec_b64 s[20:21], vcc
	s_cbranch_execz .LBB6_1132
; %bb.1127:                             ;   in Loop: Header=BB6_128 Depth=2
	v_cmp_ne_u16_e32 vcc, s53, v10
	v_bfrev_b32_e32 v0, 1
	s_and_saveexec_b64 s[78:79], vcc
	s_cbranch_execz .LBB6_1131
; %bb.1128:                             ;   in Loop: Header=BB6_128 Depth=2
	v_and_b32_e32 v4, 0x7f, v10
	v_cmp_ne_u32_e32 vcc, s51, v4
	v_mov_b32_e32 v0, 0x7f800001
	s_and_saveexec_b64 s[88:89], vcc
	s_cbranch_execz .LBB6_1130
; %bb.1129:                             ;   in Loop: Header=BB6_128 Depth=2
	v_and_b32_e32 v0, 7, v10
	v_lshrrev_b32_e32 v6, 3, v4
	v_cmp_gt_u32_e32 vcc, 8, v4
	v_ffbh_u32_e32 v4, v0
	v_min_u32_e32 v4, 32, v4
	v_subrev_u32_e32 v9, 28, v4
	v_lshlrev_b64 v[9:10], v9, v[10:11]
	v_sub_u32_e32 v4, 29, v4
	v_and_b32_e32 v9, 7, v9
	v_cndmask_b32_e32 v4, v6, v4, vcc
	v_cndmask_b32_e32 v0, v0, v9, vcc
	v_lshlrev_b32_e32 v6, 16, v52
	v_bfrev_b32_e32 v1, 60
	v_lshlrev_b32_e32 v0, 20, v0
	v_and_b32_e32 v6, 0x80000000, v6
	v_lshl_add_u32 v4, v4, 23, v1
	v_or3_b32 v0, v6, v4, v0
.LBB6_1130:                             ;   in Loop: Header=BB6_128 Depth=2
	s_or_b64 exec, exec, s[88:89]
.LBB6_1131:                             ;   in Loop: Header=BB6_128 Depth=2
	s_or_b64 exec, exec, s[78:79]
.LBB6_1132:                             ;   in Loop: Header=BB6_128 Depth=2
	s_or_b64 exec, exec, s[20:21]
	v_mul_f32_e32 v4, v17, v0
	v_and_b32_e32 v52, 0x7f800000, v4
	v_cmp_ne_u64_e32 vcc, s[56:57], v[52:53]
                                        ; implicit-def: $vgpr0
                                        ; kill: killed $vgpr0
	s_and_saveexec_b64 s[20:21], vcc
	s_xor_b64 s[78:79], exec, s[20:21]
	s_cbranch_execz .LBB6_1146
; %bb.1133:                             ;   in Loop: Header=BB6_128 Depth=2
	v_and_b32_e32 v52, 0x7fffffff, v4
	v_cmp_gt_u64_e32 vcc, s[58:59], v[52:53]
	v_and_b32_sdwa v0, v4, s53 dst_sel:DWORD dst_unused:UNUSED_PAD src0_sel:BYTE_3 src1_sel:DWORD
                                        ; implicit-def: $vgpr6
                                        ; kill: killed $vgpr6
	s_and_saveexec_b64 s[20:21], vcc
	s_xor_b64 s[88:89], exec, s[20:21]
	s_cbranch_execz .LBB6_1143
; %bb.1134:                             ;   in Loop: Header=BB6_128 Depth=2
	v_mov_b32_e32 v6, 0
	v_cmp_ne_u32_e32 vcc, 0, v4
	buffer_store_dword v6, off, s[0:3], s33 offset:164 ; 4-byte Folded Spill
	s_and_saveexec_b64 s[90:91], vcc
	s_cbranch_execz .LBB6_1142
; %bb.1135:                             ;   in Loop: Header=BB6_128 Depth=2
	v_and_b32_e32 v9, 0x7fffff, v4
	v_bfe_u32 v4, v4, 23, 8
	v_cmp_gt_u32_e64 s[20:21], s54, v4
	v_sub_u32_e32 v6, 0x79, v4
	v_cmp_eq_u32_e32 vcc, 0, v4
	v_cndmask_b32_e64 v6, 0, v6, s[20:21]
	v_mov_b32_e32 v11, 0x78
	v_or_b32_e32 v10, 0x800000, v9
	v_cndmask_b32_e32 v6, v6, v11, vcc
	v_cndmask_b32_e32 v52, v10, v9, vcc
	v_add_u32_e32 v9, 20, v6
	v_lshlrev_b64 v[9:10], v9, -1
	v_add_u32_e32 v11, 19, v6
	v_lshlrev_b64 v[14:15], v11, 1
	v_bfi_b32 v10, v10, 0, 0
	v_bfi_b32 v9, v9, 0, v52
	v_cmp_eq_u64_e64 s[20:21], v[9:10], v[14:15]
	v_lshrrev_b64 v[10:11], v6, v[52:53]
	v_mov_b32_e32 v15, v11
	v_mov_b32_e32 v14, v10
	s_and_saveexec_b64 s[92:93], s[20:21]
; %bb.1136:                             ;   in Loop: Header=BB6_128 Depth=2
	v_bfe_u32 v9, v10, 20, 1
	v_add_co_u32_e64 v9, s[20:21], v10, v9
	v_add_co_u32_e64 v14, s[20:21], -1, v9
; %bb.1137:                             ;   in Loop: Header=BB6_128 Depth=2
	s_or_b64 exec, exec, s[92:93]
	v_add_u32_e32 v4, 0xffffff81, v4
	v_mov_b32_e32 v9, 0xffffff82
	v_cndmask_b32_e32 v4, v4, v9, vcc
	v_lshrrev_b32_e32 v9, 23, v10
	v_add3_u32 v9, v6, v4, v9
	v_add_u32_e32 v6, 6, v9
	v_and_b32_e32 v4, 0xfffff, v14
	v_add_u32_e32 v52, v4, v10
	v_cmp_ne_u32_e32 vcc, 0, v6
                                        ; implicit-def: $vgpr10_vgpr11
                                        ; implicit-def: $vgpr4
	s_and_saveexec_b64 s[20:21], vcc
	s_xor_b64 s[20:21], exec, s[20:21]
; %bb.1138:                             ;   in Loop: Header=BB6_128 Depth=2
	v_cmp_lt_u64_e32 vcc, s[60:61], v[52:53]
	v_add_u32_e32 v4, 7, v9
	v_cndmask_b32_e32 v4, v6, v4, vcc
	v_cndmask_b32_e64 v6, 0, 1, vcc
	v_lshrrev_b64 v[10:11], v6, v[52:53]
; %bb.1139:                             ;   in Loop: Header=BB6_128 Depth=2
	s_andn2_saveexec_b64 s[20:21], s[20:21]
; %bb.1140:                             ;   in Loop: Header=BB6_128 Depth=2
	v_mov_b32_e32 v10, v52
	v_bfe_u32 v4, v52, 23, 1
	v_mov_b32_e32 v11, v53
; %bb.1141:                             ;   in Loop: Header=BB6_128 Depth=2
	s_or_b64 exec, exec, s[20:21]
	v_lshrrev_b64 v[9:10], 20, v[10:11]
	v_cmp_gt_i32_e32 vcc, 16, v4
	v_cndmask_b32_e32 v10, 0, v10, vcc
	v_cndmask_b32_e32 v9, 7, v9, vcc
	v_cmp_eq_u32_e32 vcc, 0, v4
	v_min_i32_e32 v4, 15, v4
	v_cmp_eq_u64_e64 s[20:21], 0, v[9:10]
	v_lshlrev_b32_e32 v4, 3, v4
	v_and_b32_e32 v4, 0xf8, v4
	v_and_or_b32 v4, v9, 7, v4
	s_and_b64 s[20:21], vcc, s[20:21]
	v_cndmask_b32_e64 v4, v4, 0, s[20:21]
	v_or_b32_e32 v0, v4, v0
	buffer_store_dword v0, off, s[0:3], s33 offset:164 ; 4-byte Folded Spill
.LBB6_1142:                             ;   in Loop: Header=BB6_128 Depth=2
	s_or_b64 exec, exec, s[90:91]
                                        ; implicit-def: $vgpr0
.LBB6_1143:                             ;   in Loop: Header=BB6_128 Depth=2
	s_andn2_saveexec_b64 s[20:21], s[88:89]
	s_cbranch_execz .LBB6_1145
; %bb.1144:                             ;   in Loop: Header=BB6_128 Depth=2
	v_or_b32_e32 v0, 0x7e, v0
	buffer_store_dword v0, off, s[0:3], s33 offset:164 ; 4-byte Folded Spill
.LBB6_1145:                             ;   in Loop: Header=BB6_128 Depth=2
	s_or_b64 exec, exec, s[20:21]
                                        ; implicit-def: $vgpr4
.LBB6_1146:                             ;   in Loop: Header=BB6_128 Depth=2
	s_andn2_saveexec_b64 s[20:21], s[78:79]
	s_cbranch_execz .LBB6_1148
; %bb.1147:                             ;   in Loop: Header=BB6_128 Depth=2
	v_or_b32_sdwa v0, v4, s51 dst_sel:DWORD dst_unused:UNUSED_PAD src0_sel:BYTE_3 src1_sel:DWORD
	buffer_store_dword v0, off, s[0:3], s33 offset:164 ; 4-byte Folded Spill
.LBB6_1148:                             ;   in Loop: Header=BB6_128 Depth=2
	s_or_b64 exec, exec, s[20:21]
	v_lshrrev_b32_e32 v10, 16, v13
	v_cmp_ne_u16_sdwa s[78:79], v10, v53 src0_sel:BYTE_0 src1_sel:DWORD
	v_mov_b32_e32 v0, 0
	s_and_saveexec_b64 s[20:21], s[78:79]
	s_cbranch_execz .LBB6_1154
; %bb.1149:                             ;   in Loop: Header=BB6_128 Depth=2
	v_cmp_ne_u16_sdwa s[88:89], v10, s53 src0_sel:BYTE_0 src1_sel:DWORD
	v_bfrev_b32_e32 v0, 1
	s_and_saveexec_b64 s[78:79], s[88:89]
	s_cbranch_execz .LBB6_1153
; %bb.1150:                             ;   in Loop: Header=BB6_128 Depth=2
	v_bfe_u32 v4, v13, 16, 7
	v_cmp_ne_u32_e32 vcc, s51, v4
	v_mov_b32_e32 v0, 0x7f800001
	s_and_saveexec_b64 s[88:89], vcc
	s_cbranch_execz .LBB6_1152
; %bb.1151:                             ;   in Loop: Header=BB6_128 Depth=2
	v_and_b32_e32 v0, 7, v10
	v_lshrrev_b32_e32 v6, 3, v4
	v_cmp_gt_u32_e32 vcc, 8, v4
	v_ffbh_u32_e32 v4, v0
	v_min_u32_e32 v4, 32, v4
	v_subrev_u32_e32 v9, 28, v4
	v_lshlrev_b64 v[14:15], v9, v[10:11]
	v_sub_u32_e32 v4, 29, v4
	v_and_b32_e32 v9, 7, v14
	v_cndmask_b32_e32 v4, v6, v4, vcc
	v_cndmask_b32_e32 v0, v0, v9, vcc
	v_lshlrev_b32_e32 v6, 24, v10
	v_bfrev_b32_e32 v1, 60
	v_lshlrev_b32_e32 v0, 20, v0
	v_and_b32_e32 v6, 0x80000000, v6
	v_lshl_add_u32 v4, v4, 23, v1
	v_or3_b32 v0, v6, v4, v0
.LBB6_1152:                             ;   in Loop: Header=BB6_128 Depth=2
	s_or_b64 exec, exec, s[88:89]
.LBB6_1153:                             ;   in Loop: Header=BB6_128 Depth=2
	s_or_b64 exec, exec, s[78:79]
.LBB6_1154:                             ;   in Loop: Header=BB6_128 Depth=2
	s_or_b64 exec, exec, s[20:21]
	v_mul_f32_e32 v4, v17, v0
	v_and_b32_e32 v52, 0x7f800000, v4
	v_cmp_ne_u64_e32 vcc, s[56:57], v[52:53]
                                        ; implicit-def: $vgpr0
                                        ; kill: killed $vgpr0
	s_and_saveexec_b64 s[20:21], vcc
	s_xor_b64 s[78:79], exec, s[20:21]
	s_cbranch_execz .LBB6_1168
; %bb.1155:                             ;   in Loop: Header=BB6_128 Depth=2
	v_and_b32_e32 v52, 0x7fffffff, v4
	v_cmp_gt_u64_e32 vcc, s[58:59], v[52:53]
	v_and_b32_sdwa v0, v4, s53 dst_sel:DWORD dst_unused:UNUSED_PAD src0_sel:BYTE_3 src1_sel:DWORD
                                        ; implicit-def: $vgpr6
                                        ; kill: killed $vgpr6
	s_and_saveexec_b64 s[20:21], vcc
	s_xor_b64 s[88:89], exec, s[20:21]
	s_cbranch_execz .LBB6_1165
; %bb.1156:                             ;   in Loop: Header=BB6_128 Depth=2
	v_mov_b32_e32 v6, 0
	v_cmp_ne_u32_e32 vcc, 0, v4
	buffer_store_dword v6, off, s[0:3], s33 offset:192 ; 4-byte Folded Spill
	s_and_saveexec_b64 s[90:91], vcc
	s_cbranch_execz .LBB6_1164
; %bb.1157:                             ;   in Loop: Header=BB6_128 Depth=2
	v_and_b32_e32 v9, 0x7fffff, v4
	v_bfe_u32 v4, v4, 23, 8
	v_cmp_gt_u32_e64 s[20:21], s54, v4
	v_sub_u32_e32 v6, 0x79, v4
	v_cmp_eq_u32_e32 vcc, 0, v4
	v_cndmask_b32_e64 v6, 0, v6, s[20:21]
	v_mov_b32_e32 v11, 0x78
	v_or_b32_e32 v10, 0x800000, v9
	v_cndmask_b32_e32 v6, v6, v11, vcc
	v_cndmask_b32_e32 v52, v10, v9, vcc
	v_add_u32_e32 v9, 20, v6
	v_lshlrev_b64 v[9:10], v9, -1
	v_add_u32_e32 v11, 19, v6
	v_lshlrev_b64 v[14:15], v11, 1
	v_bfi_b32 v10, v10, 0, 0
	v_bfi_b32 v9, v9, 0, v52
	v_cmp_eq_u64_e64 s[20:21], v[9:10], v[14:15]
	v_lshrrev_b64 v[10:11], v6, v[52:53]
	v_mov_b32_e32 v15, v11
	v_mov_b32_e32 v14, v10
	s_and_saveexec_b64 s[92:93], s[20:21]
; %bb.1158:                             ;   in Loop: Header=BB6_128 Depth=2
	v_bfe_u32 v9, v10, 20, 1
	v_add_co_u32_e64 v9, s[20:21], v10, v9
	v_add_co_u32_e64 v14, s[20:21], -1, v9
; %bb.1159:                             ;   in Loop: Header=BB6_128 Depth=2
	s_or_b64 exec, exec, s[92:93]
	v_add_u32_e32 v4, 0xffffff81, v4
	v_mov_b32_e32 v9, 0xffffff82
	v_cndmask_b32_e32 v4, v4, v9, vcc
	v_lshrrev_b32_e32 v9, 23, v10
	v_add3_u32 v9, v6, v4, v9
	v_add_u32_e32 v6, 6, v9
	v_and_b32_e32 v4, 0xfffff, v14
	v_add_u32_e32 v52, v4, v10
	v_cmp_ne_u32_e32 vcc, 0, v6
                                        ; implicit-def: $vgpr10_vgpr11
                                        ; implicit-def: $vgpr4
	s_and_saveexec_b64 s[20:21], vcc
	s_xor_b64 s[20:21], exec, s[20:21]
; %bb.1160:                             ;   in Loop: Header=BB6_128 Depth=2
	v_cmp_lt_u64_e32 vcc, s[60:61], v[52:53]
	v_add_u32_e32 v4, 7, v9
	v_cndmask_b32_e32 v4, v6, v4, vcc
	v_cndmask_b32_e64 v6, 0, 1, vcc
	v_lshrrev_b64 v[10:11], v6, v[52:53]
; %bb.1161:                             ;   in Loop: Header=BB6_128 Depth=2
	s_andn2_saveexec_b64 s[20:21], s[20:21]
; %bb.1162:                             ;   in Loop: Header=BB6_128 Depth=2
	v_mov_b32_e32 v10, v52
	v_bfe_u32 v4, v52, 23, 1
	v_mov_b32_e32 v11, v53
; %bb.1163:                             ;   in Loop: Header=BB6_128 Depth=2
	s_or_b64 exec, exec, s[20:21]
	v_lshrrev_b64 v[9:10], 20, v[10:11]
	v_cmp_gt_i32_e32 vcc, 16, v4
	v_cndmask_b32_e32 v10, 0, v10, vcc
	v_cndmask_b32_e32 v9, 7, v9, vcc
	v_cmp_eq_u32_e32 vcc, 0, v4
	v_min_i32_e32 v4, 15, v4
	v_cmp_eq_u64_e64 s[20:21], 0, v[9:10]
	v_lshlrev_b32_e32 v4, 3, v4
	v_and_b32_e32 v4, 0xf8, v4
	v_and_or_b32 v4, v9, 7, v4
	s_and_b64 s[20:21], vcc, s[20:21]
	v_cndmask_b32_e64 v4, v4, 0, s[20:21]
	v_or_b32_e32 v0, v4, v0
	buffer_store_dword v0, off, s[0:3], s33 offset:192 ; 4-byte Folded Spill
.LBB6_1164:                             ;   in Loop: Header=BB6_128 Depth=2
	s_or_b64 exec, exec, s[90:91]
                                        ; implicit-def: $vgpr0
.LBB6_1165:                             ;   in Loop: Header=BB6_128 Depth=2
	s_andn2_saveexec_b64 s[20:21], s[88:89]
	s_cbranch_execz .LBB6_1167
; %bb.1166:                             ;   in Loop: Header=BB6_128 Depth=2
	v_or_b32_e32 v0, 0x7e, v0
	buffer_store_dword v0, off, s[0:3], s33 offset:192 ; 4-byte Folded Spill
.LBB6_1167:                             ;   in Loop: Header=BB6_128 Depth=2
	s_or_b64 exec, exec, s[20:21]
                                        ; implicit-def: $vgpr4
.LBB6_1168:                             ;   in Loop: Header=BB6_128 Depth=2
	s_andn2_saveexec_b64 s[20:21], s[78:79]
	s_cbranch_execz .LBB6_1170
; %bb.1169:                             ;   in Loop: Header=BB6_128 Depth=2
	v_or_b32_sdwa v0, v4, s51 dst_sel:DWORD dst_unused:UNUSED_PAD src0_sel:BYTE_3 src1_sel:DWORD
	buffer_store_dword v0, off, s[0:3], s33 offset:192 ; 4-byte Folded Spill
.LBB6_1170:                             ;   in Loop: Header=BB6_128 Depth=2
	s_or_b64 exec, exec, s[20:21]
	v_cmp_lt_u64_e32 vcc, s[62:63], v[12:13]
	v_mov_b32_e32 v0, 0
	s_and_saveexec_b64 s[20:21], vcc
	s_cbranch_execz .LBB6_1176
; %bb.1171:                             ;   in Loop: Header=BB6_128 Depth=2
	v_lshrrev_b32_e32 v10, 24, v13
	v_cmp_ne_u32_e32 vcc, s53, v10
	v_bfrev_b32_e32 v0, 1
	s_and_saveexec_b64 s[78:79], vcc
	s_cbranch_execz .LBB6_1175
; %bb.1172:                             ;   in Loop: Header=BB6_128 Depth=2
	v_bfe_u32 v4, v13, 24, 7
	v_cmp_ne_u32_e32 vcc, s51, v4
	v_mov_b32_e32 v0, 0x7f800001
	s_and_saveexec_b64 s[88:89], vcc
	s_cbranch_execz .LBB6_1174
; %bb.1173:                             ;   in Loop: Header=BB6_128 Depth=2
	v_and_b32_e32 v0, 7, v10
	v_lshrrev_b32_e32 v6, 3, v4
	v_cmp_gt_u32_e32 vcc, 8, v4
	v_ffbh_u32_e32 v4, v0
	v_min_u32_e32 v4, 32, v4
	v_subrev_u32_e32 v9, 28, v4
	v_lshlrev_b64 v[11:12], v9, v[10:11]
	v_sub_u32_e32 v4, 29, v4
	v_and_b32_e32 v9, 7, v11
	v_cndmask_b32_e32 v4, v6, v4, vcc
	v_cndmask_b32_e32 v0, v0, v9, vcc
	v_lshlrev_b32_e32 v6, 24, v10
	v_bfrev_b32_e32 v1, 60
	v_lshlrev_b32_e32 v0, 20, v0
	v_and_b32_e32 v6, 0x80000000, v6
	v_lshl_add_u32 v4, v4, 23, v1
	v_or3_b32 v0, v6, v4, v0
.LBB6_1174:                             ;   in Loop: Header=BB6_128 Depth=2
	s_or_b64 exec, exec, s[88:89]
.LBB6_1175:                             ;   in Loop: Header=BB6_128 Depth=2
	s_or_b64 exec, exec, s[78:79]
.LBB6_1176:                             ;   in Loop: Header=BB6_128 Depth=2
	s_or_b64 exec, exec, s[20:21]
	v_mul_f32_e32 v4, v17, v0
	v_and_b32_e32 v52, 0x7f800000, v4
	v_cmp_ne_u64_e32 vcc, s[56:57], v[52:53]
                                        ; implicit-def: $vgpr0
                                        ; kill: killed $vgpr0
	s_and_saveexec_b64 s[20:21], vcc
	s_xor_b64 s[78:79], exec, s[20:21]
	s_cbranch_execz .LBB6_1190
; %bb.1177:                             ;   in Loop: Header=BB6_128 Depth=2
	v_and_b32_e32 v52, 0x7fffffff, v4
	v_cmp_gt_u64_e32 vcc, s[58:59], v[52:53]
	v_and_b32_sdwa v0, v4, s53 dst_sel:DWORD dst_unused:UNUSED_PAD src0_sel:BYTE_3 src1_sel:DWORD
                                        ; implicit-def: $vgpr6
                                        ; kill: killed $vgpr6
	s_and_saveexec_b64 s[20:21], vcc
	s_xor_b64 s[88:89], exec, s[20:21]
	s_cbranch_execz .LBB6_1187
; %bb.1178:                             ;   in Loop: Header=BB6_128 Depth=2
	v_mov_b32_e32 v6, 0
	v_cmp_ne_u32_e32 vcc, 0, v4
	buffer_store_dword v6, off, s[0:3], s33 offset:212 ; 4-byte Folded Spill
	s_and_saveexec_b64 s[90:91], vcc
	s_cbranch_execz .LBB6_1186
; %bb.1179:                             ;   in Loop: Header=BB6_128 Depth=2
	v_and_b32_e32 v9, 0x7fffff, v4
	v_bfe_u32 v4, v4, 23, 8
	v_cmp_gt_u32_e64 s[20:21], s54, v4
	v_sub_u32_e32 v6, 0x79, v4
	v_cmp_eq_u32_e32 vcc, 0, v4
	v_cndmask_b32_e64 v6, 0, v6, s[20:21]
	v_mov_b32_e32 v11, 0x78
	v_or_b32_e32 v10, 0x800000, v9
	v_cndmask_b32_e32 v6, v6, v11, vcc
	v_cndmask_b32_e32 v52, v10, v9, vcc
	v_add_u32_e32 v9, 20, v6
	v_lshlrev_b64 v[9:10], v9, -1
	v_add_u32_e32 v11, 19, v6
	v_lshlrev_b64 v[11:12], v11, 1
	v_bfi_b32 v10, v10, 0, 0
	v_bfi_b32 v9, v9, 0, v52
	v_cmp_eq_u64_e64 s[20:21], v[9:10], v[11:12]
	v_lshrrev_b64 v[10:11], v6, v[52:53]
	v_mov_b32_e32 v12, v11
	v_mov_b32_e32 v11, v10
	s_and_saveexec_b64 s[92:93], s[20:21]
; %bb.1180:                             ;   in Loop: Header=BB6_128 Depth=2
	v_bfe_u32 v9, v10, 20, 1
	v_add_co_u32_e64 v9, s[20:21], v10, v9
	v_add_co_u32_e64 v11, s[20:21], -1, v9
; %bb.1181:                             ;   in Loop: Header=BB6_128 Depth=2
	s_or_b64 exec, exec, s[92:93]
	v_add_u32_e32 v4, 0xffffff81, v4
	v_mov_b32_e32 v9, 0xffffff82
	v_cndmask_b32_e32 v4, v4, v9, vcc
	v_lshrrev_b32_e32 v9, 23, v10
	v_add3_u32 v9, v6, v4, v9
	v_add_u32_e32 v6, 6, v9
	v_and_b32_e32 v4, 0xfffff, v11
	v_add_u32_e32 v52, v4, v10
	v_cmp_ne_u32_e32 vcc, 0, v6
                                        ; implicit-def: $vgpr10_vgpr11
                                        ; implicit-def: $vgpr4
	s_and_saveexec_b64 s[20:21], vcc
	s_xor_b64 s[20:21], exec, s[20:21]
; %bb.1182:                             ;   in Loop: Header=BB6_128 Depth=2
	v_cmp_lt_u64_e32 vcc, s[60:61], v[52:53]
	v_add_u32_e32 v4, 7, v9
	v_cndmask_b32_e32 v4, v6, v4, vcc
	v_cndmask_b32_e64 v6, 0, 1, vcc
	v_lshrrev_b64 v[10:11], v6, v[52:53]
; %bb.1183:                             ;   in Loop: Header=BB6_128 Depth=2
	s_andn2_saveexec_b64 s[20:21], s[20:21]
; %bb.1184:                             ;   in Loop: Header=BB6_128 Depth=2
	v_mov_b32_e32 v10, v52
	v_bfe_u32 v4, v52, 23, 1
	v_mov_b32_e32 v11, v53
; %bb.1185:                             ;   in Loop: Header=BB6_128 Depth=2
	s_or_b64 exec, exec, s[20:21]
	v_lshrrev_b64 v[9:10], 20, v[10:11]
	v_cmp_gt_i32_e32 vcc, 16, v4
	v_cndmask_b32_e32 v10, 0, v10, vcc
	v_cndmask_b32_e32 v9, 7, v9, vcc
	v_cmp_eq_u32_e32 vcc, 0, v4
	v_min_i32_e32 v4, 15, v4
	v_cmp_eq_u64_e64 s[20:21], 0, v[9:10]
	v_lshlrev_b32_e32 v4, 3, v4
	v_and_b32_e32 v4, 0xf8, v4
	v_and_or_b32 v4, v9, 7, v4
	s_and_b64 s[20:21], vcc, s[20:21]
	v_cndmask_b32_e64 v4, v4, 0, s[20:21]
	v_or_b32_e32 v0, v4, v0
	buffer_store_dword v0, off, s[0:3], s33 offset:212 ; 4-byte Folded Spill
.LBB6_1186:                             ;   in Loop: Header=BB6_128 Depth=2
	s_or_b64 exec, exec, s[90:91]
                                        ; implicit-def: $vgpr0
.LBB6_1187:                             ;   in Loop: Header=BB6_128 Depth=2
	s_andn2_saveexec_b64 s[20:21], s[88:89]
	s_cbranch_execz .LBB6_1189
; %bb.1188:                             ;   in Loop: Header=BB6_128 Depth=2
	v_or_b32_e32 v0, 0x7e, v0
	buffer_store_dword v0, off, s[0:3], s33 offset:212 ; 4-byte Folded Spill
.LBB6_1189:                             ;   in Loop: Header=BB6_128 Depth=2
	s_or_b64 exec, exec, s[20:21]
                                        ; implicit-def: $vgpr4
.LBB6_1190:                             ;   in Loop: Header=BB6_128 Depth=2
	s_andn2_saveexec_b64 s[20:21], s[78:79]
	s_cbranch_execz .LBB6_1192
; %bb.1191:                             ;   in Loop: Header=BB6_128 Depth=2
	v_or_b32_sdwa v0, v4, s51 dst_sel:DWORD dst_unused:UNUSED_PAD src0_sel:BYTE_3 src1_sel:DWORD
	buffer_store_dword v0, off, s[0:3], s33 offset:212 ; 4-byte Folded Spill
.LBB6_1192:                             ;   in Loop: Header=BB6_128 Depth=2
	s_or_b64 exec, exec, s[20:21]
	global_load_dwordx4 v[10:13], v[46:47], off offset:3072 glc slc
	v_mov_b32_e32 v0, 0
	s_waitcnt vmcnt(0)
	v_cmp_ne_u16_sdwa s[78:79], v10, v53 src0_sel:BYTE_0 src1_sel:DWORD
	s_and_saveexec_b64 s[20:21], s[78:79]
	s_cbranch_execz .LBB6_1198
; %bb.1193:                             ;   in Loop: Header=BB6_128 Depth=2
	v_cmp_ne_u16_sdwa s[88:89], v10, s53 src0_sel:BYTE_0 src1_sel:DWORD
	v_bfrev_b32_e32 v0, 1
	s_and_saveexec_b64 s[78:79], s[88:89]
	s_cbranch_execz .LBB6_1197
; %bb.1194:                             ;   in Loop: Header=BB6_128 Depth=2
	v_and_b32_e32 v4, 0x7f, v10
	v_cmp_ne_u32_e32 vcc, s51, v4
	v_mov_b32_e32 v0, 0x7f800001
	s_and_saveexec_b64 s[88:89], vcc
	s_cbranch_execz .LBB6_1196
; %bb.1195:                             ;   in Loop: Header=BB6_128 Depth=2
	v_and_b32_e32 v0, 7, v10
	v_ffbh_u32_e32 v0, v0
	v_min_u32_e32 v0, 32, v0
	v_lshrrev_b32_e32 v6, 3, v4
	v_cmp_gt_u32_e32 vcc, 8, v4
	v_subrev_u32_e32 v4, 28, v0
	v_cndmask_b32_e32 v4, 0, v4, vcc
	v_lshlrev_b64 v[14:15], v4, v[10:11]
	v_sub_u32_e32 v0, 29, v0
	v_cndmask_b32_e32 v0, v6, v0, vcc
	v_lshlrev_b32_e32 v4, 20, v14
	v_lshlrev_b32_e32 v6, 24, v10
	v_bfrev_b32_e32 v1, 60
	v_and_b32_e32 v4, 0x700000, v4
	v_and_b32_e32 v6, 0x80000000, v6
	v_lshl_add_u32 v0, v0, 23, v1
	v_or3_b32 v0, v6, v0, v4
.LBB6_1196:                             ;   in Loop: Header=BB6_128 Depth=2
	s_or_b64 exec, exec, s[88:89]
.LBB6_1197:                             ;   in Loop: Header=BB6_128 Depth=2
	s_or_b64 exec, exec, s[78:79]
.LBB6_1198:                             ;   in Loop: Header=BB6_128 Depth=2
	s_or_b64 exec, exec, s[20:21]
	v_mul_f32_e32 v4, v17, v0
	v_and_b32_e32 v52, 0x7f800000, v4
	v_cmp_ne_u64_e32 vcc, s[56:57], v[52:53]
                                        ; implicit-def: $vgpr36
	s_and_saveexec_b64 s[20:21], vcc
	s_xor_b64 s[78:79], exec, s[20:21]
	s_cbranch_execz .LBB6_1212
; %bb.1199:                             ;   in Loop: Header=BB6_128 Depth=2
	v_and_b32_e32 v52, 0x7fffffff, v4
	v_cmp_gt_u64_e32 vcc, s[58:59], v[52:53]
	v_and_b32_sdwa v0, v4, s53 dst_sel:DWORD dst_unused:UNUSED_PAD src0_sel:BYTE_3 src1_sel:DWORD
                                        ; implicit-def: $vgpr36
	s_and_saveexec_b64 s[20:21], vcc
	s_xor_b64 s[88:89], exec, s[20:21]
	s_cbranch_execz .LBB6_1209
; %bb.1200:                             ;   in Loop: Header=BB6_128 Depth=2
	v_mov_b32_e32 v36, 0
	v_cmp_ne_u32_e32 vcc, 0, v4
	s_and_saveexec_b64 s[90:91], vcc
	s_cbranch_execz .LBB6_1208
; %bb.1201:                             ;   in Loop: Header=BB6_128 Depth=2
	v_and_b32_e32 v9, 0x7fffff, v4
	v_bfe_u32 v4, v4, 23, 8
	v_cmp_gt_u32_e64 s[20:21], s54, v4
	v_sub_u32_e32 v6, 0x79, v4
	v_cmp_eq_u32_e32 vcc, 0, v4
	v_cndmask_b32_e64 v6, 0, v6, s[20:21]
	v_mov_b32_e32 v15, 0x78
	v_or_b32_e32 v14, 0x800000, v9
	v_cndmask_b32_e32 v6, v6, v15, vcc
	v_cndmask_b32_e32 v52, v14, v9, vcc
	v_add_u32_e32 v9, 20, v6
	v_lshlrev_b64 v[14:15], v9, -1
	v_add_u32_e32 v9, 19, v6
	v_lshlrev_b64 v[18:19], v9, 1
	v_bfi_b32 v15, v15, 0, 0
	v_bfi_b32 v14, v14, 0, v52
	v_cmp_eq_u64_e64 s[20:21], v[14:15], v[18:19]
	v_lshrrev_b64 v[14:15], v6, v[52:53]
	v_mov_b32_e32 v16, v15
	v_mov_b32_e32 v15, v14
	s_and_saveexec_b64 s[92:93], s[20:21]
; %bb.1202:                             ;   in Loop: Header=BB6_128 Depth=2
	v_bfe_u32 v9, v14, 20, 1
	v_add_co_u32_e64 v9, s[20:21], v14, v9
	v_add_co_u32_e64 v15, s[20:21], -1, v9
; %bb.1203:                             ;   in Loop: Header=BB6_128 Depth=2
	s_or_b64 exec, exec, s[92:93]
	v_add_u32_e32 v4, 0xffffff81, v4
	v_mov_b32_e32 v9, 0xffffff82
	v_cndmask_b32_e32 v4, v4, v9, vcc
	v_lshrrev_b32_e32 v9, 23, v14
	v_add3_u32 v9, v6, v4, v9
	v_add_u32_e32 v6, 6, v9
	v_and_b32_e32 v4, 0xfffff, v15
	v_add_u32_e32 v52, v4, v14
	v_cmp_ne_u32_e32 vcc, 0, v6
                                        ; implicit-def: $vgpr14_vgpr15
                                        ; implicit-def: $vgpr4
	s_and_saveexec_b64 s[20:21], vcc
	s_xor_b64 s[20:21], exec, s[20:21]
; %bb.1204:                             ;   in Loop: Header=BB6_128 Depth=2
	v_cmp_lt_u64_e32 vcc, s[60:61], v[52:53]
	v_add_u32_e32 v4, 7, v9
	v_cndmask_b32_e32 v4, v6, v4, vcc
	v_cndmask_b32_e64 v6, 0, 1, vcc
	v_lshrrev_b64 v[14:15], v6, v[52:53]
; %bb.1205:                             ;   in Loop: Header=BB6_128 Depth=2
	s_andn2_saveexec_b64 s[20:21], s[20:21]
; %bb.1206:                             ;   in Loop: Header=BB6_128 Depth=2
	v_mov_b32_e32 v14, v52
	v_bfe_u32 v4, v52, 23, 1
	v_mov_b32_e32 v15, v53
; %bb.1207:                             ;   in Loop: Header=BB6_128 Depth=2
	s_or_b64 exec, exec, s[20:21]
	v_lshrrev_b64 v[14:15], 20, v[14:15]
	v_cmp_gt_i32_e32 vcc, 16, v4
	v_cndmask_b32_e32 v15, 0, v15, vcc
	v_cndmask_b32_e32 v14, 7, v14, vcc
	v_cmp_eq_u32_e32 vcc, 0, v4
	v_min_i32_e32 v4, 15, v4
	v_cmp_eq_u64_e64 s[20:21], 0, v[14:15]
	v_lshlrev_b32_e32 v4, 3, v4
	v_and_b32_e32 v4, 0xf8, v4
	v_and_or_b32 v4, v14, 7, v4
	s_and_b64 s[20:21], vcc, s[20:21]
	v_cndmask_b32_e64 v4, v4, 0, s[20:21]
	v_or_b32_e32 v36, v4, v0
.LBB6_1208:                             ;   in Loop: Header=BB6_128 Depth=2
	s_or_b64 exec, exec, s[90:91]
                                        ; implicit-def: $vgpr0
.LBB6_1209:                             ;   in Loop: Header=BB6_128 Depth=2
	s_andn2_saveexec_b64 s[20:21], s[88:89]
; %bb.1210:                             ;   in Loop: Header=BB6_128 Depth=2
	v_or_b32_e32 v36, 0x7e, v0
; %bb.1211:                             ;   in Loop: Header=BB6_128 Depth=2
	s_or_b64 exec, exec, s[20:21]
                                        ; implicit-def: $vgpr4
.LBB6_1212:                             ;   in Loop: Header=BB6_128 Depth=2
	s_andn2_saveexec_b64 s[20:21], s[78:79]
; %bb.1213:                             ;   in Loop: Header=BB6_128 Depth=2
	v_or_b32_sdwa v36, v4, s51 dst_sel:DWORD dst_unused:UNUSED_PAD src0_sel:BYTE_3 src1_sel:DWORD
; %bb.1214:                             ;   in Loop: Header=BB6_128 Depth=2
	s_or_b64 exec, exec, s[20:21]
	v_lshrrev_b16_e32 v14, 8, v10
	v_cmp_ne_u16_e32 vcc, 0, v14
	v_mov_b32_e32 v0, 0
	s_and_saveexec_b64 s[20:21], vcc
	s_cbranch_execz .LBB6_1220
; %bb.1215:                             ;   in Loop: Header=BB6_128 Depth=2
	v_cmp_ne_u16_e32 vcc, s53, v14
	v_bfrev_b32_e32 v0, 1
	s_and_saveexec_b64 s[78:79], vcc
	s_cbranch_execz .LBB6_1219
; %bb.1216:                             ;   in Loop: Header=BB6_128 Depth=2
	v_and_b32_e32 v4, 0x7f, v14
	v_cmp_ne_u32_e32 vcc, s51, v4
	v_mov_b32_e32 v0, 0x7f800001
	s_and_saveexec_b64 s[88:89], vcc
	s_cbranch_execz .LBB6_1218
; %bb.1217:                             ;   in Loop: Header=BB6_128 Depth=2
	v_and_b32_e32 v0, 7, v14
	v_lshrrev_b32_e32 v6, 3, v4
	v_cmp_gt_u32_e32 vcc, 8, v4
	v_ffbh_u32_e32 v4, v0
	v_min_u32_e32 v4, 32, v4
	v_subrev_u32_e32 v9, 28, v4
	v_lshlrev_b64 v[14:15], v9, v[14:15]
	v_sub_u32_e32 v4, 29, v4
	v_and_b32_e32 v9, 7, v14
	v_cndmask_b32_e32 v4, v6, v4, vcc
	v_cndmask_b32_e32 v0, v0, v9, vcc
	v_lshlrev_b32_e32 v6, 16, v10
	v_bfrev_b32_e32 v1, 60
	v_lshlrev_b32_e32 v0, 20, v0
	v_and_b32_e32 v6, 0x80000000, v6
	v_lshl_add_u32 v4, v4, 23, v1
	v_or3_b32 v0, v6, v4, v0
.LBB6_1218:                             ;   in Loop: Header=BB6_128 Depth=2
	s_or_b64 exec, exec, s[88:89]
.LBB6_1219:                             ;   in Loop: Header=BB6_128 Depth=2
	s_or_b64 exec, exec, s[78:79]
.LBB6_1220:                             ;   in Loop: Header=BB6_128 Depth=2
	s_or_b64 exec, exec, s[20:21]
	v_mul_f32_e32 v4, v17, v0
	v_and_b32_e32 v52, 0x7f800000, v4
	v_cmp_ne_u64_e32 vcc, s[56:57], v[52:53]
                                        ; implicit-def: $vgpr0
                                        ; kill: killed $vgpr0
	s_and_saveexec_b64 s[20:21], vcc
	s_xor_b64 s[78:79], exec, s[20:21]
	s_cbranch_execz .LBB6_1234
; %bb.1221:                             ;   in Loop: Header=BB6_128 Depth=2
	v_and_b32_e32 v52, 0x7fffffff, v4
	v_cmp_gt_u64_e32 vcc, s[58:59], v[52:53]
	v_and_b32_sdwa v0, v4, s53 dst_sel:DWORD dst_unused:UNUSED_PAD src0_sel:BYTE_3 src1_sel:DWORD
                                        ; implicit-def: $vgpr6
                                        ; kill: killed $vgpr6
	s_and_saveexec_b64 s[20:21], vcc
	s_xor_b64 s[88:89], exec, s[20:21]
	s_cbranch_execz .LBB6_1231
; %bb.1222:                             ;   in Loop: Header=BB6_128 Depth=2
	v_mov_b32_e32 v6, 0
	v_cmp_ne_u32_e32 vcc, 0, v4
	buffer_store_dword v6, off, s[0:3], s33 offset:144 ; 4-byte Folded Spill
	s_and_saveexec_b64 s[90:91], vcc
	s_cbranch_execz .LBB6_1230
; %bb.1223:                             ;   in Loop: Header=BB6_128 Depth=2
	v_and_b32_e32 v9, 0x7fffff, v4
	v_bfe_u32 v4, v4, 23, 8
	v_cmp_gt_u32_e64 s[20:21], s54, v4
	v_sub_u32_e32 v6, 0x79, v4
	v_cmp_eq_u32_e32 vcc, 0, v4
	v_cndmask_b32_e64 v6, 0, v6, s[20:21]
	v_mov_b32_e32 v15, 0x78
	v_or_b32_e32 v14, 0x800000, v9
	v_cndmask_b32_e32 v6, v6, v15, vcc
	v_cndmask_b32_e32 v52, v14, v9, vcc
	v_add_u32_e32 v9, 20, v6
	v_lshlrev_b64 v[14:15], v9, -1
	v_add_u32_e32 v9, 19, v6
	v_lshlrev_b64 v[18:19], v9, 1
	v_bfi_b32 v15, v15, 0, 0
	v_bfi_b32 v14, v14, 0, v52
	v_cmp_eq_u64_e64 s[20:21], v[14:15], v[18:19]
	v_lshrrev_b64 v[14:15], v6, v[52:53]
	v_mov_b32_e32 v16, v15
	v_mov_b32_e32 v15, v14
	s_and_saveexec_b64 s[92:93], s[20:21]
; %bb.1224:                             ;   in Loop: Header=BB6_128 Depth=2
	v_bfe_u32 v9, v14, 20, 1
	v_add_co_u32_e64 v9, s[20:21], v14, v9
	v_add_co_u32_e64 v15, s[20:21], -1, v9
; %bb.1225:                             ;   in Loop: Header=BB6_128 Depth=2
	s_or_b64 exec, exec, s[92:93]
	v_add_u32_e32 v4, 0xffffff81, v4
	v_mov_b32_e32 v9, 0xffffff82
	v_cndmask_b32_e32 v4, v4, v9, vcc
	v_lshrrev_b32_e32 v9, 23, v14
	v_add3_u32 v9, v6, v4, v9
	v_add_u32_e32 v6, 6, v9
	v_and_b32_e32 v4, 0xfffff, v15
	v_add_u32_e32 v52, v4, v14
	v_cmp_ne_u32_e32 vcc, 0, v6
                                        ; implicit-def: $vgpr14_vgpr15
                                        ; implicit-def: $vgpr4
	s_and_saveexec_b64 s[20:21], vcc
	s_xor_b64 s[20:21], exec, s[20:21]
; %bb.1226:                             ;   in Loop: Header=BB6_128 Depth=2
	v_cmp_lt_u64_e32 vcc, s[60:61], v[52:53]
	v_add_u32_e32 v4, 7, v9
	v_cndmask_b32_e32 v4, v6, v4, vcc
	v_cndmask_b32_e64 v6, 0, 1, vcc
	v_lshrrev_b64 v[14:15], v6, v[52:53]
; %bb.1227:                             ;   in Loop: Header=BB6_128 Depth=2
	s_andn2_saveexec_b64 s[20:21], s[20:21]
; %bb.1228:                             ;   in Loop: Header=BB6_128 Depth=2
	v_mov_b32_e32 v14, v52
	v_bfe_u32 v4, v52, 23, 1
	v_mov_b32_e32 v15, v53
; %bb.1229:                             ;   in Loop: Header=BB6_128 Depth=2
	s_or_b64 exec, exec, s[20:21]
	v_lshrrev_b64 v[14:15], 20, v[14:15]
	v_cmp_gt_i32_e32 vcc, 16, v4
	v_cndmask_b32_e32 v15, 0, v15, vcc
	v_cndmask_b32_e32 v14, 7, v14, vcc
	v_cmp_eq_u32_e32 vcc, 0, v4
	v_min_i32_e32 v4, 15, v4
	v_cmp_eq_u64_e64 s[20:21], 0, v[14:15]
	v_lshlrev_b32_e32 v4, 3, v4
	v_and_b32_e32 v4, 0xf8, v4
	v_and_or_b32 v4, v14, 7, v4
	s_and_b64 s[20:21], vcc, s[20:21]
	v_cndmask_b32_e64 v4, v4, 0, s[20:21]
	v_or_b32_e32 v0, v4, v0
	buffer_store_dword v0, off, s[0:3], s33 offset:144 ; 4-byte Folded Spill
.LBB6_1230:                             ;   in Loop: Header=BB6_128 Depth=2
	s_or_b64 exec, exec, s[90:91]
                                        ; implicit-def: $vgpr0
.LBB6_1231:                             ;   in Loop: Header=BB6_128 Depth=2
	s_andn2_saveexec_b64 s[20:21], s[88:89]
	s_cbranch_execz .LBB6_1233
; %bb.1232:                             ;   in Loop: Header=BB6_128 Depth=2
	v_or_b32_e32 v0, 0x7e, v0
	buffer_store_dword v0, off, s[0:3], s33 offset:144 ; 4-byte Folded Spill
.LBB6_1233:                             ;   in Loop: Header=BB6_128 Depth=2
	s_or_b64 exec, exec, s[20:21]
                                        ; implicit-def: $vgpr4
.LBB6_1234:                             ;   in Loop: Header=BB6_128 Depth=2
	s_andn2_saveexec_b64 s[20:21], s[78:79]
	s_cbranch_execz .LBB6_1236
; %bb.1235:                             ;   in Loop: Header=BB6_128 Depth=2
	v_or_b32_sdwa v0, v4, s51 dst_sel:DWORD dst_unused:UNUSED_PAD src0_sel:BYTE_3 src1_sel:DWORD
	buffer_store_dword v0, off, s[0:3], s33 offset:144 ; 4-byte Folded Spill
.LBB6_1236:                             ;   in Loop: Header=BB6_128 Depth=2
	s_or_b64 exec, exec, s[20:21]
	v_lshrrev_b32_e32 v14, 16, v10
	v_cmp_ne_u16_sdwa s[78:79], v14, v53 src0_sel:BYTE_0 src1_sel:DWORD
	v_mov_b32_e32 v0, 0
	s_and_saveexec_b64 s[20:21], s[78:79]
	s_cbranch_execz .LBB6_1242
; %bb.1237:                             ;   in Loop: Header=BB6_128 Depth=2
	v_cmp_ne_u16_sdwa s[88:89], v14, s53 src0_sel:BYTE_0 src1_sel:DWORD
	v_bfrev_b32_e32 v0, 1
	s_and_saveexec_b64 s[78:79], s[88:89]
	s_cbranch_execz .LBB6_1241
; %bb.1238:                             ;   in Loop: Header=BB6_128 Depth=2
	v_bfe_u32 v4, v10, 16, 7
	v_cmp_ne_u32_e32 vcc, s51, v4
	v_mov_b32_e32 v0, 0x7f800001
	s_and_saveexec_b64 s[88:89], vcc
	s_cbranch_execz .LBB6_1240
; %bb.1239:                             ;   in Loop: Header=BB6_128 Depth=2
	v_and_b32_e32 v0, 7, v14
	v_lshrrev_b32_e32 v6, 3, v4
	v_cmp_gt_u32_e32 vcc, 8, v4
	v_ffbh_u32_e32 v4, v0
	v_min_u32_e32 v4, 32, v4
	v_subrev_u32_e32 v9, 28, v4
	v_lshlrev_b64 v[15:16], v9, v[14:15]
	v_sub_u32_e32 v4, 29, v4
	v_and_b32_e32 v9, 7, v15
	v_cndmask_b32_e32 v4, v6, v4, vcc
	v_cndmask_b32_e32 v0, v0, v9, vcc
	v_lshlrev_b32_e32 v6, 24, v14
	v_bfrev_b32_e32 v1, 60
	v_lshlrev_b32_e32 v0, 20, v0
	v_and_b32_e32 v6, 0x80000000, v6
	v_lshl_add_u32 v4, v4, 23, v1
	v_or3_b32 v0, v6, v4, v0
.LBB6_1240:                             ;   in Loop: Header=BB6_128 Depth=2
	s_or_b64 exec, exec, s[88:89]
.LBB6_1241:                             ;   in Loop: Header=BB6_128 Depth=2
	s_or_b64 exec, exec, s[78:79]
.LBB6_1242:                             ;   in Loop: Header=BB6_128 Depth=2
	s_or_b64 exec, exec, s[20:21]
	v_mul_f32_e32 v4, v17, v0
	v_and_b32_e32 v52, 0x7f800000, v4
	v_cmp_ne_u64_e32 vcc, s[56:57], v[52:53]
                                        ; implicit-def: $vgpr0
                                        ; kill: killed $vgpr0
	s_and_saveexec_b64 s[20:21], vcc
	s_xor_b64 s[78:79], exec, s[20:21]
	s_cbranch_execz .LBB6_1256
; %bb.1243:                             ;   in Loop: Header=BB6_128 Depth=2
	v_and_b32_e32 v52, 0x7fffffff, v4
	v_cmp_gt_u64_e32 vcc, s[58:59], v[52:53]
	v_and_b32_sdwa v0, v4, s53 dst_sel:DWORD dst_unused:UNUSED_PAD src0_sel:BYTE_3 src1_sel:DWORD
                                        ; implicit-def: $vgpr6
                                        ; kill: killed $vgpr6
	s_and_saveexec_b64 s[20:21], vcc
	s_xor_b64 s[88:89], exec, s[20:21]
	s_cbranch_execz .LBB6_1253
; %bb.1244:                             ;   in Loop: Header=BB6_128 Depth=2
	v_mov_b32_e32 v6, 0
	v_cmp_ne_u32_e32 vcc, 0, v4
	buffer_store_dword v6, off, s[0:3], s33 offset:168 ; 4-byte Folded Spill
	s_and_saveexec_b64 s[90:91], vcc
	s_cbranch_execz .LBB6_1252
; %bb.1245:                             ;   in Loop: Header=BB6_128 Depth=2
	v_and_b32_e32 v9, 0x7fffff, v4
	v_bfe_u32 v4, v4, 23, 8
	v_cmp_gt_u32_e64 s[20:21], s54, v4
	v_sub_u32_e32 v6, 0x79, v4
	v_cmp_eq_u32_e32 vcc, 0, v4
	v_cndmask_b32_e64 v6, 0, v6, s[20:21]
	v_mov_b32_e32 v15, 0x78
	v_or_b32_e32 v14, 0x800000, v9
	v_cndmask_b32_e32 v6, v6, v15, vcc
	v_cndmask_b32_e32 v52, v14, v9, vcc
	v_add_u32_e32 v9, 20, v6
	v_lshlrev_b64 v[14:15], v9, -1
	v_add_u32_e32 v9, 19, v6
	v_lshlrev_b64 v[18:19], v9, 1
	v_bfi_b32 v15, v15, 0, 0
	v_bfi_b32 v14, v14, 0, v52
	v_cmp_eq_u64_e64 s[20:21], v[14:15], v[18:19]
	v_lshrrev_b64 v[14:15], v6, v[52:53]
	v_mov_b32_e32 v16, v15
	v_mov_b32_e32 v15, v14
	s_and_saveexec_b64 s[92:93], s[20:21]
; %bb.1246:                             ;   in Loop: Header=BB6_128 Depth=2
	v_bfe_u32 v9, v14, 20, 1
	v_add_co_u32_e64 v9, s[20:21], v14, v9
	v_add_co_u32_e64 v15, s[20:21], -1, v9
; %bb.1247:                             ;   in Loop: Header=BB6_128 Depth=2
	s_or_b64 exec, exec, s[92:93]
	v_add_u32_e32 v4, 0xffffff81, v4
	v_mov_b32_e32 v9, 0xffffff82
	v_cndmask_b32_e32 v4, v4, v9, vcc
	v_lshrrev_b32_e32 v9, 23, v14
	v_add3_u32 v9, v6, v4, v9
	v_add_u32_e32 v6, 6, v9
	v_and_b32_e32 v4, 0xfffff, v15
	v_add_u32_e32 v52, v4, v14
	v_cmp_ne_u32_e32 vcc, 0, v6
                                        ; implicit-def: $vgpr14_vgpr15
                                        ; implicit-def: $vgpr4
	s_and_saveexec_b64 s[20:21], vcc
	s_xor_b64 s[20:21], exec, s[20:21]
; %bb.1248:                             ;   in Loop: Header=BB6_128 Depth=2
	v_cmp_lt_u64_e32 vcc, s[60:61], v[52:53]
	v_add_u32_e32 v4, 7, v9
	v_cndmask_b32_e32 v4, v6, v4, vcc
	v_cndmask_b32_e64 v6, 0, 1, vcc
	v_lshrrev_b64 v[14:15], v6, v[52:53]
; %bb.1249:                             ;   in Loop: Header=BB6_128 Depth=2
	s_andn2_saveexec_b64 s[20:21], s[20:21]
; %bb.1250:                             ;   in Loop: Header=BB6_128 Depth=2
	v_mov_b32_e32 v14, v52
	v_bfe_u32 v4, v52, 23, 1
	v_mov_b32_e32 v15, v53
; %bb.1251:                             ;   in Loop: Header=BB6_128 Depth=2
	s_or_b64 exec, exec, s[20:21]
	v_lshrrev_b64 v[14:15], 20, v[14:15]
	v_cmp_gt_i32_e32 vcc, 16, v4
	v_cndmask_b32_e32 v15, 0, v15, vcc
	v_cndmask_b32_e32 v14, 7, v14, vcc
	v_cmp_eq_u32_e32 vcc, 0, v4
	v_min_i32_e32 v4, 15, v4
	v_cmp_eq_u64_e64 s[20:21], 0, v[14:15]
	v_lshlrev_b32_e32 v4, 3, v4
	v_and_b32_e32 v4, 0xf8, v4
	v_and_or_b32 v4, v14, 7, v4
	s_and_b64 s[20:21], vcc, s[20:21]
	v_cndmask_b32_e64 v4, v4, 0, s[20:21]
	v_or_b32_e32 v0, v4, v0
	buffer_store_dword v0, off, s[0:3], s33 offset:168 ; 4-byte Folded Spill
.LBB6_1252:                             ;   in Loop: Header=BB6_128 Depth=2
	s_or_b64 exec, exec, s[90:91]
                                        ; implicit-def: $vgpr0
.LBB6_1253:                             ;   in Loop: Header=BB6_128 Depth=2
	s_andn2_saveexec_b64 s[20:21], s[88:89]
	s_cbranch_execz .LBB6_1255
; %bb.1254:                             ;   in Loop: Header=BB6_128 Depth=2
	v_or_b32_e32 v0, 0x7e, v0
	buffer_store_dword v0, off, s[0:3], s33 offset:168 ; 4-byte Folded Spill
.LBB6_1255:                             ;   in Loop: Header=BB6_128 Depth=2
	s_or_b64 exec, exec, s[20:21]
                                        ; implicit-def: $vgpr4
.LBB6_1256:                             ;   in Loop: Header=BB6_128 Depth=2
	s_andn2_saveexec_b64 s[20:21], s[78:79]
	s_cbranch_execz .LBB6_1258
; %bb.1257:                             ;   in Loop: Header=BB6_128 Depth=2
	v_or_b32_sdwa v0, v4, s51 dst_sel:DWORD dst_unused:UNUSED_PAD src0_sel:BYTE_3 src1_sel:DWORD
	buffer_store_dword v0, off, s[0:3], s33 offset:168 ; 4-byte Folded Spill
.LBB6_1258:                             ;   in Loop: Header=BB6_128 Depth=2
	s_or_b64 exec, exec, s[20:21]
	v_cmp_lt_u32_e32 vcc, s63, v10
	v_mov_b32_e32 v0, 0
	s_and_saveexec_b64 s[20:21], vcc
	s_cbranch_execz .LBB6_1264
; %bb.1259:                             ;   in Loop: Header=BB6_128 Depth=2
	v_lshrrev_b32_e32 v14, 24, v10
	v_cmp_ne_u32_e32 vcc, s53, v14
	v_bfrev_b32_e32 v0, 1
	s_and_saveexec_b64 s[78:79], vcc
	s_cbranch_execz .LBB6_1263
; %bb.1260:                             ;   in Loop: Header=BB6_128 Depth=2
	v_bfe_u32 v4, v10, 24, 7
	v_cmp_ne_u32_e32 vcc, s51, v4
	v_mov_b32_e32 v0, 0x7f800001
	s_and_saveexec_b64 s[88:89], vcc
	s_cbranch_execz .LBB6_1262
; %bb.1261:                             ;   in Loop: Header=BB6_128 Depth=2
	v_and_b32_e32 v0, 7, v14
	v_lshrrev_b32_e32 v6, 3, v4
	v_cmp_gt_u32_e32 vcc, 8, v4
	v_ffbh_u32_e32 v4, v0
	v_min_u32_e32 v4, 32, v4
	v_subrev_u32_e32 v9, 28, v4
	v_lshlrev_b64 v[15:16], v9, v[14:15]
	v_sub_u32_e32 v4, 29, v4
	v_and_b32_e32 v9, 7, v15
	v_cndmask_b32_e32 v4, v6, v4, vcc
	v_cndmask_b32_e32 v0, v0, v9, vcc
	v_lshlrev_b32_e32 v6, 24, v14
	v_bfrev_b32_e32 v1, 60
	v_lshlrev_b32_e32 v0, 20, v0
	v_and_b32_e32 v6, 0x80000000, v6
	v_lshl_add_u32 v4, v4, 23, v1
	v_or3_b32 v0, v6, v4, v0
.LBB6_1262:                             ;   in Loop: Header=BB6_128 Depth=2
	s_or_b64 exec, exec, s[88:89]
.LBB6_1263:                             ;   in Loop: Header=BB6_128 Depth=2
	s_or_b64 exec, exec, s[78:79]
.LBB6_1264:                             ;   in Loop: Header=BB6_128 Depth=2
	s_or_b64 exec, exec, s[20:21]
	v_mul_f32_e32 v4, v17, v0
	v_and_b32_e32 v52, 0x7f800000, v4
	v_cmp_ne_u64_e32 vcc, s[56:57], v[52:53]
                                        ; implicit-def: $vgpr0
                                        ; kill: killed $vgpr0
	s_and_saveexec_b64 s[20:21], vcc
	s_xor_b64 s[78:79], exec, s[20:21]
	s_cbranch_execz .LBB6_1278
; %bb.1265:                             ;   in Loop: Header=BB6_128 Depth=2
	v_and_b32_e32 v52, 0x7fffffff, v4
	v_cmp_gt_u64_e32 vcc, s[58:59], v[52:53]
	v_and_b32_sdwa v0, v4, s53 dst_sel:DWORD dst_unused:UNUSED_PAD src0_sel:BYTE_3 src1_sel:DWORD
                                        ; implicit-def: $vgpr6
                                        ; kill: killed $vgpr6
	s_and_saveexec_b64 s[20:21], vcc
	s_xor_b64 s[88:89], exec, s[20:21]
	s_cbranch_execz .LBB6_1275
; %bb.1266:                             ;   in Loop: Header=BB6_128 Depth=2
	v_mov_b32_e32 v6, 0
	v_cmp_ne_u32_e32 vcc, 0, v4
	buffer_store_dword v6, off, s[0:3], s33 offset:196 ; 4-byte Folded Spill
	s_and_saveexec_b64 s[90:91], vcc
	s_cbranch_execz .LBB6_1274
; %bb.1267:                             ;   in Loop: Header=BB6_128 Depth=2
	v_and_b32_e32 v9, 0x7fffff, v4
	v_bfe_u32 v4, v4, 23, 8
	v_cmp_gt_u32_e64 s[20:21], s54, v4
	v_sub_u32_e32 v6, 0x79, v4
	v_cmp_eq_u32_e32 vcc, 0, v4
	v_cndmask_b32_e64 v6, 0, v6, s[20:21]
	v_mov_b32_e32 v15, 0x78
	v_or_b32_e32 v14, 0x800000, v9
	v_cndmask_b32_e32 v6, v6, v15, vcc
	v_cndmask_b32_e32 v52, v14, v9, vcc
	v_add_u32_e32 v9, 20, v6
	v_lshlrev_b64 v[14:15], v9, -1
	v_add_u32_e32 v9, 19, v6
	v_lshlrev_b64 v[18:19], v9, 1
	v_bfi_b32 v15, v15, 0, 0
	v_bfi_b32 v14, v14, 0, v52
	v_cmp_eq_u64_e64 s[20:21], v[14:15], v[18:19]
	v_lshrrev_b64 v[14:15], v6, v[52:53]
	v_mov_b32_e32 v16, v15
	v_mov_b32_e32 v15, v14
	s_and_saveexec_b64 s[92:93], s[20:21]
; %bb.1268:                             ;   in Loop: Header=BB6_128 Depth=2
	v_bfe_u32 v9, v14, 20, 1
	v_add_co_u32_e64 v9, s[20:21], v14, v9
	v_add_co_u32_e64 v15, s[20:21], -1, v9
; %bb.1269:                             ;   in Loop: Header=BB6_128 Depth=2
	s_or_b64 exec, exec, s[92:93]
	v_add_u32_e32 v4, 0xffffff81, v4
	v_mov_b32_e32 v9, 0xffffff82
	v_cndmask_b32_e32 v4, v4, v9, vcc
	v_lshrrev_b32_e32 v9, 23, v14
	v_add3_u32 v9, v6, v4, v9
	v_add_u32_e32 v6, 6, v9
	v_and_b32_e32 v4, 0xfffff, v15
	v_add_u32_e32 v52, v4, v14
	v_cmp_ne_u32_e32 vcc, 0, v6
                                        ; implicit-def: $vgpr14_vgpr15
                                        ; implicit-def: $vgpr4
	s_and_saveexec_b64 s[20:21], vcc
	s_xor_b64 s[20:21], exec, s[20:21]
; %bb.1270:                             ;   in Loop: Header=BB6_128 Depth=2
	v_cmp_lt_u64_e32 vcc, s[60:61], v[52:53]
	v_add_u32_e32 v4, 7, v9
	v_cndmask_b32_e32 v4, v6, v4, vcc
	v_cndmask_b32_e64 v6, 0, 1, vcc
	v_lshrrev_b64 v[14:15], v6, v[52:53]
; %bb.1271:                             ;   in Loop: Header=BB6_128 Depth=2
	s_andn2_saveexec_b64 s[20:21], s[20:21]
; %bb.1272:                             ;   in Loop: Header=BB6_128 Depth=2
	v_mov_b32_e32 v14, v52
	v_bfe_u32 v4, v52, 23, 1
	v_mov_b32_e32 v15, v53
; %bb.1273:                             ;   in Loop: Header=BB6_128 Depth=2
	s_or_b64 exec, exec, s[20:21]
	v_lshrrev_b64 v[14:15], 20, v[14:15]
	v_cmp_gt_i32_e32 vcc, 16, v4
	v_cndmask_b32_e32 v15, 0, v15, vcc
	v_cndmask_b32_e32 v14, 7, v14, vcc
	v_cmp_eq_u32_e32 vcc, 0, v4
	v_min_i32_e32 v4, 15, v4
	v_cmp_eq_u64_e64 s[20:21], 0, v[14:15]
	v_lshlrev_b32_e32 v4, 3, v4
	v_and_b32_e32 v4, 0xf8, v4
	v_and_or_b32 v4, v14, 7, v4
	s_and_b64 s[20:21], vcc, s[20:21]
	v_cndmask_b32_e64 v4, v4, 0, s[20:21]
	v_or_b32_e32 v0, v4, v0
	buffer_store_dword v0, off, s[0:3], s33 offset:196 ; 4-byte Folded Spill
.LBB6_1274:                             ;   in Loop: Header=BB6_128 Depth=2
	s_or_b64 exec, exec, s[90:91]
                                        ; implicit-def: $vgpr0
.LBB6_1275:                             ;   in Loop: Header=BB6_128 Depth=2
	s_andn2_saveexec_b64 s[20:21], s[88:89]
	s_cbranch_execz .LBB6_1277
; %bb.1276:                             ;   in Loop: Header=BB6_128 Depth=2
	v_or_b32_e32 v0, 0x7e, v0
	buffer_store_dword v0, off, s[0:3], s33 offset:196 ; 4-byte Folded Spill
.LBB6_1277:                             ;   in Loop: Header=BB6_128 Depth=2
	s_or_b64 exec, exec, s[20:21]
                                        ; implicit-def: $vgpr4
.LBB6_1278:                             ;   in Loop: Header=BB6_128 Depth=2
	s_andn2_saveexec_b64 s[20:21], s[78:79]
	s_cbranch_execz .LBB6_1280
; %bb.1279:                             ;   in Loop: Header=BB6_128 Depth=2
	v_or_b32_sdwa v0, v4, s51 dst_sel:DWORD dst_unused:UNUSED_PAD src0_sel:BYTE_3 src1_sel:DWORD
	buffer_store_dword v0, off, s[0:3], s33 offset:196 ; 4-byte Folded Spill
.LBB6_1280:                             ;   in Loop: Header=BB6_128 Depth=2
	s_or_b64 exec, exec, s[20:21]
	v_mov_b32_e32 v52, v11
	v_cmp_ne_u16_sdwa s[78:79], v11, v53 src0_sel:BYTE_0 src1_sel:DWORD
	v_mov_b32_e32 v0, 0
	s_and_saveexec_b64 s[20:21], s[78:79]
	s_cbranch_execz .LBB6_1286
; %bb.1281:                             ;   in Loop: Header=BB6_128 Depth=2
	v_cmp_ne_u16_sdwa s[88:89], v11, s53 src0_sel:BYTE_0 src1_sel:DWORD
	v_bfrev_b32_e32 v0, 1
	s_and_saveexec_b64 s[78:79], s[88:89]
	s_cbranch_execz .LBB6_1285
; %bb.1282:                             ;   in Loop: Header=BB6_128 Depth=2
	v_and_b32_e32 v4, 0x7f, v11
	v_cmp_ne_u32_e32 vcc, s51, v4
	v_mov_b32_e32 v0, 0x7f800001
	s_and_saveexec_b64 s[88:89], vcc
	s_cbranch_execz .LBB6_1284
; %bb.1283:                             ;   in Loop: Header=BB6_128 Depth=2
	v_and_b32_e32 v0, 7, v11
	v_ffbh_u32_e32 v0, v0
	v_min_u32_e32 v0, 32, v0
	v_lshrrev_b32_e32 v6, 3, v4
	v_cmp_gt_u32_e32 vcc, 8, v4
	v_subrev_u32_e32 v4, 28, v0
	v_cndmask_b32_e32 v4, 0, v4, vcc
	v_lshlrev_b64 v[14:15], v4, v[52:53]
	v_sub_u32_e32 v0, 29, v0
	v_cndmask_b32_e32 v0, v6, v0, vcc
	v_lshlrev_b32_e32 v4, 20, v14
	v_lshlrev_b32_e32 v6, 24, v52
	v_bfrev_b32_e32 v1, 60
	v_and_b32_e32 v4, 0x700000, v4
	v_and_b32_e32 v6, 0x80000000, v6
	v_lshl_add_u32 v0, v0, 23, v1
	v_or3_b32 v0, v6, v0, v4
.LBB6_1284:                             ;   in Loop: Header=BB6_128 Depth=2
	s_or_b64 exec, exec, s[88:89]
.LBB6_1285:                             ;   in Loop: Header=BB6_128 Depth=2
	s_or_b64 exec, exec, s[78:79]
.LBB6_1286:                             ;   in Loop: Header=BB6_128 Depth=2
	s_or_b64 exec, exec, s[20:21]
	v_mul_f32_e32 v4, v17, v0
	v_and_b32_e32 v14, 0x7f800000, v4
	v_mov_b32_e32 v15, v53
	v_cmp_ne_u64_e32 vcc, s[56:57], v[14:15]
                                        ; implicit-def: $vgpr9
	s_and_saveexec_b64 s[20:21], vcc
	s_xor_b64 s[78:79], exec, s[20:21]
	s_cbranch_execz .LBB6_1300
; %bb.1287:                             ;   in Loop: Header=BB6_128 Depth=2
	v_and_b32_e32 v14, 0x7fffffff, v4
	v_mov_b32_e32 v15, v53
	v_cmp_gt_u64_e32 vcc, s[58:59], v[14:15]
	v_and_b32_sdwa v0, v4, s53 dst_sel:DWORD dst_unused:UNUSED_PAD src0_sel:BYTE_3 src1_sel:DWORD
                                        ; implicit-def: $vgpr9
	s_and_saveexec_b64 s[20:21], vcc
	s_xor_b64 s[88:89], exec, s[20:21]
	s_cbranch_execz .LBB6_1297
; %bb.1288:                             ;   in Loop: Header=BB6_128 Depth=2
	v_mov_b32_e32 v9, 0
	v_cmp_ne_u32_e32 vcc, 0, v4
	s_and_saveexec_b64 s[90:91], vcc
	s_cbranch_execz .LBB6_1296
; %bb.1289:                             ;   in Loop: Header=BB6_128 Depth=2
	v_and_b32_e32 v9, 0x7fffff, v4
	v_bfe_u32 v4, v4, 23, 8
	v_cmp_gt_u32_e64 s[20:21], s54, v4
	v_sub_u32_e32 v6, 0x79, v4
	v_cmp_eq_u32_e32 vcc, 0, v4
	v_cndmask_b32_e64 v6, 0, v6, s[20:21]
	v_mov_b32_e32 v15, 0x78
	v_or_b32_e32 v14, 0x800000, v9
	v_cndmask_b32_e32 v6, v6, v15, vcc
	v_cndmask_b32_e32 v14, v14, v9, vcc
	v_add_u32_e32 v9, 20, v6
	v_lshlrev_b64 v[18:19], v9, -1
	v_mov_b32_e32 v15, v53
	v_add_u32_e32 v9, 19, v6
	v_bfi_b32 v18, v18, 0, v14
	v_lshlrev_b64 v[20:21], v9, 1
	v_lshrrev_b64 v[14:15], v6, v[14:15]
	v_bfi_b32 v19, v19, 0, 0
	v_cmp_eq_u64_e64 s[20:21], v[18:19], v[20:21]
	v_mov_b32_e32 v16, v15
	v_mov_b32_e32 v15, v14
	s_and_saveexec_b64 s[92:93], s[20:21]
; %bb.1290:                             ;   in Loop: Header=BB6_128 Depth=2
	v_bfe_u32 v9, v14, 20, 1
	v_add_co_u32_e64 v9, s[20:21], v14, v9
	v_add_co_u32_e64 v15, s[20:21], -1, v9
; %bb.1291:                             ;   in Loop: Header=BB6_128 Depth=2
	s_or_b64 exec, exec, s[92:93]
	v_add_u32_e32 v4, 0xffffff81, v4
	v_mov_b32_e32 v9, 0xffffff82
	v_cndmask_b32_e32 v4, v4, v9, vcc
	v_lshrrev_b32_e32 v9, 23, v14
	v_add3_u32 v9, v6, v4, v9
	v_add_u32_e32 v6, 6, v9
	v_and_b32_e32 v4, 0xfffff, v15
	v_add_u32_e32 v14, v4, v14
	v_mov_b32_e32 v15, v53
	v_cmp_ne_u32_e32 vcc, 0, v6
                                        ; implicit-def: $vgpr4
	s_and_saveexec_b64 s[20:21], vcc
	s_xor_b64 s[20:21], exec, s[20:21]
; %bb.1292:                             ;   in Loop: Header=BB6_128 Depth=2
	v_cmp_lt_u64_e32 vcc, s[60:61], v[14:15]
	v_add_u32_e32 v4, 7, v9
	v_cndmask_b32_e32 v4, v6, v4, vcc
	v_cndmask_b32_e64 v6, 0, 1, vcc
	v_lshrrev_b64 v[14:15], v6, v[14:15]
; %bb.1293:                             ;   in Loop: Header=BB6_128 Depth=2
	s_andn2_saveexec_b64 s[20:21], s[20:21]
; %bb.1294:                             ;   in Loop: Header=BB6_128 Depth=2
	v_bfe_u32 v4, v14, 23, 1
; %bb.1295:                             ;   in Loop: Header=BB6_128 Depth=2
	s_or_b64 exec, exec, s[20:21]
	v_lshrrev_b64 v[14:15], 20, v[14:15]
	v_cmp_gt_i32_e32 vcc, 16, v4
	v_cndmask_b32_e32 v15, 0, v15, vcc
	v_cndmask_b32_e32 v14, 7, v14, vcc
	v_cmp_eq_u32_e32 vcc, 0, v4
	v_min_i32_e32 v4, 15, v4
	v_cmp_eq_u64_e64 s[20:21], 0, v[14:15]
	v_lshlrev_b32_e32 v4, 3, v4
	v_and_b32_e32 v4, 0xf8, v4
	v_and_or_b32 v4, v14, 7, v4
	s_and_b64 s[20:21], vcc, s[20:21]
	v_cndmask_b32_e64 v4, v4, 0, s[20:21]
	v_or_b32_e32 v9, v4, v0
.LBB6_1296:                             ;   in Loop: Header=BB6_128 Depth=2
	s_or_b64 exec, exec, s[90:91]
                                        ; implicit-def: $vgpr0
.LBB6_1297:                             ;   in Loop: Header=BB6_128 Depth=2
	s_andn2_saveexec_b64 s[20:21], s[88:89]
; %bb.1298:                             ;   in Loop: Header=BB6_128 Depth=2
	v_or_b32_e32 v9, 0x7e, v0
; %bb.1299:                             ;   in Loop: Header=BB6_128 Depth=2
	s_or_b64 exec, exec, s[20:21]
                                        ; implicit-def: $vgpr4
.LBB6_1300:                             ;   in Loop: Header=BB6_128 Depth=2
	s_andn2_saveexec_b64 s[20:21], s[78:79]
; %bb.1301:                             ;   in Loop: Header=BB6_128 Depth=2
	v_or_b32_sdwa v9, v4, s51 dst_sel:DWORD dst_unused:UNUSED_PAD src0_sel:BYTE_3 src1_sel:DWORD
; %bb.1302:                             ;   in Loop: Header=BB6_128 Depth=2
	s_or_b64 exec, exec, s[20:21]
	v_lshrrev_b16_e32 v14, 8, v52
	v_cmp_ne_u16_e32 vcc, 0, v14
	v_mov_b32_e32 v0, 0
	s_and_saveexec_b64 s[20:21], vcc
	s_cbranch_execz .LBB6_1308
; %bb.1303:                             ;   in Loop: Header=BB6_128 Depth=2
	v_cmp_ne_u16_e32 vcc, s53, v14
	v_bfrev_b32_e32 v0, 1
	s_and_saveexec_b64 s[78:79], vcc
	s_cbranch_execz .LBB6_1307
; %bb.1304:                             ;   in Loop: Header=BB6_128 Depth=2
	v_and_b32_e32 v4, 0x7f, v14
	v_cmp_ne_u32_e32 vcc, s51, v4
	v_mov_b32_e32 v0, 0x7f800001
	s_and_saveexec_b64 s[88:89], vcc
	s_cbranch_execz .LBB6_1306
; %bb.1305:                             ;   in Loop: Header=BB6_128 Depth=2
	v_and_b32_e32 v0, 7, v14
	v_lshrrev_b32_e32 v6, 3, v4
	v_cmp_gt_u32_e32 vcc, 8, v4
	v_ffbh_u32_e32 v4, v0
	v_min_u32_e32 v4, 32, v4
	v_subrev_u32_e32 v15, 28, v4
	v_lshlrev_b64 v[14:15], v15, v[14:15]
	v_sub_u32_e32 v4, 29, v4
	v_and_b32_e32 v14, 7, v14
	v_cndmask_b32_e32 v4, v6, v4, vcc
	v_cndmask_b32_e32 v0, v0, v14, vcc
	v_lshlrev_b32_e32 v6, 16, v52
	v_bfrev_b32_e32 v1, 60
	v_lshlrev_b32_e32 v0, 20, v0
	v_and_b32_e32 v6, 0x80000000, v6
	v_lshl_add_u32 v4, v4, 23, v1
	v_or3_b32 v0, v6, v4, v0
.LBB6_1306:                             ;   in Loop: Header=BB6_128 Depth=2
	s_or_b64 exec, exec, s[88:89]
.LBB6_1307:                             ;   in Loop: Header=BB6_128 Depth=2
	s_or_b64 exec, exec, s[78:79]
.LBB6_1308:                             ;   in Loop: Header=BB6_128 Depth=2
	s_or_b64 exec, exec, s[20:21]
	v_mul_f32_e32 v4, v17, v0
	v_and_b32_e32 v52, 0x7f800000, v4
	v_cmp_ne_u64_e32 vcc, s[56:57], v[52:53]
                                        ; implicit-def: $vgpr0
                                        ; kill: killed $vgpr0
	s_and_saveexec_b64 s[20:21], vcc
	s_xor_b64 s[78:79], exec, s[20:21]
	s_cbranch_execz .LBB6_1322
; %bb.1309:                             ;   in Loop: Header=BB6_128 Depth=2
	v_and_b32_e32 v52, 0x7fffffff, v4
	v_cmp_gt_u64_e32 vcc, s[58:59], v[52:53]
	v_and_b32_sdwa v0, v4, s53 dst_sel:DWORD dst_unused:UNUSED_PAD src0_sel:BYTE_3 src1_sel:DWORD
                                        ; implicit-def: $vgpr6
                                        ; kill: killed $vgpr6
	s_and_saveexec_b64 s[20:21], vcc
	s_xor_b64 s[88:89], exec, s[20:21]
	s_cbranch_execz .LBB6_1319
; %bb.1310:                             ;   in Loop: Header=BB6_128 Depth=2
	v_mov_b32_e32 v6, 0
	v_cmp_ne_u32_e32 vcc, 0, v4
	buffer_store_dword v6, off, s[0:3], s33 offset:128 ; 4-byte Folded Spill
	s_and_saveexec_b64 s[90:91], vcc
	s_cbranch_execz .LBB6_1318
; %bb.1311:                             ;   in Loop: Header=BB6_128 Depth=2
	v_and_b32_e32 v14, 0x7fffff, v4
	v_bfe_u32 v4, v4, 23, 8
	v_cmp_gt_u32_e64 s[20:21], s54, v4
	v_sub_u32_e32 v6, 0x79, v4
	v_cmp_eq_u32_e32 vcc, 0, v4
	v_cndmask_b32_e64 v6, 0, v6, s[20:21]
	v_mov_b32_e32 v16, 0x78
	v_or_b32_e32 v15, 0x800000, v14
	v_cndmask_b32_e32 v6, v6, v16, vcc
	v_cndmask_b32_e32 v52, v15, v14, vcc
	v_add_u32_e32 v14, 20, v6
	v_lshlrev_b64 v[14:15], v14, -1
	v_add_u32_e32 v16, 19, v6
	v_lshlrev_b64 v[18:19], v16, 1
	v_bfi_b32 v15, v15, 0, 0
	v_bfi_b32 v14, v14, 0, v52
	v_cmp_eq_u64_e64 s[20:21], v[14:15], v[18:19]
	v_lshrrev_b64 v[14:15], v6, v[52:53]
	v_mov_b32_e32 v16, v15
	v_mov_b32_e32 v15, v14
	s_and_saveexec_b64 s[92:93], s[20:21]
; %bb.1312:                             ;   in Loop: Header=BB6_128 Depth=2
	v_bfe_u32 v15, v14, 20, 1
	v_add_co_u32_e64 v15, s[20:21], v14, v15
	v_add_co_u32_e64 v15, s[20:21], -1, v15
; %bb.1313:                             ;   in Loop: Header=BB6_128 Depth=2
	s_or_b64 exec, exec, s[92:93]
	v_add_u32_e32 v4, 0xffffff81, v4
	v_mov_b32_e32 v16, 0xffffff82
	v_cndmask_b32_e32 v4, v4, v16, vcc
	v_lshrrev_b32_e32 v16, 23, v14
	v_add3_u32 v16, v6, v4, v16
	v_add_u32_e32 v6, 6, v16
	v_and_b32_e32 v4, 0xfffff, v15
	v_add_u32_e32 v52, v4, v14
	v_cmp_ne_u32_e32 vcc, 0, v6
                                        ; implicit-def: $vgpr14_vgpr15
                                        ; implicit-def: $vgpr4
	s_and_saveexec_b64 s[20:21], vcc
	s_xor_b64 s[20:21], exec, s[20:21]
; %bb.1314:                             ;   in Loop: Header=BB6_128 Depth=2
	v_cmp_lt_u64_e32 vcc, s[60:61], v[52:53]
	v_add_u32_e32 v4, 7, v16
	v_cndmask_b32_e32 v4, v6, v4, vcc
	v_cndmask_b32_e64 v6, 0, 1, vcc
	v_lshrrev_b64 v[14:15], v6, v[52:53]
; %bb.1315:                             ;   in Loop: Header=BB6_128 Depth=2
	s_andn2_saveexec_b64 s[20:21], s[20:21]
; %bb.1316:                             ;   in Loop: Header=BB6_128 Depth=2
	v_mov_b32_e32 v14, v52
	v_bfe_u32 v4, v52, 23, 1
	v_mov_b32_e32 v15, v53
; %bb.1317:                             ;   in Loop: Header=BB6_128 Depth=2
	s_or_b64 exec, exec, s[20:21]
	v_lshrrev_b64 v[14:15], 20, v[14:15]
	v_cmp_gt_i32_e32 vcc, 16, v4
	v_cndmask_b32_e32 v15, 0, v15, vcc
	v_cndmask_b32_e32 v14, 7, v14, vcc
	v_cmp_eq_u32_e32 vcc, 0, v4
	v_min_i32_e32 v4, 15, v4
	v_cmp_eq_u64_e64 s[20:21], 0, v[14:15]
	v_lshlrev_b32_e32 v4, 3, v4
	v_and_b32_e32 v4, 0xf8, v4
	v_and_or_b32 v4, v14, 7, v4
	s_and_b64 s[20:21], vcc, s[20:21]
	v_cndmask_b32_e64 v4, v4, 0, s[20:21]
	v_or_b32_e32 v0, v4, v0
	buffer_store_dword v0, off, s[0:3], s33 offset:128 ; 4-byte Folded Spill
.LBB6_1318:                             ;   in Loop: Header=BB6_128 Depth=2
	s_or_b64 exec, exec, s[90:91]
                                        ; implicit-def: $vgpr0
.LBB6_1319:                             ;   in Loop: Header=BB6_128 Depth=2
	s_andn2_saveexec_b64 s[20:21], s[88:89]
	s_cbranch_execz .LBB6_1321
; %bb.1320:                             ;   in Loop: Header=BB6_128 Depth=2
	v_or_b32_e32 v0, 0x7e, v0
	buffer_store_dword v0, off, s[0:3], s33 offset:128 ; 4-byte Folded Spill
.LBB6_1321:                             ;   in Loop: Header=BB6_128 Depth=2
	s_or_b64 exec, exec, s[20:21]
                                        ; implicit-def: $vgpr4
.LBB6_1322:                             ;   in Loop: Header=BB6_128 Depth=2
	s_andn2_saveexec_b64 s[20:21], s[78:79]
	s_cbranch_execz .LBB6_1324
; %bb.1323:                             ;   in Loop: Header=BB6_128 Depth=2
	v_or_b32_sdwa v0, v4, s51 dst_sel:DWORD dst_unused:UNUSED_PAD src0_sel:BYTE_3 src1_sel:DWORD
	buffer_store_dword v0, off, s[0:3], s33 offset:128 ; 4-byte Folded Spill
.LBB6_1324:                             ;   in Loop: Header=BB6_128 Depth=2
	s_or_b64 exec, exec, s[20:21]
	v_lshrrev_b32_e32 v14, 16, v11
	v_cmp_ne_u16_sdwa s[78:79], v14, v53 src0_sel:BYTE_0 src1_sel:DWORD
	v_mov_b32_e32 v0, 0
	s_and_saveexec_b64 s[20:21], s[78:79]
	s_cbranch_execz .LBB6_1330
; %bb.1325:                             ;   in Loop: Header=BB6_128 Depth=2
	v_cmp_ne_u16_sdwa s[88:89], v14, s53 src0_sel:BYTE_0 src1_sel:DWORD
	v_bfrev_b32_e32 v0, 1
	s_and_saveexec_b64 s[78:79], s[88:89]
	s_cbranch_execz .LBB6_1329
; %bb.1326:                             ;   in Loop: Header=BB6_128 Depth=2
	v_bfe_u32 v4, v11, 16, 7
	v_cmp_ne_u32_e32 vcc, s51, v4
	v_mov_b32_e32 v0, 0x7f800001
	s_and_saveexec_b64 s[88:89], vcc
	s_cbranch_execz .LBB6_1328
; %bb.1327:                             ;   in Loop: Header=BB6_128 Depth=2
	v_and_b32_e32 v0, 7, v14
	v_lshrrev_b32_e32 v6, 3, v4
	v_cmp_gt_u32_e32 vcc, 8, v4
	v_ffbh_u32_e32 v4, v0
	v_min_u32_e32 v4, 32, v4
	v_subrev_u32_e32 v15, 28, v4
	v_lshlrev_b64 v[15:16], v15, v[14:15]
	v_sub_u32_e32 v4, 29, v4
	v_and_b32_e32 v15, 7, v15
	v_cndmask_b32_e32 v4, v6, v4, vcc
	v_cndmask_b32_e32 v0, v0, v15, vcc
	v_lshlrev_b32_e32 v6, 24, v14
	v_bfrev_b32_e32 v1, 60
	v_lshlrev_b32_e32 v0, 20, v0
	v_and_b32_e32 v6, 0x80000000, v6
	v_lshl_add_u32 v4, v4, 23, v1
	v_or3_b32 v0, v6, v4, v0
.LBB6_1328:                             ;   in Loop: Header=BB6_128 Depth=2
	s_or_b64 exec, exec, s[88:89]
.LBB6_1329:                             ;   in Loop: Header=BB6_128 Depth=2
	s_or_b64 exec, exec, s[78:79]
.LBB6_1330:                             ;   in Loop: Header=BB6_128 Depth=2
	s_or_b64 exec, exec, s[20:21]
	v_mul_f32_e32 v4, v17, v0
	v_and_b32_e32 v52, 0x7f800000, v4
	v_cmp_ne_u64_e32 vcc, s[56:57], v[52:53]
                                        ; implicit-def: $vgpr0
                                        ; kill: killed $vgpr0
	s_and_saveexec_b64 s[20:21], vcc
	s_xor_b64 s[78:79], exec, s[20:21]
	s_cbranch_execz .LBB6_1344
; %bb.1331:                             ;   in Loop: Header=BB6_128 Depth=2
	v_and_b32_e32 v52, 0x7fffffff, v4
	v_cmp_gt_u64_e32 vcc, s[58:59], v[52:53]
	v_and_b32_sdwa v0, v4, s53 dst_sel:DWORD dst_unused:UNUSED_PAD src0_sel:BYTE_3 src1_sel:DWORD
                                        ; implicit-def: $vgpr6
                                        ; kill: killed $vgpr6
	s_and_saveexec_b64 s[20:21], vcc
	s_xor_b64 s[88:89], exec, s[20:21]
	s_cbranch_execz .LBB6_1341
; %bb.1332:                             ;   in Loop: Header=BB6_128 Depth=2
	v_mov_b32_e32 v6, 0
	v_cmp_ne_u32_e32 vcc, 0, v4
	buffer_store_dword v6, off, s[0:3], s33 offset:148 ; 4-byte Folded Spill
	s_and_saveexec_b64 s[90:91], vcc
	s_cbranch_execz .LBB6_1340
; %bb.1333:                             ;   in Loop: Header=BB6_128 Depth=2
	v_and_b32_e32 v14, 0x7fffff, v4
	v_bfe_u32 v4, v4, 23, 8
	v_cmp_gt_u32_e64 s[20:21], s54, v4
	v_sub_u32_e32 v6, 0x79, v4
	v_cmp_eq_u32_e32 vcc, 0, v4
	v_cndmask_b32_e64 v6, 0, v6, s[20:21]
	v_mov_b32_e32 v16, 0x78
	v_or_b32_e32 v15, 0x800000, v14
	v_cndmask_b32_e32 v6, v6, v16, vcc
	v_cndmask_b32_e32 v52, v15, v14, vcc
	v_add_u32_e32 v14, 20, v6
	v_lshlrev_b64 v[14:15], v14, -1
	v_add_u32_e32 v16, 19, v6
	v_lshlrev_b64 v[18:19], v16, 1
	v_bfi_b32 v15, v15, 0, 0
	v_bfi_b32 v14, v14, 0, v52
	v_cmp_eq_u64_e64 s[20:21], v[14:15], v[18:19]
	v_lshrrev_b64 v[14:15], v6, v[52:53]
	v_mov_b32_e32 v16, v15
	v_mov_b32_e32 v15, v14
	s_and_saveexec_b64 s[92:93], s[20:21]
; %bb.1334:                             ;   in Loop: Header=BB6_128 Depth=2
	v_bfe_u32 v15, v14, 20, 1
	v_add_co_u32_e64 v15, s[20:21], v14, v15
	v_add_co_u32_e64 v15, s[20:21], -1, v15
; %bb.1335:                             ;   in Loop: Header=BB6_128 Depth=2
	s_or_b64 exec, exec, s[92:93]
	v_add_u32_e32 v4, 0xffffff81, v4
	v_mov_b32_e32 v16, 0xffffff82
	v_cndmask_b32_e32 v4, v4, v16, vcc
	v_lshrrev_b32_e32 v16, 23, v14
	v_add3_u32 v16, v6, v4, v16
	v_add_u32_e32 v6, 6, v16
	v_and_b32_e32 v4, 0xfffff, v15
	v_add_u32_e32 v52, v4, v14
	v_cmp_ne_u32_e32 vcc, 0, v6
                                        ; implicit-def: $vgpr14_vgpr15
                                        ; implicit-def: $vgpr4
	s_and_saveexec_b64 s[20:21], vcc
	s_xor_b64 s[20:21], exec, s[20:21]
; %bb.1336:                             ;   in Loop: Header=BB6_128 Depth=2
	v_cmp_lt_u64_e32 vcc, s[60:61], v[52:53]
	v_add_u32_e32 v4, 7, v16
	v_cndmask_b32_e32 v4, v6, v4, vcc
	v_cndmask_b32_e64 v6, 0, 1, vcc
	v_lshrrev_b64 v[14:15], v6, v[52:53]
; %bb.1337:                             ;   in Loop: Header=BB6_128 Depth=2
	s_andn2_saveexec_b64 s[20:21], s[20:21]
; %bb.1338:                             ;   in Loop: Header=BB6_128 Depth=2
	v_mov_b32_e32 v14, v52
	v_bfe_u32 v4, v52, 23, 1
	v_mov_b32_e32 v15, v53
; %bb.1339:                             ;   in Loop: Header=BB6_128 Depth=2
	s_or_b64 exec, exec, s[20:21]
	v_lshrrev_b64 v[14:15], 20, v[14:15]
	v_cmp_gt_i32_e32 vcc, 16, v4
	v_cndmask_b32_e32 v15, 0, v15, vcc
	v_cndmask_b32_e32 v14, 7, v14, vcc
	v_cmp_eq_u32_e32 vcc, 0, v4
	v_min_i32_e32 v4, 15, v4
	v_cmp_eq_u64_e64 s[20:21], 0, v[14:15]
	v_lshlrev_b32_e32 v4, 3, v4
	v_and_b32_e32 v4, 0xf8, v4
	v_and_or_b32 v4, v14, 7, v4
	s_and_b64 s[20:21], vcc, s[20:21]
	v_cndmask_b32_e64 v4, v4, 0, s[20:21]
	v_or_b32_e32 v0, v4, v0
	buffer_store_dword v0, off, s[0:3], s33 offset:148 ; 4-byte Folded Spill
.LBB6_1340:                             ;   in Loop: Header=BB6_128 Depth=2
	s_or_b64 exec, exec, s[90:91]
                                        ; implicit-def: $vgpr0
.LBB6_1341:                             ;   in Loop: Header=BB6_128 Depth=2
	s_andn2_saveexec_b64 s[20:21], s[88:89]
	s_cbranch_execz .LBB6_1343
; %bb.1342:                             ;   in Loop: Header=BB6_128 Depth=2
	v_or_b32_e32 v0, 0x7e, v0
	buffer_store_dword v0, off, s[0:3], s33 offset:148 ; 4-byte Folded Spill
.LBB6_1343:                             ;   in Loop: Header=BB6_128 Depth=2
	s_or_b64 exec, exec, s[20:21]
                                        ; implicit-def: $vgpr4
.LBB6_1344:                             ;   in Loop: Header=BB6_128 Depth=2
	s_andn2_saveexec_b64 s[20:21], s[78:79]
	s_cbranch_execz .LBB6_1346
; %bb.1345:                             ;   in Loop: Header=BB6_128 Depth=2
	v_or_b32_sdwa v0, v4, s51 dst_sel:DWORD dst_unused:UNUSED_PAD src0_sel:BYTE_3 src1_sel:DWORD
	buffer_store_dword v0, off, s[0:3], s33 offset:148 ; 4-byte Folded Spill
.LBB6_1346:                             ;   in Loop: Header=BB6_128 Depth=2
	s_or_b64 exec, exec, s[20:21]
	v_cmp_lt_u64_e32 vcc, s[62:63], v[10:11]
	v_mov_b32_e32 v0, 0
	s_and_saveexec_b64 s[20:21], vcc
	s_cbranch_execz .LBB6_1352
; %bb.1347:                             ;   in Loop: Header=BB6_128 Depth=2
	v_lshrrev_b32_e32 v10, 24, v11
	v_cmp_ne_u32_e32 vcc, s53, v10
	v_bfrev_b32_e32 v0, 1
	s_and_saveexec_b64 s[78:79], vcc
	s_cbranch_execz .LBB6_1351
; %bb.1348:                             ;   in Loop: Header=BB6_128 Depth=2
	v_bfe_u32 v4, v11, 24, 7
	v_cmp_ne_u32_e32 vcc, s51, v4
	v_mov_b32_e32 v0, 0x7f800001
	s_and_saveexec_b64 s[88:89], vcc
	s_cbranch_execz .LBB6_1350
; %bb.1349:                             ;   in Loop: Header=BB6_128 Depth=2
	v_and_b32_e32 v0, 7, v10
	v_lshrrev_b32_e32 v6, 3, v4
	v_cmp_gt_u32_e32 vcc, 8, v4
	v_ffbh_u32_e32 v4, v0
	v_min_u32_e32 v4, 32, v4
	v_subrev_u32_e32 v11, 28, v4
	v_lshlrev_b64 v[14:15], v11, v[10:11]
	v_sub_u32_e32 v4, 29, v4
	v_and_b32_e32 v11, 7, v14
	v_cndmask_b32_e32 v4, v6, v4, vcc
	v_cndmask_b32_e32 v0, v0, v11, vcc
	v_lshlrev_b32_e32 v6, 24, v10
	v_bfrev_b32_e32 v1, 60
	v_lshlrev_b32_e32 v0, 20, v0
	v_and_b32_e32 v6, 0x80000000, v6
	v_lshl_add_u32 v4, v4, 23, v1
	v_or3_b32 v0, v6, v4, v0
.LBB6_1350:                             ;   in Loop: Header=BB6_128 Depth=2
	s_or_b64 exec, exec, s[88:89]
.LBB6_1351:                             ;   in Loop: Header=BB6_128 Depth=2
	s_or_b64 exec, exec, s[78:79]
.LBB6_1352:                             ;   in Loop: Header=BB6_128 Depth=2
	s_or_b64 exec, exec, s[20:21]
	v_mul_f32_e32 v4, v17, v0
	v_and_b32_e32 v52, 0x7f800000, v4
	v_cmp_ne_u64_e32 vcc, s[56:57], v[52:53]
                                        ; implicit-def: $vgpr0
                                        ; kill: killed $vgpr0
	s_and_saveexec_b64 s[20:21], vcc
	s_xor_b64 s[78:79], exec, s[20:21]
	s_cbranch_execz .LBB6_1366
; %bb.1353:                             ;   in Loop: Header=BB6_128 Depth=2
	v_and_b32_e32 v52, 0x7fffffff, v4
	v_cmp_gt_u64_e32 vcc, s[58:59], v[52:53]
	v_and_b32_sdwa v0, v4, s53 dst_sel:DWORD dst_unused:UNUSED_PAD src0_sel:BYTE_3 src1_sel:DWORD
                                        ; implicit-def: $vgpr6
                                        ; kill: killed $vgpr6
	s_and_saveexec_b64 s[20:21], vcc
	s_xor_b64 s[88:89], exec, s[20:21]
	s_cbranch_execz .LBB6_1363
; %bb.1354:                             ;   in Loop: Header=BB6_128 Depth=2
	v_mov_b32_e32 v6, 0
	v_cmp_ne_u32_e32 vcc, 0, v4
	buffer_store_dword v6, off, s[0:3], s33 offset:180 ; 4-byte Folded Spill
	s_and_saveexec_b64 s[90:91], vcc
	s_cbranch_execz .LBB6_1362
; %bb.1355:                             ;   in Loop: Header=BB6_128 Depth=2
	v_and_b32_e32 v10, 0x7fffff, v4
	v_bfe_u32 v4, v4, 23, 8
	v_cmp_gt_u32_e64 s[20:21], s54, v4
	v_sub_u32_e32 v6, 0x79, v4
	v_cmp_eq_u32_e32 vcc, 0, v4
	v_cndmask_b32_e64 v6, 0, v6, s[20:21]
	v_mov_b32_e32 v14, 0x78
	v_or_b32_e32 v11, 0x800000, v10
	v_cndmask_b32_e32 v6, v6, v14, vcc
	v_cndmask_b32_e32 v52, v11, v10, vcc
	v_add_u32_e32 v10, 20, v6
	v_lshlrev_b64 v[10:11], v10, -1
	v_add_u32_e32 v14, 19, v6
	v_lshlrev_b64 v[14:15], v14, 1
	v_bfi_b32 v11, v11, 0, 0
	v_bfi_b32 v10, v10, 0, v52
	v_cmp_eq_u64_e64 s[20:21], v[10:11], v[14:15]
	v_lshrrev_b64 v[10:11], v6, v[52:53]
	v_mov_b32_e32 v15, v11
	v_mov_b32_e32 v14, v10
	s_and_saveexec_b64 s[92:93], s[20:21]
; %bb.1356:                             ;   in Loop: Header=BB6_128 Depth=2
	v_bfe_u32 v11, v10, 20, 1
	v_add_co_u32_e64 v11, s[20:21], v10, v11
	v_add_co_u32_e64 v14, s[20:21], -1, v11
; %bb.1357:                             ;   in Loop: Header=BB6_128 Depth=2
	s_or_b64 exec, exec, s[92:93]
	v_add_u32_e32 v4, 0xffffff81, v4
	v_mov_b32_e32 v11, 0xffffff82
	v_cndmask_b32_e32 v4, v4, v11, vcc
	v_lshrrev_b32_e32 v11, 23, v10
	v_add3_u32 v15, v6, v4, v11
	v_add_u32_e32 v6, 6, v15
	v_and_b32_e32 v4, 0xfffff, v14
	v_add_u32_e32 v52, v4, v10
	v_cmp_ne_u32_e32 vcc, 0, v6
                                        ; implicit-def: $vgpr10_vgpr11
                                        ; implicit-def: $vgpr4
	s_and_saveexec_b64 s[20:21], vcc
	s_xor_b64 s[20:21], exec, s[20:21]
; %bb.1358:                             ;   in Loop: Header=BB6_128 Depth=2
	v_cmp_lt_u64_e32 vcc, s[60:61], v[52:53]
	v_add_u32_e32 v4, 7, v15
	v_cndmask_b32_e32 v4, v6, v4, vcc
	v_cndmask_b32_e64 v6, 0, 1, vcc
	v_lshrrev_b64 v[10:11], v6, v[52:53]
; %bb.1359:                             ;   in Loop: Header=BB6_128 Depth=2
	s_andn2_saveexec_b64 s[20:21], s[20:21]
; %bb.1360:                             ;   in Loop: Header=BB6_128 Depth=2
	v_mov_b32_e32 v10, v52
	v_bfe_u32 v4, v52, 23, 1
	v_mov_b32_e32 v11, v53
; %bb.1361:                             ;   in Loop: Header=BB6_128 Depth=2
	s_or_b64 exec, exec, s[20:21]
	v_lshrrev_b64 v[10:11], 20, v[10:11]
	v_cmp_gt_i32_e32 vcc, 16, v4
	v_cndmask_b32_e32 v11, 0, v11, vcc
	v_cndmask_b32_e32 v10, 7, v10, vcc
	v_cmp_eq_u32_e32 vcc, 0, v4
	v_min_i32_e32 v4, 15, v4
	v_cmp_eq_u64_e64 s[20:21], 0, v[10:11]
	v_lshlrev_b32_e32 v4, 3, v4
	v_and_b32_e32 v4, 0xf8, v4
	v_and_or_b32 v4, v10, 7, v4
	s_and_b64 s[20:21], vcc, s[20:21]
	v_cndmask_b32_e64 v4, v4, 0, s[20:21]
	v_or_b32_e32 v0, v4, v0
	buffer_store_dword v0, off, s[0:3], s33 offset:180 ; 4-byte Folded Spill
.LBB6_1362:                             ;   in Loop: Header=BB6_128 Depth=2
	s_or_b64 exec, exec, s[90:91]
                                        ; implicit-def: $vgpr0
.LBB6_1363:                             ;   in Loop: Header=BB6_128 Depth=2
	s_andn2_saveexec_b64 s[20:21], s[88:89]
	s_cbranch_execz .LBB6_1365
; %bb.1364:                             ;   in Loop: Header=BB6_128 Depth=2
	v_or_b32_e32 v0, 0x7e, v0
	buffer_store_dword v0, off, s[0:3], s33 offset:180 ; 4-byte Folded Spill
.LBB6_1365:                             ;   in Loop: Header=BB6_128 Depth=2
	s_or_b64 exec, exec, s[20:21]
                                        ; implicit-def: $vgpr4
.LBB6_1366:                             ;   in Loop: Header=BB6_128 Depth=2
	s_andn2_saveexec_b64 s[20:21], s[78:79]
	s_cbranch_execz .LBB6_1368
; %bb.1367:                             ;   in Loop: Header=BB6_128 Depth=2
	v_or_b32_sdwa v0, v4, s51 dst_sel:DWORD dst_unused:UNUSED_PAD src0_sel:BYTE_3 src1_sel:DWORD
	buffer_store_dword v0, off, s[0:3], s33 offset:180 ; 4-byte Folded Spill
.LBB6_1368:                             ;   in Loop: Header=BB6_128 Depth=2
	s_or_b64 exec, exec, s[20:21]
	v_cmp_ne_u16_sdwa s[78:79], v12, v53 src0_sel:BYTE_0 src1_sel:DWORD
	v_mov_b32_e32 v0, 0
	s_and_saveexec_b64 s[20:21], s[78:79]
	s_cbranch_execz .LBB6_1374
; %bb.1369:                             ;   in Loop: Header=BB6_128 Depth=2
	v_cmp_ne_u16_sdwa s[88:89], v12, s53 src0_sel:BYTE_0 src1_sel:DWORD
	v_bfrev_b32_e32 v0, 1
	s_and_saveexec_b64 s[78:79], s[88:89]
	s_cbranch_execz .LBB6_1373
; %bb.1370:                             ;   in Loop: Header=BB6_128 Depth=2
	v_and_b32_e32 v4, 0x7f, v12
	v_cmp_ne_u32_e32 vcc, s51, v4
	v_mov_b32_e32 v0, 0x7f800001
	s_and_saveexec_b64 s[88:89], vcc
	s_cbranch_execz .LBB6_1372
; %bb.1371:                             ;   in Loop: Header=BB6_128 Depth=2
	v_and_b32_e32 v0, 7, v12
	v_ffbh_u32_e32 v0, v0
	v_min_u32_e32 v0, 32, v0
	v_lshrrev_b32_e32 v6, 3, v4
	v_cmp_gt_u32_e32 vcc, 8, v4
	v_subrev_u32_e32 v4, 28, v0
	v_cndmask_b32_e32 v4, 0, v4, vcc
	v_lshlrev_b64 v[10:11], v4, v[12:13]
	v_sub_u32_e32 v0, 29, v0
	v_cndmask_b32_e32 v0, v6, v0, vcc
	v_lshlrev_b32_e32 v4, 20, v10
	v_lshlrev_b32_e32 v6, 24, v12
	v_bfrev_b32_e32 v1, 60
	v_and_b32_e32 v4, 0x700000, v4
	v_and_b32_e32 v6, 0x80000000, v6
	v_lshl_add_u32 v0, v0, 23, v1
	v_or3_b32 v0, v6, v0, v4
.LBB6_1372:                             ;   in Loop: Header=BB6_128 Depth=2
	s_or_b64 exec, exec, s[88:89]
.LBB6_1373:                             ;   in Loop: Header=BB6_128 Depth=2
	s_or_b64 exec, exec, s[78:79]
.LBB6_1374:                             ;   in Loop: Header=BB6_128 Depth=2
	s_or_b64 exec, exec, s[20:21]
	v_mul_f32_e32 v4, v17, v0
	v_and_b32_e32 v52, 0x7f800000, v4
	v_cmp_ne_u64_e32 vcc, s[56:57], v[52:53]
                                        ; implicit-def: $vgpr6
	s_and_saveexec_b64 s[20:21], vcc
	s_xor_b64 s[78:79], exec, s[20:21]
	s_cbranch_execz .LBB6_1388
; %bb.1375:                             ;   in Loop: Header=BB6_128 Depth=2
	v_and_b32_e32 v52, 0x7fffffff, v4
	v_cmp_gt_u64_e32 vcc, s[58:59], v[52:53]
	v_and_b32_sdwa v0, v4, s53 dst_sel:DWORD dst_unused:UNUSED_PAD src0_sel:BYTE_3 src1_sel:DWORD
                                        ; implicit-def: $vgpr6
	s_and_saveexec_b64 s[20:21], vcc
	s_xor_b64 s[88:89], exec, s[20:21]
	s_cbranch_execz .LBB6_1385
; %bb.1376:                             ;   in Loop: Header=BB6_128 Depth=2
	v_mov_b32_e32 v6, 0
	v_cmp_ne_u32_e32 vcc, 0, v4
	s_and_saveexec_b64 s[90:91], vcc
	s_cbranch_execz .LBB6_1384
; %bb.1377:                             ;   in Loop: Header=BB6_128 Depth=2
	v_and_b32_e32 v10, 0x7fffff, v4
	v_bfe_u32 v4, v4, 23, 8
	v_cmp_gt_u32_e64 s[20:21], s54, v4
	v_sub_u32_e32 v6, 0x79, v4
	v_cmp_eq_u32_e32 vcc, 0, v4
	v_cndmask_b32_e64 v6, 0, v6, s[20:21]
	v_mov_b32_e32 v14, 0x78
	v_or_b32_e32 v11, 0x800000, v10
	v_cndmask_b32_e32 v6, v6, v14, vcc
	v_cndmask_b32_e32 v52, v11, v10, vcc
	v_add_u32_e32 v10, 20, v6
	v_lshlrev_b64 v[10:11], v10, -1
	v_add_u32_e32 v14, 19, v6
	v_lshlrev_b64 v[14:15], v14, 1
	v_bfi_b32 v11, v11, 0, 0
	v_bfi_b32 v10, v10, 0, v52
	v_cmp_eq_u64_e64 s[20:21], v[10:11], v[14:15]
	v_lshrrev_b64 v[10:11], v6, v[52:53]
	v_mov_b32_e32 v15, v11
	v_mov_b32_e32 v14, v10
	s_and_saveexec_b64 s[92:93], s[20:21]
; %bb.1378:                             ;   in Loop: Header=BB6_128 Depth=2
	v_bfe_u32 v11, v10, 20, 1
	v_add_co_u32_e64 v11, s[20:21], v10, v11
	v_add_co_u32_e64 v14, s[20:21], -1, v11
; %bb.1379:                             ;   in Loop: Header=BB6_128 Depth=2
	s_or_b64 exec, exec, s[92:93]
	v_add_u32_e32 v4, 0xffffff81, v4
	v_mov_b32_e32 v11, 0xffffff82
	v_cndmask_b32_e32 v4, v4, v11, vcc
	v_lshrrev_b32_e32 v11, 23, v10
	v_add3_u32 v15, v6, v4, v11
	v_add_u32_e32 v6, 6, v15
	v_and_b32_e32 v4, 0xfffff, v14
	v_add_u32_e32 v52, v4, v10
	v_cmp_ne_u32_e32 vcc, 0, v6
                                        ; implicit-def: $vgpr10_vgpr11
                                        ; implicit-def: $vgpr4
	s_and_saveexec_b64 s[20:21], vcc
	s_xor_b64 s[20:21], exec, s[20:21]
; %bb.1380:                             ;   in Loop: Header=BB6_128 Depth=2
	v_cmp_lt_u64_e32 vcc, s[60:61], v[52:53]
	v_add_u32_e32 v4, 7, v15
	v_cndmask_b32_e32 v4, v6, v4, vcc
	v_cndmask_b32_e64 v6, 0, 1, vcc
	v_lshrrev_b64 v[10:11], v6, v[52:53]
; %bb.1381:                             ;   in Loop: Header=BB6_128 Depth=2
	s_andn2_saveexec_b64 s[20:21], s[20:21]
; %bb.1382:                             ;   in Loop: Header=BB6_128 Depth=2
	v_mov_b32_e32 v10, v52
	v_bfe_u32 v4, v52, 23, 1
	v_mov_b32_e32 v11, v53
; %bb.1383:                             ;   in Loop: Header=BB6_128 Depth=2
	s_or_b64 exec, exec, s[20:21]
	v_lshrrev_b64 v[10:11], 20, v[10:11]
	v_cmp_gt_i32_e32 vcc, 16, v4
	v_cndmask_b32_e32 v11, 0, v11, vcc
	v_cndmask_b32_e32 v10, 7, v10, vcc
	v_cmp_eq_u32_e32 vcc, 0, v4
	v_min_i32_e32 v4, 15, v4
	v_cmp_eq_u64_e64 s[20:21], 0, v[10:11]
	v_lshlrev_b32_e32 v4, 3, v4
	v_and_b32_e32 v4, 0xf8, v4
	v_and_or_b32 v4, v10, 7, v4
	s_and_b64 s[20:21], vcc, s[20:21]
	v_cndmask_b32_e64 v4, v4, 0, s[20:21]
	v_or_b32_e32 v6, v4, v0
.LBB6_1384:                             ;   in Loop: Header=BB6_128 Depth=2
	s_or_b64 exec, exec, s[90:91]
                                        ; implicit-def: $vgpr0
.LBB6_1385:                             ;   in Loop: Header=BB6_128 Depth=2
	s_andn2_saveexec_b64 s[20:21], s[88:89]
; %bb.1386:                             ;   in Loop: Header=BB6_128 Depth=2
	v_or_b32_e32 v6, 0x7e, v0
; %bb.1387:                             ;   in Loop: Header=BB6_128 Depth=2
	s_or_b64 exec, exec, s[20:21]
                                        ; implicit-def: $vgpr4
.LBB6_1388:                             ;   in Loop: Header=BB6_128 Depth=2
	s_andn2_saveexec_b64 s[20:21], s[78:79]
; %bb.1389:                             ;   in Loop: Header=BB6_128 Depth=2
	v_or_b32_sdwa v6, v4, s51 dst_sel:DWORD dst_unused:UNUSED_PAD src0_sel:BYTE_3 src1_sel:DWORD
; %bb.1390:                             ;   in Loop: Header=BB6_128 Depth=2
	s_or_b64 exec, exec, s[20:21]
	v_lshrrev_b16_e32 v10, 8, v12
	v_cmp_ne_u16_e32 vcc, 0, v10
	v_mov_b32_e32 v0, 0
	s_and_saveexec_b64 s[20:21], vcc
	s_cbranch_execz .LBB6_1396
; %bb.1391:                             ;   in Loop: Header=BB6_128 Depth=2
	v_cmp_ne_u16_e32 vcc, s53, v10
	v_bfrev_b32_e32 v0, 1
	s_and_saveexec_b64 s[78:79], vcc
	s_cbranch_execz .LBB6_1395
; %bb.1392:                             ;   in Loop: Header=BB6_128 Depth=2
	v_and_b32_e32 v4, 0x7f, v10
	v_cmp_ne_u32_e32 vcc, s51, v4
	v_mov_b32_e32 v0, 0x7f800001
	s_and_saveexec_b64 s[88:89], vcc
	s_cbranch_execz .LBB6_1394
; %bb.1393:                             ;   in Loop: Header=BB6_128 Depth=2
	v_and_b32_e32 v0, 7, v10
	v_lshrrev_b32_e32 v14, 3, v4
	v_cmp_gt_u32_e32 vcc, 8, v4
	v_ffbh_u32_e32 v4, v0
	v_min_u32_e32 v4, 32, v4
	v_subrev_u32_e32 v11, 28, v4
	v_lshlrev_b64 v[10:11], v11, v[10:11]
	v_sub_u32_e32 v4, 29, v4
	v_and_b32_e32 v10, 7, v10
	v_cndmask_b32_e32 v4, v14, v4, vcc
	v_cndmask_b32_e32 v0, v0, v10, vcc
	v_lshlrev_b32_e32 v10, 16, v12
	v_bfrev_b32_e32 v1, 60
	v_lshlrev_b32_e32 v0, 20, v0
	v_and_b32_e32 v10, 0x80000000, v10
	v_lshl_add_u32 v4, v4, 23, v1
	v_or3_b32 v0, v10, v4, v0
.LBB6_1394:                             ;   in Loop: Header=BB6_128 Depth=2
	s_or_b64 exec, exec, s[88:89]
.LBB6_1395:                             ;   in Loop: Header=BB6_128 Depth=2
	s_or_b64 exec, exec, s[78:79]
.LBB6_1396:                             ;   in Loop: Header=BB6_128 Depth=2
	s_or_b64 exec, exec, s[20:21]
	v_mul_f32_e32 v4, v17, v0
	v_and_b32_e32 v52, 0x7f800000, v4
	v_cmp_ne_u64_e32 vcc, s[56:57], v[52:53]
                                        ; implicit-def: $vgpr0
                                        ; kill: killed $vgpr0
	s_and_saveexec_b64 s[20:21], vcc
	s_xor_b64 s[78:79], exec, s[20:21]
	s_cbranch_execz .LBB6_1410
; %bb.1397:                             ;   in Loop: Header=BB6_128 Depth=2
	v_and_b32_e32 v52, 0x7fffffff, v4
	v_cmp_gt_u64_e32 vcc, s[58:59], v[52:53]
	v_and_b32_sdwa v0, v4, s53 dst_sel:DWORD dst_unused:UNUSED_PAD src0_sel:BYTE_3 src1_sel:DWORD
                                        ; implicit-def: $vgpr10
                                        ; kill: killed $vgpr10
	s_and_saveexec_b64 s[20:21], vcc
	s_xor_b64 s[88:89], exec, s[20:21]
	s_cbranch_execz .LBB6_1407
; %bb.1398:                             ;   in Loop: Header=BB6_128 Depth=2
	v_mov_b32_e32 v10, 0
	v_cmp_ne_u32_e32 vcc, 0, v4
	buffer_store_dword v10, off, s[0:3], s33 offset:120 ; 4-byte Folded Spill
	s_and_saveexec_b64 s[90:91], vcc
	s_cbranch_execz .LBB6_1406
; %bb.1399:                             ;   in Loop: Header=BB6_128 Depth=2
	v_and_b32_e32 v10, 0x7fffff, v4
	v_bfe_u32 v4, v4, 23, 8
	v_cmp_gt_u32_e64 s[20:21], s54, v4
	v_sub_u32_e32 v11, 0x79, v4
	v_cmp_eq_u32_e32 vcc, 0, v4
	v_cndmask_b32_e64 v11, 0, v11, s[20:21]
	v_mov_b32_e32 v15, 0x78
	v_or_b32_e32 v14, 0x800000, v10
	v_cndmask_b32_e32 v16, v11, v15, vcc
	v_cndmask_b32_e32 v52, v14, v10, vcc
	v_add_u32_e32 v10, 20, v16
	v_lshlrev_b64 v[10:11], v10, -1
	v_add_u32_e32 v14, 19, v16
	v_lshlrev_b64 v[14:15], v14, 1
	v_bfi_b32 v11, v11, 0, 0
	v_bfi_b32 v10, v10, 0, v52
	v_cmp_eq_u64_e64 s[20:21], v[10:11], v[14:15]
	v_lshrrev_b64 v[10:11], v16, v[52:53]
	v_mov_b32_e32 v15, v11
	v_mov_b32_e32 v14, v10
	s_and_saveexec_b64 s[92:93], s[20:21]
; %bb.1400:                             ;   in Loop: Header=BB6_128 Depth=2
	v_bfe_u32 v11, v10, 20, 1
	v_add_co_u32_e64 v11, s[20:21], v10, v11
	v_add_co_u32_e64 v14, s[20:21], -1, v11
; %bb.1401:                             ;   in Loop: Header=BB6_128 Depth=2
	s_or_b64 exec, exec, s[92:93]
	v_add_u32_e32 v4, 0xffffff81, v4
	v_mov_b32_e32 v11, 0xffffff82
	v_cndmask_b32_e32 v4, v4, v11, vcc
	v_lshrrev_b32_e32 v11, 23, v10
	v_add3_u32 v16, v16, v4, v11
	v_add_u32_e32 v15, 6, v16
	v_and_b32_e32 v4, 0xfffff, v14
	v_add_u32_e32 v52, v4, v10
	v_cmp_ne_u32_e32 vcc, 0, v15
                                        ; implicit-def: $vgpr10_vgpr11
                                        ; implicit-def: $vgpr4
	s_and_saveexec_b64 s[20:21], vcc
	s_xor_b64 s[20:21], exec, s[20:21]
; %bb.1402:                             ;   in Loop: Header=BB6_128 Depth=2
	v_cmp_lt_u64_e32 vcc, s[60:61], v[52:53]
	v_add_u32_e32 v4, 7, v16
	v_cndmask_b32_e64 v10, 0, 1, vcc
	v_lshrrev_b64 v[10:11], v10, v[52:53]
	v_cndmask_b32_e32 v4, v15, v4, vcc
; %bb.1403:                             ;   in Loop: Header=BB6_128 Depth=2
	s_andn2_saveexec_b64 s[20:21], s[20:21]
; %bb.1404:                             ;   in Loop: Header=BB6_128 Depth=2
	v_mov_b32_e32 v10, v52
	v_bfe_u32 v4, v52, 23, 1
	v_mov_b32_e32 v11, v53
; %bb.1405:                             ;   in Loop: Header=BB6_128 Depth=2
	s_or_b64 exec, exec, s[20:21]
	v_lshrrev_b64 v[10:11], 20, v[10:11]
	v_cmp_gt_i32_e32 vcc, 16, v4
	v_cndmask_b32_e32 v11, 0, v11, vcc
	v_cndmask_b32_e32 v10, 7, v10, vcc
	v_cmp_eq_u32_e32 vcc, 0, v4
	v_min_i32_e32 v4, 15, v4
	v_cmp_eq_u64_e64 s[20:21], 0, v[10:11]
	v_lshlrev_b32_e32 v4, 3, v4
	v_and_b32_e32 v4, 0xf8, v4
	v_and_or_b32 v4, v10, 7, v4
	s_and_b64 s[20:21], vcc, s[20:21]
	v_cndmask_b32_e64 v4, v4, 0, s[20:21]
	v_or_b32_e32 v0, v4, v0
	buffer_store_dword v0, off, s[0:3], s33 offset:120 ; 4-byte Folded Spill
.LBB6_1406:                             ;   in Loop: Header=BB6_128 Depth=2
	s_or_b64 exec, exec, s[90:91]
                                        ; implicit-def: $vgpr0
.LBB6_1407:                             ;   in Loop: Header=BB6_128 Depth=2
	s_andn2_saveexec_b64 s[20:21], s[88:89]
	s_cbranch_execz .LBB6_1409
; %bb.1408:                             ;   in Loop: Header=BB6_128 Depth=2
	v_or_b32_e32 v0, 0x7e, v0
	buffer_store_dword v0, off, s[0:3], s33 offset:120 ; 4-byte Folded Spill
.LBB6_1409:                             ;   in Loop: Header=BB6_128 Depth=2
	s_or_b64 exec, exec, s[20:21]
                                        ; implicit-def: $vgpr4
.LBB6_1410:                             ;   in Loop: Header=BB6_128 Depth=2
	s_andn2_saveexec_b64 s[20:21], s[78:79]
	s_cbranch_execz .LBB6_1412
; %bb.1411:                             ;   in Loop: Header=BB6_128 Depth=2
	v_or_b32_sdwa v0, v4, s51 dst_sel:DWORD dst_unused:UNUSED_PAD src0_sel:BYTE_3 src1_sel:DWORD
	buffer_store_dword v0, off, s[0:3], s33 offset:120 ; 4-byte Folded Spill
.LBB6_1412:                             ;   in Loop: Header=BB6_128 Depth=2
	s_or_b64 exec, exec, s[20:21]
	v_lshrrev_b32_e32 v10, 16, v12
	v_cmp_ne_u16_sdwa s[78:79], v10, v53 src0_sel:BYTE_0 src1_sel:DWORD
	v_mov_b32_e32 v0, 0
	s_and_saveexec_b64 s[20:21], s[78:79]
	s_cbranch_execz .LBB6_1418
; %bb.1413:                             ;   in Loop: Header=BB6_128 Depth=2
	v_cmp_ne_u16_sdwa s[88:89], v10, s53 src0_sel:BYTE_0 src1_sel:DWORD
	v_bfrev_b32_e32 v0, 1
	s_and_saveexec_b64 s[78:79], s[88:89]
	s_cbranch_execz .LBB6_1417
; %bb.1414:                             ;   in Loop: Header=BB6_128 Depth=2
	v_bfe_u32 v4, v12, 16, 7
	v_cmp_ne_u32_e32 vcc, s51, v4
	v_mov_b32_e32 v0, 0x7f800001
	s_and_saveexec_b64 s[88:89], vcc
	s_cbranch_execz .LBB6_1416
; %bb.1415:                             ;   in Loop: Header=BB6_128 Depth=2
	v_and_b32_e32 v0, 7, v10
	v_lshrrev_b32_e32 v11, 3, v4
	v_cmp_gt_u32_e32 vcc, 8, v4
	v_ffbh_u32_e32 v4, v0
	v_min_u32_e32 v4, 32, v4
	v_subrev_u32_e32 v14, 28, v4
	v_lshlrev_b64 v[14:15], v14, v[10:11]
	v_sub_u32_e32 v4, 29, v4
	v_and_b32_e32 v14, 7, v14
	v_cndmask_b32_e32 v4, v11, v4, vcc
	v_cndmask_b32_e32 v0, v0, v14, vcc
	v_lshlrev_b32_e32 v10, 24, v10
	v_bfrev_b32_e32 v1, 60
	v_lshlrev_b32_e32 v0, 20, v0
	v_and_b32_e32 v10, 0x80000000, v10
	v_lshl_add_u32 v4, v4, 23, v1
	v_or3_b32 v0, v10, v4, v0
.LBB6_1416:                             ;   in Loop: Header=BB6_128 Depth=2
	s_or_b64 exec, exec, s[88:89]
.LBB6_1417:                             ;   in Loop: Header=BB6_128 Depth=2
	s_or_b64 exec, exec, s[78:79]
.LBB6_1418:                             ;   in Loop: Header=BB6_128 Depth=2
	s_or_b64 exec, exec, s[20:21]
	v_mul_f32_e32 v4, v17, v0
	v_and_b32_e32 v52, 0x7f800000, v4
	v_cmp_ne_u64_e32 vcc, s[56:57], v[52:53]
                                        ; implicit-def: $vgpr0
                                        ; kill: killed $vgpr0
	s_and_saveexec_b64 s[20:21], vcc
	s_xor_b64 s[78:79], exec, s[20:21]
	s_cbranch_execz .LBB6_1432
; %bb.1419:                             ;   in Loop: Header=BB6_128 Depth=2
	v_and_b32_e32 v52, 0x7fffffff, v4
	v_cmp_gt_u64_e32 vcc, s[58:59], v[52:53]
	v_and_b32_sdwa v0, v4, s53 dst_sel:DWORD dst_unused:UNUSED_PAD src0_sel:BYTE_3 src1_sel:DWORD
                                        ; implicit-def: $vgpr10
                                        ; kill: killed $vgpr10
	s_and_saveexec_b64 s[20:21], vcc
	s_xor_b64 s[88:89], exec, s[20:21]
	s_cbranch_execz .LBB6_1429
; %bb.1420:                             ;   in Loop: Header=BB6_128 Depth=2
	v_mov_b32_e32 v10, 0
	v_cmp_ne_u32_e32 vcc, 0, v4
	buffer_store_dword v10, off, s[0:3], s33 offset:136 ; 4-byte Folded Spill
	s_and_saveexec_b64 s[90:91], vcc
	s_cbranch_execz .LBB6_1428
; %bb.1421:                             ;   in Loop: Header=BB6_128 Depth=2
	v_and_b32_e32 v10, 0x7fffff, v4
	v_bfe_u32 v4, v4, 23, 8
	v_cmp_gt_u32_e64 s[20:21], s54, v4
	v_sub_u32_e32 v11, 0x79, v4
	v_cmp_eq_u32_e32 vcc, 0, v4
	v_cndmask_b32_e64 v11, 0, v11, s[20:21]
	v_mov_b32_e32 v15, 0x78
	v_or_b32_e32 v14, 0x800000, v10
	v_cndmask_b32_e32 v16, v11, v15, vcc
	v_cndmask_b32_e32 v52, v14, v10, vcc
	v_add_u32_e32 v10, 20, v16
	v_lshlrev_b64 v[10:11], v10, -1
	v_add_u32_e32 v14, 19, v16
	v_lshlrev_b64 v[14:15], v14, 1
	v_bfi_b32 v11, v11, 0, 0
	v_bfi_b32 v10, v10, 0, v52
	v_cmp_eq_u64_e64 s[20:21], v[10:11], v[14:15]
	v_lshrrev_b64 v[10:11], v16, v[52:53]
	v_mov_b32_e32 v15, v11
	v_mov_b32_e32 v14, v10
	s_and_saveexec_b64 s[92:93], s[20:21]
; %bb.1422:                             ;   in Loop: Header=BB6_128 Depth=2
	v_bfe_u32 v11, v10, 20, 1
	v_add_co_u32_e64 v11, s[20:21], v10, v11
	v_add_co_u32_e64 v14, s[20:21], -1, v11
; %bb.1423:                             ;   in Loop: Header=BB6_128 Depth=2
	s_or_b64 exec, exec, s[92:93]
	v_add_u32_e32 v4, 0xffffff81, v4
	v_mov_b32_e32 v11, 0xffffff82
	v_cndmask_b32_e32 v4, v4, v11, vcc
	v_lshrrev_b32_e32 v11, 23, v10
	v_add3_u32 v16, v16, v4, v11
	v_add_u32_e32 v15, 6, v16
	v_and_b32_e32 v4, 0xfffff, v14
	v_add_u32_e32 v52, v4, v10
	v_cmp_ne_u32_e32 vcc, 0, v15
                                        ; implicit-def: $vgpr10_vgpr11
                                        ; implicit-def: $vgpr4
	s_and_saveexec_b64 s[20:21], vcc
	s_xor_b64 s[20:21], exec, s[20:21]
; %bb.1424:                             ;   in Loop: Header=BB6_128 Depth=2
	v_cmp_lt_u64_e32 vcc, s[60:61], v[52:53]
	v_add_u32_e32 v4, 7, v16
	v_cndmask_b32_e64 v10, 0, 1, vcc
	v_lshrrev_b64 v[10:11], v10, v[52:53]
	v_cndmask_b32_e32 v4, v15, v4, vcc
; %bb.1425:                             ;   in Loop: Header=BB6_128 Depth=2
	s_andn2_saveexec_b64 s[20:21], s[20:21]
; %bb.1426:                             ;   in Loop: Header=BB6_128 Depth=2
	v_mov_b32_e32 v10, v52
	v_bfe_u32 v4, v52, 23, 1
	v_mov_b32_e32 v11, v53
; %bb.1427:                             ;   in Loop: Header=BB6_128 Depth=2
	s_or_b64 exec, exec, s[20:21]
	v_lshrrev_b64 v[10:11], 20, v[10:11]
	v_cmp_gt_i32_e32 vcc, 16, v4
	v_cndmask_b32_e32 v11, 0, v11, vcc
	v_cndmask_b32_e32 v10, 7, v10, vcc
	v_cmp_eq_u32_e32 vcc, 0, v4
	v_min_i32_e32 v4, 15, v4
	v_cmp_eq_u64_e64 s[20:21], 0, v[10:11]
	v_lshlrev_b32_e32 v4, 3, v4
	v_and_b32_e32 v4, 0xf8, v4
	v_and_or_b32 v4, v10, 7, v4
	s_and_b64 s[20:21], vcc, s[20:21]
	v_cndmask_b32_e64 v4, v4, 0, s[20:21]
	v_or_b32_e32 v0, v4, v0
	buffer_store_dword v0, off, s[0:3], s33 offset:136 ; 4-byte Folded Spill
.LBB6_1428:                             ;   in Loop: Header=BB6_128 Depth=2
	s_or_b64 exec, exec, s[90:91]
                                        ; implicit-def: $vgpr0
.LBB6_1429:                             ;   in Loop: Header=BB6_128 Depth=2
	s_andn2_saveexec_b64 s[20:21], s[88:89]
	s_cbranch_execz .LBB6_1431
; %bb.1430:                             ;   in Loop: Header=BB6_128 Depth=2
	v_or_b32_e32 v0, 0x7e, v0
	buffer_store_dword v0, off, s[0:3], s33 offset:136 ; 4-byte Folded Spill
.LBB6_1431:                             ;   in Loop: Header=BB6_128 Depth=2
	s_or_b64 exec, exec, s[20:21]
                                        ; implicit-def: $vgpr4
.LBB6_1432:                             ;   in Loop: Header=BB6_128 Depth=2
	s_andn2_saveexec_b64 s[20:21], s[78:79]
	s_cbranch_execz .LBB6_1434
; %bb.1433:                             ;   in Loop: Header=BB6_128 Depth=2
	v_or_b32_sdwa v0, v4, s51 dst_sel:DWORD dst_unused:UNUSED_PAD src0_sel:BYTE_3 src1_sel:DWORD
	buffer_store_dword v0, off, s[0:3], s33 offset:136 ; 4-byte Folded Spill
.LBB6_1434:                             ;   in Loop: Header=BB6_128 Depth=2
	s_or_b64 exec, exec, s[20:21]
	v_cmp_lt_u32_e32 vcc, s63, v12
	v_mov_b32_e32 v0, 0
	s_and_saveexec_b64 s[20:21], vcc
	s_cbranch_execz .LBB6_1440
; %bb.1435:                             ;   in Loop: Header=BB6_128 Depth=2
	v_lshrrev_b32_e32 v10, 24, v12
	v_cmp_ne_u32_e32 vcc, s53, v10
	v_bfrev_b32_e32 v0, 1
	s_and_saveexec_b64 s[78:79], vcc
	s_cbranch_execz .LBB6_1439
; %bb.1436:                             ;   in Loop: Header=BB6_128 Depth=2
	v_bfe_u32 v4, v12, 24, 7
	v_cmp_ne_u32_e32 vcc, s51, v4
	v_mov_b32_e32 v0, 0x7f800001
	s_and_saveexec_b64 s[88:89], vcc
	s_cbranch_execz .LBB6_1438
; %bb.1437:                             ;   in Loop: Header=BB6_128 Depth=2
	v_and_b32_e32 v0, 7, v10
	v_lshrrev_b32_e32 v11, 3, v4
	v_cmp_gt_u32_e32 vcc, 8, v4
	v_ffbh_u32_e32 v4, v0
	v_min_u32_e32 v4, 32, v4
	v_subrev_u32_e32 v14, 28, v4
	v_lshlrev_b64 v[14:15], v14, v[10:11]
	v_sub_u32_e32 v4, 29, v4
	v_and_b32_e32 v14, 7, v14
	v_cndmask_b32_e32 v4, v11, v4, vcc
	v_cndmask_b32_e32 v0, v0, v14, vcc
	v_lshlrev_b32_e32 v10, 24, v10
	v_bfrev_b32_e32 v1, 60
	v_lshlrev_b32_e32 v0, 20, v0
	v_and_b32_e32 v10, 0x80000000, v10
	v_lshl_add_u32 v4, v4, 23, v1
	v_or3_b32 v0, v10, v4, v0
.LBB6_1438:                             ;   in Loop: Header=BB6_128 Depth=2
	s_or_b64 exec, exec, s[88:89]
.LBB6_1439:                             ;   in Loop: Header=BB6_128 Depth=2
	s_or_b64 exec, exec, s[78:79]
.LBB6_1440:                             ;   in Loop: Header=BB6_128 Depth=2
	s_or_b64 exec, exec, s[20:21]
	v_mul_f32_e32 v4, v17, v0
	v_and_b32_e32 v52, 0x7f800000, v4
	v_cmp_ne_u64_e32 vcc, s[56:57], v[52:53]
                                        ; implicit-def: $vgpr0
                                        ; kill: killed $vgpr0
	s_and_saveexec_b64 s[20:21], vcc
	s_xor_b64 s[78:79], exec, s[20:21]
	s_cbranch_execz .LBB6_1454
; %bb.1441:                             ;   in Loop: Header=BB6_128 Depth=2
	v_and_b32_e32 v52, 0x7fffffff, v4
	v_cmp_gt_u64_e32 vcc, s[58:59], v[52:53]
	v_and_b32_sdwa v0, v4, s53 dst_sel:DWORD dst_unused:UNUSED_PAD src0_sel:BYTE_3 src1_sel:DWORD
                                        ; implicit-def: $vgpr10
                                        ; kill: killed $vgpr10
	s_and_saveexec_b64 s[20:21], vcc
	s_xor_b64 s[88:89], exec, s[20:21]
	s_cbranch_execz .LBB6_1451
; %bb.1442:                             ;   in Loop: Header=BB6_128 Depth=2
	v_mov_b32_e32 v10, 0
	v_cmp_ne_u32_e32 vcc, 0, v4
	buffer_store_dword v10, off, s[0:3], s33 offset:152 ; 4-byte Folded Spill
	s_and_saveexec_b64 s[90:91], vcc
	s_cbranch_execz .LBB6_1450
; %bb.1443:                             ;   in Loop: Header=BB6_128 Depth=2
	v_and_b32_e32 v10, 0x7fffff, v4
	v_bfe_u32 v4, v4, 23, 8
	v_cmp_gt_u32_e64 s[20:21], s54, v4
	v_sub_u32_e32 v11, 0x79, v4
	v_cmp_eq_u32_e32 vcc, 0, v4
	v_cndmask_b32_e64 v11, 0, v11, s[20:21]
	v_mov_b32_e32 v15, 0x78
	v_or_b32_e32 v14, 0x800000, v10
	v_cndmask_b32_e32 v16, v11, v15, vcc
	v_cndmask_b32_e32 v52, v14, v10, vcc
	v_add_u32_e32 v10, 20, v16
	v_lshlrev_b64 v[10:11], v10, -1
	v_add_u32_e32 v14, 19, v16
	v_lshlrev_b64 v[14:15], v14, 1
	v_bfi_b32 v11, v11, 0, 0
	v_bfi_b32 v10, v10, 0, v52
	v_cmp_eq_u64_e64 s[20:21], v[10:11], v[14:15]
	v_lshrrev_b64 v[10:11], v16, v[52:53]
	v_mov_b32_e32 v15, v11
	v_mov_b32_e32 v14, v10
	s_and_saveexec_b64 s[92:93], s[20:21]
; %bb.1444:                             ;   in Loop: Header=BB6_128 Depth=2
	v_bfe_u32 v11, v10, 20, 1
	v_add_co_u32_e64 v11, s[20:21], v10, v11
	v_add_co_u32_e64 v14, s[20:21], -1, v11
; %bb.1445:                             ;   in Loop: Header=BB6_128 Depth=2
	s_or_b64 exec, exec, s[92:93]
	v_add_u32_e32 v4, 0xffffff81, v4
	v_mov_b32_e32 v11, 0xffffff82
	v_cndmask_b32_e32 v4, v4, v11, vcc
	v_lshrrev_b32_e32 v11, 23, v10
	v_add3_u32 v16, v16, v4, v11
	v_add_u32_e32 v15, 6, v16
	v_and_b32_e32 v4, 0xfffff, v14
	v_add_u32_e32 v52, v4, v10
	v_cmp_ne_u32_e32 vcc, 0, v15
                                        ; implicit-def: $vgpr10_vgpr11
                                        ; implicit-def: $vgpr4
	s_and_saveexec_b64 s[20:21], vcc
	s_xor_b64 s[20:21], exec, s[20:21]
; %bb.1446:                             ;   in Loop: Header=BB6_128 Depth=2
	v_cmp_lt_u64_e32 vcc, s[60:61], v[52:53]
	v_add_u32_e32 v4, 7, v16
	v_cndmask_b32_e64 v10, 0, 1, vcc
	v_lshrrev_b64 v[10:11], v10, v[52:53]
	v_cndmask_b32_e32 v4, v15, v4, vcc
; %bb.1447:                             ;   in Loop: Header=BB6_128 Depth=2
	s_andn2_saveexec_b64 s[20:21], s[20:21]
; %bb.1448:                             ;   in Loop: Header=BB6_128 Depth=2
	v_mov_b32_e32 v10, v52
	v_bfe_u32 v4, v52, 23, 1
	v_mov_b32_e32 v11, v53
; %bb.1449:                             ;   in Loop: Header=BB6_128 Depth=2
	s_or_b64 exec, exec, s[20:21]
	v_lshrrev_b64 v[10:11], 20, v[10:11]
	v_cmp_gt_i32_e32 vcc, 16, v4
	v_cndmask_b32_e32 v11, 0, v11, vcc
	v_cndmask_b32_e32 v10, 7, v10, vcc
	v_cmp_eq_u32_e32 vcc, 0, v4
	v_min_i32_e32 v4, 15, v4
	v_cmp_eq_u64_e64 s[20:21], 0, v[10:11]
	v_lshlrev_b32_e32 v4, 3, v4
	v_and_b32_e32 v4, 0xf8, v4
	v_and_or_b32 v4, v10, 7, v4
	s_and_b64 s[20:21], vcc, s[20:21]
	v_cndmask_b32_e64 v4, v4, 0, s[20:21]
	v_or_b32_e32 v0, v4, v0
	buffer_store_dword v0, off, s[0:3], s33 offset:152 ; 4-byte Folded Spill
.LBB6_1450:                             ;   in Loop: Header=BB6_128 Depth=2
	s_or_b64 exec, exec, s[90:91]
                                        ; implicit-def: $vgpr0
.LBB6_1451:                             ;   in Loop: Header=BB6_128 Depth=2
	s_andn2_saveexec_b64 s[20:21], s[88:89]
	s_cbranch_execz .LBB6_1453
; %bb.1452:                             ;   in Loop: Header=BB6_128 Depth=2
	v_or_b32_e32 v0, 0x7e, v0
	buffer_store_dword v0, off, s[0:3], s33 offset:152 ; 4-byte Folded Spill
.LBB6_1453:                             ;   in Loop: Header=BB6_128 Depth=2
	s_or_b64 exec, exec, s[20:21]
                                        ; implicit-def: $vgpr4
.LBB6_1454:                             ;   in Loop: Header=BB6_128 Depth=2
	s_andn2_saveexec_b64 s[20:21], s[78:79]
	s_cbranch_execz .LBB6_1456
; %bb.1455:                             ;   in Loop: Header=BB6_128 Depth=2
	v_or_b32_sdwa v0, v4, s51 dst_sel:DWORD dst_unused:UNUSED_PAD src0_sel:BYTE_3 src1_sel:DWORD
	buffer_store_dword v0, off, s[0:3], s33 offset:152 ; 4-byte Folded Spill
.LBB6_1456:                             ;   in Loop: Header=BB6_128 Depth=2
	s_or_b64 exec, exec, s[20:21]
	v_mov_b32_e32 v52, v13
	v_cmp_ne_u16_sdwa s[78:79], v13, v53 src0_sel:BYTE_0 src1_sel:DWORD
	v_mov_b32_e32 v0, 0
	s_and_saveexec_b64 s[20:21], s[78:79]
	s_cbranch_execz .LBB6_1462
; %bb.1457:                             ;   in Loop: Header=BB6_128 Depth=2
	v_cmp_ne_u16_sdwa s[88:89], v13, s53 src0_sel:BYTE_0 src1_sel:DWORD
	v_bfrev_b32_e32 v0, 1
	s_and_saveexec_b64 s[78:79], s[88:89]
	s_cbranch_execz .LBB6_1461
; %bb.1458:                             ;   in Loop: Header=BB6_128 Depth=2
	v_and_b32_e32 v4, 0x7f, v13
	v_cmp_ne_u32_e32 vcc, s51, v4
	v_mov_b32_e32 v0, 0x7f800001
	s_and_saveexec_b64 s[88:89], vcc
	s_cbranch_execz .LBB6_1460
; %bb.1459:                             ;   in Loop: Header=BB6_128 Depth=2
	v_and_b32_e32 v0, 7, v13
	v_ffbh_u32_e32 v0, v0
	v_min_u32_e32 v0, 32, v0
	v_lshrrev_b32_e32 v10, 3, v4
	v_cmp_gt_u32_e32 vcc, 8, v4
	v_subrev_u32_e32 v4, 28, v0
	v_sub_u32_e32 v0, 29, v0
	v_cndmask_b32_e32 v4, 0, v4, vcc
	v_cndmask_b32_e32 v0, v10, v0, vcc
	v_lshlrev_b64 v[10:11], v4, v[52:53]
	v_bfrev_b32_e32 v1, 60
	v_lshlrev_b32_e32 v4, 20, v10
	v_lshlrev_b32_e32 v10, 24, v52
	v_and_b32_e32 v4, 0x700000, v4
	v_and_b32_e32 v10, 0x80000000, v10
	v_lshl_add_u32 v0, v0, 23, v1
	v_or3_b32 v0, v10, v0, v4
.LBB6_1460:                             ;   in Loop: Header=BB6_128 Depth=2
	s_or_b64 exec, exec, s[88:89]
.LBB6_1461:                             ;   in Loop: Header=BB6_128 Depth=2
	s_or_b64 exec, exec, s[78:79]
.LBB6_1462:                             ;   in Loop: Header=BB6_128 Depth=2
	s_or_b64 exec, exec, s[20:21]
	v_mul_f32_e32 v10, v17, v0
	v_and_b32_e32 v14, 0x7f800000, v10
	v_mov_b32_e32 v15, v53
	v_cmp_ne_u64_e32 vcc, s[56:57], v[14:15]
                                        ; implicit-def: $vgpr4
	s_and_saveexec_b64 s[20:21], vcc
	s_xor_b64 s[78:79], exec, s[20:21]
	s_cbranch_execz .LBB6_1476
; %bb.1463:                             ;   in Loop: Header=BB6_128 Depth=2
	v_and_b32_e32 v14, 0x7fffffff, v10
	v_mov_b32_e32 v15, v53
	v_cmp_gt_u64_e32 vcc, s[58:59], v[14:15]
	v_and_b32_sdwa v0, v10, s53 dst_sel:DWORD dst_unused:UNUSED_PAD src0_sel:BYTE_3 src1_sel:DWORD
                                        ; implicit-def: $vgpr4
	s_and_saveexec_b64 s[20:21], vcc
	s_xor_b64 s[88:89], exec, s[20:21]
	s_cbranch_execz .LBB6_1473
; %bb.1464:                             ;   in Loop: Header=BB6_128 Depth=2
	v_mov_b32_e32 v4, 0
	v_cmp_ne_u32_e32 vcc, 0, v10
	s_and_saveexec_b64 s[90:91], vcc
	s_cbranch_execz .LBB6_1472
; %bb.1465:                             ;   in Loop: Header=BB6_128 Depth=2
	v_bfe_u32 v4, v10, 23, 8
	v_and_b32_e32 v11, 0x7fffff, v10
	v_cmp_gt_u32_e64 s[20:21], s54, v4
	v_sub_u32_e32 v10, 0x79, v4
	v_cmp_eq_u32_e32 vcc, 0, v4
	v_cndmask_b32_e64 v10, 0, v10, s[20:21]
	v_mov_b32_e32 v15, 0x78
	v_or_b32_e32 v14, 0x800000, v11
	v_cndmask_b32_e32 v16, v10, v15, vcc
	v_cndmask_b32_e32 v10, v14, v11, vcc
	v_add_u32_e32 v14, 20, v16
	v_lshlrev_b64 v[14:15], v14, -1
	v_mov_b32_e32 v11, v53
	v_add_u32_e32 v18, 19, v16
	v_bfi_b32 v14, v14, 0, v10
	v_lshlrev_b64 v[18:19], v18, 1
	v_lshrrev_b64 v[10:11], v16, v[10:11]
	v_bfi_b32 v15, v15, 0, 0
	v_cmp_eq_u64_e64 s[20:21], v[14:15], v[18:19]
	v_mov_b32_e32 v15, v11
	v_mov_b32_e32 v14, v10
	s_and_saveexec_b64 s[92:93], s[20:21]
; %bb.1466:                             ;   in Loop: Header=BB6_128 Depth=2
	v_bfe_u32 v11, v10, 20, 1
	v_add_co_u32_e64 v11, s[20:21], v10, v11
	v_add_co_u32_e64 v14, s[20:21], -1, v11
; %bb.1467:                             ;   in Loop: Header=BB6_128 Depth=2
	s_or_b64 exec, exec, s[92:93]
	v_add_u32_e32 v4, 0xffffff81, v4
	v_mov_b32_e32 v11, 0xffffff82
	v_cndmask_b32_e32 v4, v4, v11, vcc
	v_lshrrev_b32_e32 v11, 23, v10
	v_add3_u32 v16, v16, v4, v11
	v_add_u32_e32 v15, 6, v16
	v_and_b32_e32 v4, 0xfffff, v14
	v_add_u32_e32 v10, v4, v10
	v_mov_b32_e32 v11, v53
	v_cmp_ne_u32_e32 vcc, 0, v15
                                        ; implicit-def: $vgpr4
	s_and_saveexec_b64 s[20:21], vcc
	s_xor_b64 s[20:21], exec, s[20:21]
; %bb.1468:                             ;   in Loop: Header=BB6_128 Depth=2
	v_cmp_lt_u64_e32 vcc, s[60:61], v[10:11]
	v_add_u32_e32 v4, 7, v16
	v_cndmask_b32_e64 v14, 0, 1, vcc
	v_lshrrev_b64 v[10:11], v14, v[10:11]
	v_cndmask_b32_e32 v4, v15, v4, vcc
; %bb.1469:                             ;   in Loop: Header=BB6_128 Depth=2
	s_andn2_saveexec_b64 s[20:21], s[20:21]
; %bb.1470:                             ;   in Loop: Header=BB6_128 Depth=2
	v_bfe_u32 v4, v10, 23, 1
; %bb.1471:                             ;   in Loop: Header=BB6_128 Depth=2
	s_or_b64 exec, exec, s[20:21]
	v_lshrrev_b64 v[10:11], 20, v[10:11]
	v_cmp_gt_i32_e32 vcc, 16, v4
	v_cndmask_b32_e32 v11, 0, v11, vcc
	v_cndmask_b32_e32 v10, 7, v10, vcc
	v_cmp_eq_u32_e32 vcc, 0, v4
	v_min_i32_e32 v4, 15, v4
	v_cmp_eq_u64_e64 s[20:21], 0, v[10:11]
	v_lshlrev_b32_e32 v4, 3, v4
	v_and_b32_e32 v4, 0xf8, v4
	v_and_or_b32 v4, v10, 7, v4
	s_and_b64 s[20:21], vcc, s[20:21]
	v_cndmask_b32_e64 v4, v4, 0, s[20:21]
	v_or_b32_e32 v4, v4, v0
.LBB6_1472:                             ;   in Loop: Header=BB6_128 Depth=2
	s_or_b64 exec, exec, s[90:91]
                                        ; implicit-def: $vgpr0
.LBB6_1473:                             ;   in Loop: Header=BB6_128 Depth=2
	s_andn2_saveexec_b64 s[20:21], s[88:89]
; %bb.1474:                             ;   in Loop: Header=BB6_128 Depth=2
	v_or_b32_e32 v4, 0x7e, v0
; %bb.1475:                             ;   in Loop: Header=BB6_128 Depth=2
	s_or_b64 exec, exec, s[20:21]
                                        ; implicit-def: $vgpr10
.LBB6_1476:                             ;   in Loop: Header=BB6_128 Depth=2
	s_andn2_saveexec_b64 s[20:21], s[78:79]
; %bb.1477:                             ;   in Loop: Header=BB6_128 Depth=2
	v_or_b32_sdwa v4, v10, s51 dst_sel:DWORD dst_unused:UNUSED_PAD src0_sel:BYTE_3 src1_sel:DWORD
; %bb.1478:                             ;   in Loop: Header=BB6_128 Depth=2
	s_or_b64 exec, exec, s[20:21]
	v_lshrrev_b16_e32 v10, 8, v52
	v_cmp_ne_u16_e32 vcc, 0, v10
	v_mov_b32_e32 v0, 0
	s_and_saveexec_b64 s[20:21], vcc
	s_cbranch_execz .LBB6_1484
; %bb.1479:                             ;   in Loop: Header=BB6_128 Depth=2
	v_cmp_ne_u16_e32 vcc, s53, v10
	v_bfrev_b32_e32 v0, 1
	s_and_saveexec_b64 s[78:79], vcc
	s_cbranch_execz .LBB6_1483
; %bb.1480:                             ;   in Loop: Header=BB6_128 Depth=2
	v_and_b32_e32 v11, 0x7f, v10
	v_cmp_ne_u32_e32 vcc, s51, v11
	v_mov_b32_e32 v0, 0x7f800001
	s_and_saveexec_b64 s[88:89], vcc
	s_cbranch_execz .LBB6_1482
; %bb.1481:                             ;   in Loop: Header=BB6_128 Depth=2
	v_and_b32_e32 v0, 7, v10
	v_lshrrev_b32_e32 v14, 3, v11
	v_cmp_gt_u32_e32 vcc, 8, v11
	v_ffbh_u32_e32 v11, v0
	v_min_u32_e32 v15, 32, v11
	v_subrev_u32_e32 v11, 28, v15
	v_lshlrev_b64 v[10:11], v11, v[10:11]
	v_sub_u32_e32 v11, 29, v15
	v_and_b32_e32 v10, 7, v10
	v_cndmask_b32_e32 v11, v14, v11, vcc
	v_cndmask_b32_e32 v0, v0, v10, vcc
	v_lshlrev_b32_e32 v10, 16, v52
	v_bfrev_b32_e32 v1, 60
	v_lshlrev_b32_e32 v0, 20, v0
	v_and_b32_e32 v10, 0x80000000, v10
	v_lshl_add_u32 v11, v11, 23, v1
	v_or3_b32 v0, v10, v11, v0
.LBB6_1482:                             ;   in Loop: Header=BB6_128 Depth=2
	s_or_b64 exec, exec, s[88:89]
.LBB6_1483:                             ;   in Loop: Header=BB6_128 Depth=2
	s_or_b64 exec, exec, s[78:79]
.LBB6_1484:                             ;   in Loop: Header=BB6_128 Depth=2
	s_or_b64 exec, exec, s[20:21]
	v_mul_f32_e32 v10, v17, v0
	v_and_b32_e32 v52, 0x7f800000, v10
	v_cmp_ne_u64_e32 vcc, s[56:57], v[52:53]
                                        ; implicit-def: $vgpr0
                                        ; kill: killed $vgpr0
	s_and_saveexec_b64 s[20:21], vcc
	s_xor_b64 s[78:79], exec, s[20:21]
	s_cbranch_execz .LBB6_1498
; %bb.1485:                             ;   in Loop: Header=BB6_128 Depth=2
	v_and_b32_e32 v52, 0x7fffffff, v10
	v_cmp_gt_u64_e32 vcc, s[58:59], v[52:53]
	v_and_b32_sdwa v0, v10, s53 dst_sel:DWORD dst_unused:UNUSED_PAD src0_sel:BYTE_3 src1_sel:DWORD
                                        ; implicit-def: $vgpr11
                                        ; kill: killed $vgpr11
	s_and_saveexec_b64 s[20:21], vcc
	s_xor_b64 s[88:89], exec, s[20:21]
	s_cbranch_execz .LBB6_1495
; %bb.1486:                             ;   in Loop: Header=BB6_128 Depth=2
	v_mov_b32_e32 v11, 0
	v_cmp_ne_u32_e32 vcc, 0, v10
	buffer_store_dword v11, off, s[0:3], s33 offset:112 ; 4-byte Folded Spill
	s_and_saveexec_b64 s[90:91], vcc
	s_cbranch_execz .LBB6_1494
; %bb.1487:                             ;   in Loop: Header=BB6_128 Depth=2
	v_bfe_u32 v16, v10, 23, 8
	v_and_b32_e32 v11, 0x7fffff, v10
	v_cmp_gt_u32_e64 s[20:21], s54, v16
	v_sub_u32_e32 v10, 0x79, v16
	v_cmp_eq_u32_e32 vcc, 0, v16
	v_cndmask_b32_e64 v10, 0, v10, s[20:21]
	v_mov_b32_e32 v15, 0x78
	v_cndmask_b32_e32 v18, v10, v15, vcc
	v_or_b32_e32 v14, 0x800000, v11
	v_add_u32_e32 v10, 20, v18
	v_cndmask_b32_e32 v52, v14, v11, vcc
	v_lshlrev_b64 v[10:11], v10, -1
	v_add_u32_e32 v14, 19, v18
	v_lshlrev_b64 v[14:15], v14, 1
	v_bfi_b32 v11, v11, 0, 0
	v_bfi_b32 v10, v10, 0, v52
	v_cmp_eq_u64_e64 s[20:21], v[10:11], v[14:15]
	v_lshrrev_b64 v[10:11], v18, v[52:53]
	v_mov_b32_e32 v15, v11
	v_mov_b32_e32 v14, v10
	s_and_saveexec_b64 s[92:93], s[20:21]
; %bb.1488:                             ;   in Loop: Header=BB6_128 Depth=2
	v_bfe_u32 v11, v10, 20, 1
	v_add_co_u32_e64 v11, s[20:21], v10, v11
	v_add_co_u32_e64 v14, s[20:21], -1, v11
; %bb.1489:                             ;   in Loop: Header=BB6_128 Depth=2
	s_or_b64 exec, exec, s[92:93]
	v_add_u32_e32 v11, 0xffffff81, v16
	v_mov_b32_e32 v15, 0xffffff82
	v_cndmask_b32_e32 v11, v11, v15, vcc
	v_lshrrev_b32_e32 v15, 23, v10
	v_add3_u32 v16, v18, v11, v15
	v_add_u32_e32 v15, 6, v16
	v_and_b32_e32 v11, 0xfffff, v14
	v_add_u32_e32 v52, v11, v10
	v_cmp_ne_u32_e32 vcc, 0, v15
                                        ; implicit-def: $vgpr10_vgpr11
                                        ; implicit-def: $vgpr14
	s_and_saveexec_b64 s[20:21], vcc
	s_xor_b64 s[20:21], exec, s[20:21]
; %bb.1490:                             ;   in Loop: Header=BB6_128 Depth=2
	v_cmp_lt_u64_e32 vcc, s[60:61], v[52:53]
	v_add_u32_e32 v10, 7, v16
	v_cndmask_b32_e32 v14, v15, v10, vcc
	v_cndmask_b32_e64 v10, 0, 1, vcc
	v_lshrrev_b64 v[10:11], v10, v[52:53]
; %bb.1491:                             ;   in Loop: Header=BB6_128 Depth=2
	s_andn2_saveexec_b64 s[20:21], s[20:21]
; %bb.1492:                             ;   in Loop: Header=BB6_128 Depth=2
	v_mov_b32_e32 v10, v52
	v_bfe_u32 v14, v52, 23, 1
	v_mov_b32_e32 v11, v53
; %bb.1493:                             ;   in Loop: Header=BB6_128 Depth=2
	s_or_b64 exec, exec, s[20:21]
	v_lshrrev_b64 v[10:11], 20, v[10:11]
	v_cmp_gt_i32_e32 vcc, 16, v14
	v_cndmask_b32_e32 v11, 0, v11, vcc
	v_cndmask_b32_e32 v10, 7, v10, vcc
	v_cmp_eq_u64_e64 s[20:21], 0, v[10:11]
	v_min_i32_e32 v11, 15, v14
	v_lshlrev_b32_e32 v11, 3, v11
	v_cmp_eq_u32_e32 vcc, 0, v14
	v_and_b32_e32 v11, 0xf8, v11
	v_and_or_b32 v10, v10, 7, v11
	s_and_b64 s[20:21], vcc, s[20:21]
	v_cndmask_b32_e64 v10, v10, 0, s[20:21]
	v_or_b32_e32 v0, v10, v0
	buffer_store_dword v0, off, s[0:3], s33 offset:112 ; 4-byte Folded Spill
.LBB6_1494:                             ;   in Loop: Header=BB6_128 Depth=2
	s_or_b64 exec, exec, s[90:91]
                                        ; implicit-def: $vgpr0
.LBB6_1495:                             ;   in Loop: Header=BB6_128 Depth=2
	s_andn2_saveexec_b64 s[20:21], s[88:89]
	s_cbranch_execz .LBB6_1497
; %bb.1496:                             ;   in Loop: Header=BB6_128 Depth=2
	v_or_b32_e32 v0, 0x7e, v0
	buffer_store_dword v0, off, s[0:3], s33 offset:112 ; 4-byte Folded Spill
.LBB6_1497:                             ;   in Loop: Header=BB6_128 Depth=2
	s_or_b64 exec, exec, s[20:21]
                                        ; implicit-def: $vgpr10
.LBB6_1498:                             ;   in Loop: Header=BB6_128 Depth=2
	s_andn2_saveexec_b64 s[20:21], s[78:79]
	s_cbranch_execz .LBB6_1500
; %bb.1499:                             ;   in Loop: Header=BB6_128 Depth=2
	v_or_b32_sdwa v0, v10, s51 dst_sel:DWORD dst_unused:UNUSED_PAD src0_sel:BYTE_3 src1_sel:DWORD
	buffer_store_dword v0, off, s[0:3], s33 offset:112 ; 4-byte Folded Spill
.LBB6_1500:                             ;   in Loop: Header=BB6_128 Depth=2
	s_or_b64 exec, exec, s[20:21]
	v_lshrrev_b32_e32 v10, 16, v13
	v_cmp_ne_u16_sdwa s[78:79], v10, v53 src0_sel:BYTE_0 src1_sel:DWORD
	v_mov_b32_e32 v0, 0
	s_and_saveexec_b64 s[20:21], s[78:79]
	s_cbranch_execz .LBB6_1506
; %bb.1501:                             ;   in Loop: Header=BB6_128 Depth=2
	v_cmp_ne_u16_sdwa s[88:89], v10, s53 src0_sel:BYTE_0 src1_sel:DWORD
	v_bfrev_b32_e32 v0, 1
	s_and_saveexec_b64 s[78:79], s[88:89]
	s_cbranch_execz .LBB6_1505
; %bb.1502:                             ;   in Loop: Header=BB6_128 Depth=2
	v_bfe_u32 v11, v13, 16, 7
	v_cmp_ne_u32_e32 vcc, s51, v11
	v_mov_b32_e32 v0, 0x7f800001
	s_and_saveexec_b64 s[88:89], vcc
	s_cbranch_execz .LBB6_1504
; %bb.1503:                             ;   in Loop: Header=BB6_128 Depth=2
	v_and_b32_e32 v0, 7, v10
	v_lshrrev_b32_e32 v16, 3, v11
	v_cmp_gt_u32_e32 vcc, 8, v11
	v_ffbh_u32_e32 v11, v0
	v_min_u32_e32 v11, 32, v11
	v_subrev_u32_e32 v14, 28, v11
	v_lshlrev_b64 v[14:15], v14, v[10:11]
	v_sub_u32_e32 v11, 29, v11
	v_and_b32_e32 v14, 7, v14
	v_cndmask_b32_e32 v11, v16, v11, vcc
	v_cndmask_b32_e32 v0, v0, v14, vcc
	v_lshlrev_b32_e32 v10, 24, v10
	v_bfrev_b32_e32 v1, 60
	v_lshlrev_b32_e32 v0, 20, v0
	v_and_b32_e32 v10, 0x80000000, v10
	v_lshl_add_u32 v11, v11, 23, v1
	v_or3_b32 v0, v10, v11, v0
.LBB6_1504:                             ;   in Loop: Header=BB6_128 Depth=2
	s_or_b64 exec, exec, s[88:89]
.LBB6_1505:                             ;   in Loop: Header=BB6_128 Depth=2
	s_or_b64 exec, exec, s[78:79]
.LBB6_1506:                             ;   in Loop: Header=BB6_128 Depth=2
	s_or_b64 exec, exec, s[20:21]
	v_mul_f32_e32 v10, v17, v0
	v_and_b32_e32 v52, 0x7f800000, v10
	v_cmp_ne_u64_e32 vcc, s[56:57], v[52:53]
                                        ; implicit-def: $vgpr0
                                        ; kill: killed $vgpr0
	s_and_saveexec_b64 s[20:21], vcc
	s_xor_b64 s[78:79], exec, s[20:21]
	s_cbranch_execz .LBB6_1520
; %bb.1507:                             ;   in Loop: Header=BB6_128 Depth=2
	v_and_b32_e32 v52, 0x7fffffff, v10
	v_cmp_gt_u64_e32 vcc, s[58:59], v[52:53]
	v_and_b32_sdwa v0, v10, s53 dst_sel:DWORD dst_unused:UNUSED_PAD src0_sel:BYTE_3 src1_sel:DWORD
                                        ; implicit-def: $vgpr11
                                        ; kill: killed $vgpr11
	s_and_saveexec_b64 s[20:21], vcc
	s_xor_b64 s[88:89], exec, s[20:21]
	s_cbranch_execz .LBB6_1517
; %bb.1508:                             ;   in Loop: Header=BB6_128 Depth=2
	v_mov_b32_e32 v11, 0
	v_cmp_ne_u32_e32 vcc, 0, v10
	buffer_store_dword v11, off, s[0:3], s33 offset:124 ; 4-byte Folded Spill
	s_and_saveexec_b64 s[90:91], vcc
	s_cbranch_execz .LBB6_1516
; %bb.1509:                             ;   in Loop: Header=BB6_128 Depth=2
	v_bfe_u32 v16, v10, 23, 8
	v_and_b32_e32 v11, 0x7fffff, v10
	v_cmp_gt_u32_e64 s[20:21], s54, v16
	v_sub_u32_e32 v10, 0x79, v16
	v_cmp_eq_u32_e32 vcc, 0, v16
	v_cndmask_b32_e64 v10, 0, v10, s[20:21]
	v_mov_b32_e32 v15, 0x78
	v_cndmask_b32_e32 v18, v10, v15, vcc
	v_or_b32_e32 v14, 0x800000, v11
	v_add_u32_e32 v10, 20, v18
	v_cndmask_b32_e32 v52, v14, v11, vcc
	v_lshlrev_b64 v[10:11], v10, -1
	v_add_u32_e32 v14, 19, v18
	v_lshlrev_b64 v[14:15], v14, 1
	v_bfi_b32 v11, v11, 0, 0
	v_bfi_b32 v10, v10, 0, v52
	v_cmp_eq_u64_e64 s[20:21], v[10:11], v[14:15]
	v_lshrrev_b64 v[10:11], v18, v[52:53]
	v_mov_b32_e32 v15, v11
	v_mov_b32_e32 v14, v10
	s_and_saveexec_b64 s[92:93], s[20:21]
; %bb.1510:                             ;   in Loop: Header=BB6_128 Depth=2
	v_bfe_u32 v11, v10, 20, 1
	v_add_co_u32_e64 v11, s[20:21], v10, v11
	v_add_co_u32_e64 v14, s[20:21], -1, v11
; %bb.1511:                             ;   in Loop: Header=BB6_128 Depth=2
	s_or_b64 exec, exec, s[92:93]
	v_add_u32_e32 v11, 0xffffff81, v16
	v_mov_b32_e32 v15, 0xffffff82
	v_cndmask_b32_e32 v11, v11, v15, vcc
	v_lshrrev_b32_e32 v15, 23, v10
	v_add3_u32 v16, v18, v11, v15
	v_add_u32_e32 v15, 6, v16
	v_and_b32_e32 v11, 0xfffff, v14
	v_add_u32_e32 v52, v11, v10
	v_cmp_ne_u32_e32 vcc, 0, v15
                                        ; implicit-def: $vgpr10_vgpr11
                                        ; implicit-def: $vgpr14
	s_and_saveexec_b64 s[20:21], vcc
	s_xor_b64 s[20:21], exec, s[20:21]
; %bb.1512:                             ;   in Loop: Header=BB6_128 Depth=2
	v_cmp_lt_u64_e32 vcc, s[60:61], v[52:53]
	v_add_u32_e32 v10, 7, v16
	v_cndmask_b32_e32 v14, v15, v10, vcc
	v_cndmask_b32_e64 v10, 0, 1, vcc
	v_lshrrev_b64 v[10:11], v10, v[52:53]
; %bb.1513:                             ;   in Loop: Header=BB6_128 Depth=2
	s_andn2_saveexec_b64 s[20:21], s[20:21]
; %bb.1514:                             ;   in Loop: Header=BB6_128 Depth=2
	v_mov_b32_e32 v10, v52
	v_bfe_u32 v14, v52, 23, 1
	v_mov_b32_e32 v11, v53
; %bb.1515:                             ;   in Loop: Header=BB6_128 Depth=2
	s_or_b64 exec, exec, s[20:21]
	v_lshrrev_b64 v[10:11], 20, v[10:11]
	v_cmp_gt_i32_e32 vcc, 16, v14
	v_cndmask_b32_e32 v11, 0, v11, vcc
	v_cndmask_b32_e32 v10, 7, v10, vcc
	v_cmp_eq_u64_e64 s[20:21], 0, v[10:11]
	v_min_i32_e32 v11, 15, v14
	v_lshlrev_b32_e32 v11, 3, v11
	v_cmp_eq_u32_e32 vcc, 0, v14
	v_and_b32_e32 v11, 0xf8, v11
	v_and_or_b32 v10, v10, 7, v11
	s_and_b64 s[20:21], vcc, s[20:21]
	v_cndmask_b32_e64 v10, v10, 0, s[20:21]
	v_or_b32_e32 v0, v10, v0
	buffer_store_dword v0, off, s[0:3], s33 offset:124 ; 4-byte Folded Spill
.LBB6_1516:                             ;   in Loop: Header=BB6_128 Depth=2
	s_or_b64 exec, exec, s[90:91]
                                        ; implicit-def: $vgpr0
.LBB6_1517:                             ;   in Loop: Header=BB6_128 Depth=2
	s_andn2_saveexec_b64 s[20:21], s[88:89]
	s_cbranch_execz .LBB6_1519
; %bb.1518:                             ;   in Loop: Header=BB6_128 Depth=2
	v_or_b32_e32 v0, 0x7e, v0
	buffer_store_dword v0, off, s[0:3], s33 offset:124 ; 4-byte Folded Spill
.LBB6_1519:                             ;   in Loop: Header=BB6_128 Depth=2
	s_or_b64 exec, exec, s[20:21]
                                        ; implicit-def: $vgpr10
.LBB6_1520:                             ;   in Loop: Header=BB6_128 Depth=2
	s_andn2_saveexec_b64 s[20:21], s[78:79]
	s_cbranch_execz .LBB6_1522
; %bb.1521:                             ;   in Loop: Header=BB6_128 Depth=2
	v_or_b32_sdwa v0, v10, s51 dst_sel:DWORD dst_unused:UNUSED_PAD src0_sel:BYTE_3 src1_sel:DWORD
	buffer_store_dword v0, off, s[0:3], s33 offset:124 ; 4-byte Folded Spill
.LBB6_1522:                             ;   in Loop: Header=BB6_128 Depth=2
	s_or_b64 exec, exec, s[20:21]
	v_cmp_lt_u64_e32 vcc, s[62:63], v[12:13]
	v_mov_b32_e32 v0, 0
	s_and_saveexec_b64 s[20:21], vcc
	s_cbranch_execz .LBB6_1528
; %bb.1523:                             ;   in Loop: Header=BB6_128 Depth=2
	v_lshrrev_b32_e32 v10, 24, v13
	v_cmp_ne_u32_e32 vcc, s53, v10
	v_bfrev_b32_e32 v0, 1
	s_and_saveexec_b64 s[78:79], vcc
	s_cbranch_execz .LBB6_1527
; %bb.1524:                             ;   in Loop: Header=BB6_128 Depth=2
	v_bfe_u32 v11, v13, 24, 7
	v_cmp_ne_u32_e32 vcc, s51, v11
	v_mov_b32_e32 v0, 0x7f800001
	s_and_saveexec_b64 s[88:89], vcc
	s_cbranch_execz .LBB6_1526
; %bb.1525:                             ;   in Loop: Header=BB6_128 Depth=2
	v_and_b32_e32 v0, 7, v10
	v_lshrrev_b32_e32 v13, 3, v11
	v_cmp_gt_u32_e32 vcc, 8, v11
	v_ffbh_u32_e32 v11, v0
	v_min_u32_e32 v14, 32, v11
	v_subrev_u32_e32 v11, 28, v14
	v_lshlrev_b64 v[11:12], v11, v[10:11]
	v_sub_u32_e32 v12, 29, v14
	v_and_b32_e32 v11, 7, v11
	v_cndmask_b32_e32 v12, v13, v12, vcc
	v_cndmask_b32_e32 v0, v0, v11, vcc
	v_lshlrev_b32_e32 v10, 24, v10
	v_bfrev_b32_e32 v1, 60
	v_lshlrev_b32_e32 v0, 20, v0
	v_and_b32_e32 v10, 0x80000000, v10
	v_lshl_add_u32 v11, v12, 23, v1
	v_or3_b32 v0, v10, v11, v0
.LBB6_1526:                             ;   in Loop: Header=BB6_128 Depth=2
	s_or_b64 exec, exec, s[88:89]
.LBB6_1527:                             ;   in Loop: Header=BB6_128 Depth=2
	s_or_b64 exec, exec, s[78:79]
.LBB6_1528:                             ;   in Loop: Header=BB6_128 Depth=2
	s_or_b64 exec, exec, s[20:21]
	v_mul_f32_e32 v10, v17, v0
	v_and_b32_e32 v52, 0x7f800000, v10
	v_cmp_ne_u64_e32 vcc, s[56:57], v[52:53]
                                        ; implicit-def: $vgpr0
                                        ; kill: killed $vgpr0
	s_and_saveexec_b64 s[20:21], vcc
	s_xor_b64 s[78:79], exec, s[20:21]
	s_cbranch_execz .LBB6_1542
; %bb.1529:                             ;   in Loop: Header=BB6_128 Depth=2
	v_and_b32_e32 v52, 0x7fffffff, v10
	v_cmp_gt_u64_e32 vcc, s[58:59], v[52:53]
	v_and_b32_sdwa v0, v10, s53 dst_sel:DWORD dst_unused:UNUSED_PAD src0_sel:BYTE_3 src1_sel:DWORD
                                        ; implicit-def: $vgpr11
                                        ; kill: killed $vgpr11
	s_and_saveexec_b64 s[20:21], vcc
	s_xor_b64 s[88:89], exec, s[20:21]
	s_cbranch_execz .LBB6_1539
; %bb.1530:                             ;   in Loop: Header=BB6_128 Depth=2
	v_mov_b32_e32 v11, 0
	v_cmp_ne_u32_e32 vcc, 0, v10
	buffer_store_dword v11, off, s[0:3], s33 offset:140 ; 4-byte Folded Spill
	s_and_saveexec_b64 s[90:91], vcc
	s_cbranch_execz .LBB6_1538
; %bb.1531:                             ;   in Loop: Header=BB6_128 Depth=2
	v_bfe_u32 v13, v10, 23, 8
	v_and_b32_e32 v11, 0x7fffff, v10
	v_cmp_gt_u32_e64 s[20:21], s54, v13
	v_sub_u32_e32 v10, 0x79, v13
	v_cmp_eq_u32_e32 vcc, 0, v13
	v_cndmask_b32_e64 v10, 0, v10, s[20:21]
	v_mov_b32_e32 v14, 0x78
	v_cndmask_b32_e32 v14, v10, v14, vcc
	v_or_b32_e32 v12, 0x800000, v11
	v_add_u32_e32 v10, 20, v14
	v_cndmask_b32_e32 v52, v12, v11, vcc
	v_lshlrev_b64 v[10:11], v10, -1
	v_add_u32_e32 v12, 19, v14
	v_lshlrev_b64 v[15:16], v12, 1
	v_bfi_b32 v11, v11, 0, 0
	v_bfi_b32 v10, v10, 0, v52
	v_cmp_eq_u64_e64 s[20:21], v[10:11], v[15:16]
	v_lshrrev_b64 v[10:11], v14, v[52:53]
	v_mov_b32_e32 v12, v11
	v_mov_b32_e32 v11, v10
	s_and_saveexec_b64 s[92:93], s[20:21]
; %bb.1532:                             ;   in Loop: Header=BB6_128 Depth=2
	v_bfe_u32 v11, v10, 20, 1
	v_add_co_u32_e64 v11, s[20:21], v10, v11
	v_add_co_u32_e64 v11, s[20:21], -1, v11
; %bb.1533:                             ;   in Loop: Header=BB6_128 Depth=2
	s_or_b64 exec, exec, s[92:93]
	v_add_u32_e32 v12, 0xffffff81, v13
	v_mov_b32_e32 v13, 0xffffff82
	v_cndmask_b32_e32 v12, v12, v13, vcc
	v_lshrrev_b32_e32 v13, 23, v10
	v_add3_u32 v14, v14, v12, v13
	v_add_u32_e32 v13, 6, v14
	v_and_b32_e32 v11, 0xfffff, v11
	v_add_u32_e32 v52, v11, v10
	v_cmp_ne_u32_e32 vcc, 0, v13
                                        ; implicit-def: $vgpr10_vgpr11
                                        ; implicit-def: $vgpr12
	s_and_saveexec_b64 s[20:21], vcc
	s_xor_b64 s[20:21], exec, s[20:21]
; %bb.1534:                             ;   in Loop: Header=BB6_128 Depth=2
	v_cmp_lt_u64_e32 vcc, s[60:61], v[52:53]
	v_add_u32_e32 v10, 7, v14
	v_cndmask_b32_e32 v12, v13, v10, vcc
	v_cndmask_b32_e64 v10, 0, 1, vcc
	v_lshrrev_b64 v[10:11], v10, v[52:53]
; %bb.1535:                             ;   in Loop: Header=BB6_128 Depth=2
	s_andn2_saveexec_b64 s[20:21], s[20:21]
; %bb.1536:                             ;   in Loop: Header=BB6_128 Depth=2
	v_mov_b32_e32 v10, v52
	v_bfe_u32 v12, v52, 23, 1
	v_mov_b32_e32 v11, v53
; %bb.1537:                             ;   in Loop: Header=BB6_128 Depth=2
	s_or_b64 exec, exec, s[20:21]
	v_lshrrev_b64 v[10:11], 20, v[10:11]
	v_cmp_gt_i32_e32 vcc, 16, v12
	v_cndmask_b32_e32 v11, 0, v11, vcc
	v_cndmask_b32_e32 v10, 7, v10, vcc
	v_cmp_eq_u64_e64 s[20:21], 0, v[10:11]
	v_min_i32_e32 v11, 15, v12
	v_lshlrev_b32_e32 v11, 3, v11
	v_cmp_eq_u32_e32 vcc, 0, v12
	v_and_b32_e32 v11, 0xf8, v11
	v_and_or_b32 v10, v10, 7, v11
	s_and_b64 s[20:21], vcc, s[20:21]
	v_cndmask_b32_e64 v10, v10, 0, s[20:21]
	v_or_b32_e32 v0, v10, v0
	buffer_store_dword v0, off, s[0:3], s33 offset:140 ; 4-byte Folded Spill
.LBB6_1538:                             ;   in Loop: Header=BB6_128 Depth=2
	s_or_b64 exec, exec, s[90:91]
                                        ; implicit-def: $vgpr0
.LBB6_1539:                             ;   in Loop: Header=BB6_128 Depth=2
	s_andn2_saveexec_b64 s[20:21], s[88:89]
	s_cbranch_execz .LBB6_1541
; %bb.1540:                             ;   in Loop: Header=BB6_128 Depth=2
	v_or_b32_e32 v0, 0x7e, v0
	buffer_store_dword v0, off, s[0:3], s33 offset:140 ; 4-byte Folded Spill
.LBB6_1541:                             ;   in Loop: Header=BB6_128 Depth=2
	s_or_b64 exec, exec, s[20:21]
                                        ; implicit-def: $vgpr10
.LBB6_1542:                             ;   in Loop: Header=BB6_128 Depth=2
	s_andn2_saveexec_b64 s[20:21], s[78:79]
	s_cbranch_execz .LBB6_1544
; %bb.1543:                             ;   in Loop: Header=BB6_128 Depth=2
	v_or_b32_sdwa v0, v10, s51 dst_sel:DWORD dst_unused:UNUSED_PAD src0_sel:BYTE_3 src1_sel:DWORD
	buffer_store_dword v0, off, s[0:3], s33 offset:140 ; 4-byte Folded Spill
.LBB6_1544:                             ;   in Loop: Header=BB6_128 Depth=2
	s_or_b64 exec, exec, s[20:21]
	global_load_dwordx4 v[22:25], v[56:57], off glc slc
	global_load_dwordx4 v[18:21], v[56:57], off offset:1024 glc slc
	global_load_dwordx4 v[14:17], v[56:57], off offset:2048 glc slc
	;; [unrolled: 1-line block ×3, first 2 shown]
	v_lshl_or_b32 v0, v60, 8, v30
	v_lshlrev_b32_e32 v27, 16, v61
	v_lshlrev_b32_e32 v38, 24, v62
	v_or3_b32 v52, v27, v38, v0
	v_cmp_ne_u32_e32 vcc, 0, v30
	v_mov_b32_e32 v27, 0
	v_mov_b32_e32 v38, 0
	s_and_saveexec_b64 s[20:21], vcc
	s_cbranch_execz .LBB6_1550
; %bb.1545:                             ;   in Loop: Header=BB6_128 Depth=2
	v_cmp_ne_u32_e32 vcc, s53, v30
	v_bfrev_b32_e32 v38, 1
	s_and_saveexec_b64 s[78:79], vcc
	s_cbranch_execz .LBB6_1549
; %bb.1546:                             ;   in Loop: Header=BB6_128 Depth=2
	v_and_b32_e32 v39, 0x7f, v30
	v_cmp_ne_u32_e32 vcc, s51, v39
	v_mov_b32_e32 v38, 0x7f800001
	s_and_saveexec_b64 s[88:89], vcc
	s_cbranch_execz .LBB6_1548
; %bb.1547:                             ;   in Loop: Header=BB6_128 Depth=2
	v_and_b32_e32 v30, 7, v30
	v_ffbh_u32_e32 v30, v30
	v_min_u32_e32 v30, 32, v30
	v_lshrrev_b32_e32 v38, 3, v39
	v_cmp_gt_u32_e32 vcc, 8, v39
	v_subrev_u32_e32 v39, 28, v30
	v_sub_u32_e32 v30, 29, v30
	v_cndmask_b32_e32 v30, v38, v30, vcc
	v_cndmask_b32_e32 v38, 0, v39, vcc
	v_lshlrev_b64 v[38:39], v38, v[52:53]
	v_lshlrev_b32_e32 v39, 24, v52
	v_lshlrev_b32_e32 v38, 20, v38
	v_bfrev_b32_e32 v1, 60
	v_and_b32_e32 v38, 0x700000, v38
	v_and_b32_e32 v39, 0x80000000, v39
	v_lshl_add_u32 v30, v30, 23, v1
	v_or3_b32 v38, v39, v30, v38
.LBB6_1548:                             ;   in Loop: Header=BB6_128 Depth=2
	s_or_b64 exec, exec, s[88:89]
.LBB6_1549:                             ;   in Loop: Header=BB6_128 Depth=2
	s_or_b64 exec, exec, s[78:79]
.LBB6_1550:                             ;   in Loop: Header=BB6_128 Depth=2
	s_or_b64 exec, exec, s[20:21]
	s_waitcnt vmcnt(3)
	v_cmp_ne_u16_sdwa s[78:79], v22, v53 src0_sel:BYTE_0 src1_sel:DWORD
	s_and_saveexec_b64 s[20:21], s[78:79]
	s_cbranch_execz .LBB6_1556
; %bb.1551:                             ;   in Loop: Header=BB6_128 Depth=2
	v_cmp_ne_u16_sdwa s[88:89], v22, s53 src0_sel:BYTE_0 src1_sel:DWORD
	v_bfrev_b32_e32 v27, 1
	s_and_saveexec_b64 s[78:79], s[88:89]
	s_cbranch_execz .LBB6_1555
; %bb.1552:                             ;   in Loop: Header=BB6_128 Depth=2
	v_and_b32_e32 v30, 0x7f, v22
	v_cmp_ne_u32_e32 vcc, s51, v30
	v_mov_b32_e32 v27, 0x7f800001
	s_and_saveexec_b64 s[88:89], vcc
	s_cbranch_execz .LBB6_1554
; %bb.1553:                             ;   in Loop: Header=BB6_128 Depth=2
	v_and_b32_e32 v27, 7, v22
	v_ffbh_u32_e32 v27, v27
	v_min_u32_e32 v27, 32, v27
	v_lshrrev_b32_e32 v39, 3, v30
	v_cmp_gt_u32_e32 vcc, 8, v30
	v_subrev_u32_e32 v30, 28, v27
	v_cndmask_b32_e32 v30, 0, v30, vcc
	v_lshlrev_b64 v[54:55], v30, v[22:23]
	v_sub_u32_e32 v27, 29, v27
	v_cndmask_b32_e32 v27, v39, v27, vcc
	v_lshlrev_b32_e32 v30, 20, v54
	v_lshlrev_b32_e32 v39, 24, v22
	v_bfrev_b32_e32 v1, 60
	v_and_b32_e32 v30, 0x700000, v30
	v_and_b32_e32 v39, 0x80000000, v39
	v_lshl_add_u32 v27, v27, 23, v1
	v_or3_b32 v27, v39, v27, v30
.LBB6_1554:                             ;   in Loop: Header=BB6_128 Depth=2
	s_or_b64 exec, exec, s[88:89]
.LBB6_1555:                             ;   in Loop: Header=BB6_128 Depth=2
	s_or_b64 exec, exec, s[78:79]
.LBB6_1556:                             ;   in Loop: Header=BB6_128 Depth=2
	s_or_b64 exec, exec, s[20:21]
	v_add_f32_e32 v30, v38, v27
	v_and_b32_e32 v38, 0x7f800000, v30
	v_mov_b32_e32 v39, v53
	v_cmp_ne_u64_e32 vcc, s[56:57], v[38:39]
                                        ; implicit-def: $vgpr27
                                        ; kill: killed $vgpr27
	s_and_saveexec_b64 s[20:21], vcc
	s_xor_b64 s[78:79], exec, s[20:21]
	s_cbranch_execz .LBB6_1570
; %bb.1557:                             ;   in Loop: Header=BB6_128 Depth=2
	v_and_b32_e32 v38, 0x7fffffff, v30
	v_mov_b32_e32 v39, v53
	v_cmp_gt_u64_e32 vcc, s[58:59], v[38:39]
	v_and_b32_sdwa v27, v30, s53 dst_sel:DWORD dst_unused:UNUSED_PAD src0_sel:BYTE_3 src1_sel:DWORD
                                        ; implicit-def: $vgpr38
                                        ; kill: killed $vgpr38
	s_and_saveexec_b64 s[20:21], vcc
	s_xor_b64 s[88:89], exec, s[20:21]
	s_cbranch_execz .LBB6_1567
; %bb.1558:                             ;   in Loop: Header=BB6_128 Depth=2
	v_mov_b32_e32 v38, 0
	v_cmp_ne_u32_e32 vcc, 0, v30
	buffer_store_dword v38, off, s[0:3], s33 offset:104 ; 4-byte Folded Spill
	s_and_saveexec_b64 s[90:91], vcc
	s_cbranch_execz .LBB6_1566
; %bb.1559:                             ;   in Loop: Header=BB6_128 Depth=2
	v_and_b32_e32 v39, 0x7fffff, v30
	v_bfe_u32 v30, v30, 23, 8
	v_cmp_gt_u32_e64 s[20:21], s54, v30
	v_sub_u32_e32 v38, 0x79, v30
	v_cmp_eq_u32_e32 vcc, 0, v30
	v_cndmask_b32_e64 v38, 0, v38, s[20:21]
	v_mov_b32_e32 v55, 0x78
	v_or_b32_e32 v54, 0x800000, v39
	v_cndmask_b32_e32 v38, v38, v55, vcc
	v_cndmask_b32_e32 v54, v54, v39, vcc
	v_add_u32_e32 v39, 20, v38
	v_lshlrev_b64 v[60:61], v39, -1
	v_add_u32_e32 v39, 19, v38
	v_mov_b32_e32 v1, v43
	v_lshlrev_b64 v[42:43], v39, 1
	v_mov_b32_e32 v55, v53
	v_bfi_b32 v61, v61, 0, 0
	v_bfi_b32 v60, v60, 0, v54
	v_cmp_eq_u64_e64 s[20:21], v[60:61], v[42:43]
	v_lshrrev_b64 v[60:61], v38, v[54:55]
	v_mov_b32_e32 v62, v61
	v_mov_b32_e32 v61, v60
	s_and_saveexec_b64 s[92:93], s[20:21]
; %bb.1560:                             ;   in Loop: Header=BB6_128 Depth=2
	v_bfe_u32 v39, v60, 20, 1
	v_add_co_u32_e64 v39, s[20:21], v60, v39
	v_add_co_u32_e64 v61, s[20:21], -1, v39
; %bb.1561:                             ;   in Loop: Header=BB6_128 Depth=2
	s_or_b64 exec, exec, s[92:93]
	v_add_u32_e32 v30, 0xffffff81, v30
	v_mov_b32_e32 v39, 0xffffff82
	v_cndmask_b32_e32 v30, v30, v39, vcc
	v_lshrrev_b32_e32 v39, 23, v60
	v_add3_u32 v39, v38, v30, v39
	v_add_u32_e32 v38, 6, v39
	v_and_b32_e32 v30, 0xfffff, v61
	v_add_u32_e32 v60, v30, v60
	v_mov_b32_e32 v61, v53
	v_cmp_ne_u32_e32 vcc, 0, v38
                                        ; implicit-def: $vgpr30
	s_and_saveexec_b64 s[20:21], vcc
	s_xor_b64 s[20:21], exec, s[20:21]
; %bb.1562:                             ;   in Loop: Header=BB6_128 Depth=2
	v_cmp_lt_u64_e32 vcc, s[60:61], v[60:61]
	v_add_u32_e32 v30, 7, v39
	v_cndmask_b32_e32 v30, v38, v30, vcc
	v_cndmask_b32_e64 v38, 0, 1, vcc
	v_lshrrev_b64 v[60:61], v38, v[60:61]
; %bb.1563:                             ;   in Loop: Header=BB6_128 Depth=2
	s_or_saveexec_b64 s[20:21], s[20:21]
	v_mov_b32_e32 v43, v1
	s_xor_b64 exec, exec, s[20:21]
; %bb.1564:                             ;   in Loop: Header=BB6_128 Depth=2
	v_bfe_u32 v30, v60, 23, 1
; %bb.1565:                             ;   in Loop: Header=BB6_128 Depth=2
	s_or_b64 exec, exec, s[20:21]
	v_lshrrev_b64 v[38:39], 20, v[60:61]
	v_cmp_gt_i32_e32 vcc, 16, v30
	v_cndmask_b32_e32 v39, 0, v39, vcc
	v_cndmask_b32_e32 v38, 7, v38, vcc
	v_cmp_eq_u32_e32 vcc, 0, v30
	v_min_i32_e32 v30, 15, v30
	v_cmp_eq_u64_e64 s[20:21], 0, v[38:39]
	v_lshlrev_b32_e32 v30, 3, v30
	v_and_b32_e32 v30, 0xf8, v30
	v_and_or_b32 v30, v38, 7, v30
	s_and_b64 s[20:21], vcc, s[20:21]
	v_cndmask_b32_e64 v30, v30, 0, s[20:21]
	v_or_b32_e32 v27, v30, v27
	buffer_store_dword v27, off, s[0:3], s33 offset:104 ; 4-byte Folded Spill
.LBB6_1566:                             ;   in Loop: Header=BB6_128 Depth=2
	s_or_b64 exec, exec, s[90:91]
                                        ; implicit-def: $vgpr27
.LBB6_1567:                             ;   in Loop: Header=BB6_128 Depth=2
	s_andn2_saveexec_b64 s[20:21], s[88:89]
	s_cbranch_execz .LBB6_1569
; %bb.1568:                             ;   in Loop: Header=BB6_128 Depth=2
	v_or_b32_e32 v27, 0x7e, v27
	buffer_store_dword v27, off, s[0:3], s33 offset:104 ; 4-byte Folded Spill
.LBB6_1569:                             ;   in Loop: Header=BB6_128 Depth=2
	s_or_b64 exec, exec, s[20:21]
                                        ; implicit-def: $vgpr30
.LBB6_1570:                             ;   in Loop: Header=BB6_128 Depth=2
	s_andn2_saveexec_b64 s[20:21], s[78:79]
	s_cbranch_execz .LBB6_1572
; %bb.1571:                             ;   in Loop: Header=BB6_128 Depth=2
	v_or_b32_sdwa v27, v30, s51 dst_sel:DWORD dst_unused:UNUSED_PAD src0_sel:BYTE_3 src1_sel:DWORD
	buffer_store_dword v27, off, s[0:3], s33 offset:104 ; 4-byte Folded Spill
.LBB6_1572:                             ;   in Loop: Header=BB6_128 Depth=2
	s_or_b64 exec, exec, s[20:21]
	v_lshrrev_b16_e32 v30, 8, v0
	v_cmp_ne_u16_e32 vcc, 0, v30
	v_mov_b32_e32 v27, 0
	v_mov_b32_e32 v38, 0
	s_and_saveexec_b64 s[20:21], vcc
	s_cbranch_execz .LBB6_1578
; %bb.1573:                             ;   in Loop: Header=BB6_128 Depth=2
	v_cmp_ne_u16_e32 vcc, s53, v30
	v_bfrev_b32_e32 v38, 1
	s_and_saveexec_b64 s[78:79], vcc
	s_cbranch_execz .LBB6_1577
; %bb.1574:                             ;   in Loop: Header=BB6_128 Depth=2
	v_and_b32_e32 v39, 0x7f, v30
	v_cmp_ne_u32_e32 vcc, s51, v39
	v_mov_b32_e32 v38, 0x7f800001
	s_and_saveexec_b64 s[88:89], vcc
	s_cbranch_execz .LBB6_1576
; %bb.1575:                             ;   in Loop: Header=BB6_128 Depth=2
	v_and_b32_e32 v54, 7, v30
	v_ffbh_u32_e32 v38, v54
	v_min_u32_e32 v42, 32, v38
	v_subrev_u32_e32 v38, 28, v42
	v_lshrrev_b32_e32 v55, 3, v39
	v_cmp_gt_u32_e32 vcc, 8, v39
	v_lshlrev_b64 v[38:39], v38, v[30:31]
	v_sub_u32_e32 v30, 29, v42
	v_and_b32_e32 v38, 7, v38
	v_cndmask_b32_e32 v30, v55, v30, vcc
	v_cndmask_b32_e32 v38, v54, v38, vcc
	v_lshlrev_b32_e32 v0, 16, v0
	v_bfrev_b32_e32 v1, 60
	v_lshlrev_b32_e32 v38, 20, v38
	v_and_b32_e32 v0, 0x80000000, v0
	v_lshl_add_u32 v30, v30, 23, v1
	v_or3_b32 v38, v0, v30, v38
.LBB6_1576:                             ;   in Loop: Header=BB6_128 Depth=2
	s_or_b64 exec, exec, s[88:89]
.LBB6_1577:                             ;   in Loop: Header=BB6_128 Depth=2
	s_or_b64 exec, exec, s[78:79]
.LBB6_1578:                             ;   in Loop: Header=BB6_128 Depth=2
	s_or_b64 exec, exec, s[20:21]
	v_lshrrev_b16_e32 v30, 8, v22
	v_cmp_ne_u16_e32 vcc, 0, v30
	s_and_saveexec_b64 s[20:21], vcc
	s_cbranch_execz .LBB6_1584
; %bb.1579:                             ;   in Loop: Header=BB6_128 Depth=2
	v_cmp_ne_u16_e32 vcc, s53, v30
	v_bfrev_b32_e32 v27, 1
	s_and_saveexec_b64 s[78:79], vcc
	s_cbranch_execz .LBB6_1583
; %bb.1580:                             ;   in Loop: Header=BB6_128 Depth=2
	v_and_b32_e32 v0, 0x7f, v30
	v_cmp_ne_u32_e32 vcc, s51, v0
	v_mov_b32_e32 v27, 0x7f800001
	s_and_saveexec_b64 s[88:89], vcc
	s_cbranch_execz .LBB6_1582
; %bb.1581:                             ;   in Loop: Header=BB6_128 Depth=2
	v_and_b32_e32 v27, 7, v30
	v_lshrrev_b32_e32 v39, 3, v0
	v_cmp_gt_u32_e32 vcc, 8, v0
	v_ffbh_u32_e32 v0, v27
	v_min_u32_e32 v0, 32, v0
	v_subrev_u32_e32 v54, 28, v0
	v_lshlrev_b64 v[54:55], v54, v[30:31]
	v_sub_u32_e32 v0, 29, v0
	v_and_b32_e32 v30, 7, v54
	v_cndmask_b32_e32 v0, v39, v0, vcc
	v_cndmask_b32_e32 v27, v27, v30, vcc
	v_lshlrev_b32_e32 v30, 16, v22
	v_bfrev_b32_e32 v1, 60
	v_lshlrev_b32_e32 v27, 20, v27
	v_and_b32_e32 v30, 0x80000000, v30
	v_lshl_add_u32 v0, v0, 23, v1
	v_or3_b32 v27, v30, v0, v27
.LBB6_1582:                             ;   in Loop: Header=BB6_128 Depth=2
	s_or_b64 exec, exec, s[88:89]
.LBB6_1583:                             ;   in Loop: Header=BB6_128 Depth=2
	s_or_b64 exec, exec, s[78:79]
.LBB6_1584:                             ;   in Loop: Header=BB6_128 Depth=2
	s_or_b64 exec, exec, s[20:21]
	v_add_f32_e32 v27, v38, v27
	v_and_b32_e32 v38, 0x7f800000, v27
	v_mov_b32_e32 v39, v53
	v_cmp_ne_u64_e32 vcc, s[56:57], v[38:39]
                                        ; implicit-def: $vgpr0
                                        ; kill: killed $vgpr0
	s_and_saveexec_b64 s[20:21], vcc
	s_xor_b64 s[78:79], exec, s[20:21]
	s_cbranch_execz .LBB6_1598
; %bb.1585:                             ;   in Loop: Header=BB6_128 Depth=2
	v_and_b32_e32 v38, 0x7fffffff, v27
	v_mov_b32_e32 v39, v53
	v_cmp_gt_u64_e32 vcc, s[58:59], v[38:39]
	v_and_b32_sdwa v0, v27, s53 dst_sel:DWORD dst_unused:UNUSED_PAD src0_sel:BYTE_3 src1_sel:DWORD
                                        ; implicit-def: $vgpr30
                                        ; kill: killed $vgpr30
	s_and_saveexec_b64 s[20:21], vcc
	s_xor_b64 s[88:89], exec, s[20:21]
	s_cbranch_execz .LBB6_1595
; %bb.1586:                             ;   in Loop: Header=BB6_128 Depth=2
	v_mov_b32_e32 v30, 0
	v_cmp_ne_u32_e32 vcc, 0, v27
	buffer_store_dword v30, off, s[0:3], s33 offset:108 ; 4-byte Folded Spill
	s_and_saveexec_b64 s[90:91], vcc
	s_cbranch_execz .LBB6_1594
; %bb.1587:                             ;   in Loop: Header=BB6_128 Depth=2
	v_and_b32_e32 v38, 0x7fffff, v27
	v_bfe_u32 v27, v27, 23, 8
	v_cmp_gt_u32_e64 s[20:21], s54, v27
	v_sub_u32_e32 v30, 0x79, v27
	v_cmp_eq_u32_e32 vcc, 0, v27
	v_cndmask_b32_e64 v30, 0, v30, s[20:21]
	v_mov_b32_e32 v54, 0x78
	v_cndmask_b32_e32 v30, v30, v54, vcc
	v_or_b32_e32 v39, 0x800000, v38
	v_add_u32_e32 v54, 20, v30
	v_cndmask_b32_e32 v38, v39, v38, vcc
	v_mov_b32_e32 v39, v53
	v_lshlrev_b64 v[54:55], v54, -1
	v_add_u32_e32 v42, 19, v30
	v_mov_b32_e32 v1, v43
	v_lshlrev_b64 v[42:43], v42, 1
	v_lshrrev_b64 v[60:61], v30, v[38:39]
	v_bfi_b32 v55, v55, 0, 0
	v_bfi_b32 v54, v54, 0, v38
	v_cmp_eq_u64_e64 s[20:21], v[54:55], v[42:43]
	v_mov_b32_e32 v62, v61
	v_mov_b32_e32 v61, v60
	s_and_saveexec_b64 s[92:93], s[20:21]
; %bb.1588:                             ;   in Loop: Header=BB6_128 Depth=2
	v_bfe_u32 v38, v60, 20, 1
	v_add_co_u32_e64 v38, s[20:21], v60, v38
	v_add_co_u32_e64 v61, s[20:21], -1, v38
; %bb.1589:                             ;   in Loop: Header=BB6_128 Depth=2
	s_or_b64 exec, exec, s[92:93]
	v_add_u32_e32 v27, 0xffffff81, v27
	v_mov_b32_e32 v38, 0xffffff82
	v_cndmask_b32_e32 v27, v27, v38, vcc
	v_lshrrev_b32_e32 v38, 23, v60
	v_add3_u32 v38, v30, v27, v38
	v_add_u32_e32 v30, 6, v38
	v_and_b32_e32 v27, 0xfffff, v61
	v_add_u32_e32 v60, v27, v60
	v_mov_b32_e32 v61, v53
	v_cmp_ne_u32_e32 vcc, 0, v30
                                        ; implicit-def: $vgpr27
	s_and_saveexec_b64 s[20:21], vcc
	s_xor_b64 s[20:21], exec, s[20:21]
; %bb.1590:                             ;   in Loop: Header=BB6_128 Depth=2
	v_cmp_lt_u64_e32 vcc, s[60:61], v[60:61]
	v_add_u32_e32 v27, 7, v38
	v_cndmask_b32_e32 v27, v30, v27, vcc
	v_cndmask_b32_e64 v30, 0, 1, vcc
	v_lshrrev_b64 v[60:61], v30, v[60:61]
; %bb.1591:                             ;   in Loop: Header=BB6_128 Depth=2
	s_or_saveexec_b64 s[20:21], s[20:21]
	v_mov_b32_e32 v43, v1
	s_xor_b64 exec, exec, s[20:21]
; %bb.1592:                             ;   in Loop: Header=BB6_128 Depth=2
	v_bfe_u32 v27, v60, 23, 1
; %bb.1593:                             ;   in Loop: Header=BB6_128 Depth=2
	s_or_b64 exec, exec, s[20:21]
	v_lshrrev_b64 v[38:39], 20, v[60:61]
	v_cmp_gt_i32_e32 vcc, 16, v27
	v_cndmask_b32_e32 v39, 0, v39, vcc
	v_cndmask_b32_e32 v38, 7, v38, vcc
	v_cmp_eq_u32_e32 vcc, 0, v27
	v_min_i32_e32 v27, 15, v27
	v_cmp_eq_u64_e64 s[20:21], 0, v[38:39]
	v_lshlrev_b32_e32 v27, 3, v27
	v_and_b32_e32 v27, 0xf8, v27
	v_and_or_b32 v27, v38, 7, v27
	s_and_b64 s[20:21], vcc, s[20:21]
	v_cndmask_b32_e64 v27, v27, 0, s[20:21]
	v_or_b32_e32 v0, v27, v0
	buffer_store_dword v0, off, s[0:3], s33 offset:108 ; 4-byte Folded Spill
.LBB6_1594:                             ;   in Loop: Header=BB6_128 Depth=2
	s_or_b64 exec, exec, s[90:91]
                                        ; implicit-def: $vgpr0
.LBB6_1595:                             ;   in Loop: Header=BB6_128 Depth=2
	s_andn2_saveexec_b64 s[20:21], s[88:89]
	s_cbranch_execz .LBB6_1597
; %bb.1596:                             ;   in Loop: Header=BB6_128 Depth=2
	v_or_b32_e32 v0, 0x7e, v0
	buffer_store_dword v0, off, s[0:3], s33 offset:108 ; 4-byte Folded Spill
.LBB6_1597:                             ;   in Loop: Header=BB6_128 Depth=2
	s_or_b64 exec, exec, s[20:21]
                                        ; implicit-def: $vgpr27
.LBB6_1598:                             ;   in Loop: Header=BB6_128 Depth=2
	s_andn2_saveexec_b64 s[20:21], s[78:79]
	s_cbranch_execz .LBB6_1600
; %bb.1599:                             ;   in Loop: Header=BB6_128 Depth=2
	v_or_b32_sdwa v0, v27, s51 dst_sel:DWORD dst_unused:UNUSED_PAD src0_sel:BYTE_3 src1_sel:DWORD
	buffer_store_dword v0, off, s[0:3], s33 offset:108 ; 4-byte Folded Spill
.LBB6_1600:                             ;   in Loop: Header=BB6_128 Depth=2
	s_or_b64 exec, exec, s[20:21]
	v_lshrrev_b32_e32 v30, 16, v52
	v_cmp_ne_u16_sdwa s[78:79], v30, v53 src0_sel:BYTE_0 src1_sel:DWORD
	v_mov_b32_e32 v0, 0
	v_mov_b32_e32 v27, 0
	s_and_saveexec_b64 s[20:21], s[78:79]
	s_cbranch_execz .LBB6_1606
; %bb.1601:                             ;   in Loop: Header=BB6_128 Depth=2
	v_cmp_ne_u16_sdwa s[88:89], v30, s53 src0_sel:BYTE_0 src1_sel:DWORD
	v_bfrev_b32_e32 v27, 1
	s_and_saveexec_b64 s[78:79], s[88:89]
	s_cbranch_execz .LBB6_1605
; %bb.1602:                             ;   in Loop: Header=BB6_128 Depth=2
	v_bfe_u32 v38, v52, 16, 7
	v_cmp_ne_u32_e32 vcc, s51, v38
	v_mov_b32_e32 v27, 0x7f800001
	s_and_saveexec_b64 s[88:89], vcc
	s_cbranch_execz .LBB6_1604
; %bb.1603:                             ;   in Loop: Header=BB6_128 Depth=2
	v_and_b32_e32 v27, 7, v30
	v_lshrrev_b32_e32 v54, 3, v38
	v_cmp_gt_u32_e32 vcc, 8, v38
	v_ffbh_u32_e32 v38, v27
	v_min_u32_e32 v55, 32, v38
	v_subrev_u32_e32 v38, 28, v55
	v_lshlrev_b64 v[38:39], v38, v[30:31]
	v_sub_u32_e32 v39, 29, v55
	v_and_b32_e32 v38, 7, v38
	v_cndmask_b32_e32 v39, v54, v39, vcc
	v_cndmask_b32_e32 v27, v27, v38, vcc
	v_lshlrev_b32_e32 v30, 24, v30
	v_bfrev_b32_e32 v1, 60
	v_lshlrev_b32_e32 v27, 20, v27
	v_and_b32_e32 v30, 0x80000000, v30
	v_lshl_add_u32 v38, v39, 23, v1
	v_or3_b32 v27, v30, v38, v27
.LBB6_1604:                             ;   in Loop: Header=BB6_128 Depth=2
	s_or_b64 exec, exec, s[88:89]
.LBB6_1605:                             ;   in Loop: Header=BB6_128 Depth=2
	s_or_b64 exec, exec, s[78:79]
.LBB6_1606:                             ;   in Loop: Header=BB6_128 Depth=2
	s_or_b64 exec, exec, s[20:21]
	v_lshrrev_b32_e32 v30, 16, v22
	v_cmp_ne_u16_sdwa s[78:79], v30, v53 src0_sel:BYTE_0 src1_sel:DWORD
	s_and_saveexec_b64 s[20:21], s[78:79]
	s_cbranch_execz .LBB6_1612
; %bb.1607:                             ;   in Loop: Header=BB6_128 Depth=2
	v_cmp_ne_u16_sdwa s[88:89], v30, s53 src0_sel:BYTE_0 src1_sel:DWORD
	v_bfrev_b32_e32 v0, 1
	s_and_saveexec_b64 s[78:79], s[88:89]
	s_cbranch_execz .LBB6_1611
; %bb.1608:                             ;   in Loop: Header=BB6_128 Depth=2
	v_bfe_u32 v38, v22, 16, 7
	v_cmp_ne_u32_e32 vcc, s51, v38
	v_mov_b32_e32 v0, 0x7f800001
	s_and_saveexec_b64 s[88:89], vcc
	s_cbranch_execz .LBB6_1610
; %bb.1609:                             ;   in Loop: Header=BB6_128 Depth=2
	v_and_b32_e32 v0, 7, v30
	v_lshrrev_b32_e32 v54, 3, v38
	v_cmp_gt_u32_e32 vcc, 8, v38
	v_ffbh_u32_e32 v38, v0
	v_min_u32_e32 v55, 32, v38
	v_subrev_u32_e32 v38, 28, v55
	v_lshlrev_b64 v[38:39], v38, v[30:31]
	v_sub_u32_e32 v30, 29, v55
	v_and_b32_e32 v38, 7, v38
	v_cndmask_b32_e32 v30, v54, v30, vcc
	v_cndmask_b32_e32 v0, v0, v38, vcc
	v_lshlrev_b32_e32 v38, 8, v22
	v_bfrev_b32_e32 v1, 60
	v_lshlrev_b32_e32 v0, 20, v0
	v_and_b32_e32 v38, 0x80000000, v38
	v_lshl_add_u32 v30, v30, 23, v1
	v_or3_b32 v0, v38, v30, v0
.LBB6_1610:                             ;   in Loop: Header=BB6_128 Depth=2
	s_or_b64 exec, exec, s[88:89]
.LBB6_1611:                             ;   in Loop: Header=BB6_128 Depth=2
	s_or_b64 exec, exec, s[78:79]
.LBB6_1612:                             ;   in Loop: Header=BB6_128 Depth=2
	s_or_b64 exec, exec, s[20:21]
	v_add_f32_e32 v27, v27, v0
	v_and_b32_e32 v38, 0x7f800000, v27
	v_mov_b32_e32 v39, v53
	v_cmp_ne_u64_e32 vcc, s[56:57], v[38:39]
                                        ; implicit-def: $vgpr0
                                        ; kill: killed $vgpr0
	s_and_saveexec_b64 s[20:21], vcc
	s_xor_b64 s[78:79], exec, s[20:21]
	s_cbranch_execz .LBB6_1626
; %bb.1613:                             ;   in Loop: Header=BB6_128 Depth=2
	v_and_b32_e32 v38, 0x7fffffff, v27
	v_mov_b32_e32 v39, v53
	v_cmp_gt_u64_e32 vcc, s[58:59], v[38:39]
	v_and_b32_sdwa v0, v27, s53 dst_sel:DWORD dst_unused:UNUSED_PAD src0_sel:BYTE_3 src1_sel:DWORD
                                        ; implicit-def: $vgpr30
                                        ; kill: killed $vgpr30
	s_and_saveexec_b64 s[20:21], vcc
	s_xor_b64 s[88:89], exec, s[20:21]
	s_cbranch_execz .LBB6_1623
; %bb.1614:                             ;   in Loop: Header=BB6_128 Depth=2
	v_mov_b32_e32 v30, 0
	v_cmp_ne_u32_e32 vcc, 0, v27
	buffer_store_dword v30, off, s[0:3], s33 offset:116 ; 4-byte Folded Spill
	s_and_saveexec_b64 s[90:91], vcc
	s_cbranch_execz .LBB6_1622
; %bb.1615:                             ;   in Loop: Header=BB6_128 Depth=2
	v_and_b32_e32 v38, 0x7fffff, v27
	v_bfe_u32 v27, v27, 23, 8
	v_cmp_gt_u32_e64 s[20:21], s54, v27
	v_sub_u32_e32 v30, 0x79, v27
	v_cmp_eq_u32_e32 vcc, 0, v27
	v_cndmask_b32_e64 v30, 0, v30, s[20:21]
	v_mov_b32_e32 v54, 0x78
	v_cndmask_b32_e32 v30, v30, v54, vcc
	v_or_b32_e32 v39, 0x800000, v38
	v_add_u32_e32 v54, 20, v30
	v_cndmask_b32_e32 v38, v39, v38, vcc
	v_mov_b32_e32 v39, v53
	v_lshlrev_b64 v[54:55], v54, -1
	v_add_u32_e32 v42, 19, v30
	v_mov_b32_e32 v1, v43
	v_lshlrev_b64 v[42:43], v42, 1
	v_lshrrev_b64 v[60:61], v30, v[38:39]
	v_bfi_b32 v55, v55, 0, 0
	v_bfi_b32 v54, v54, 0, v38
	v_cmp_eq_u64_e64 s[20:21], v[54:55], v[42:43]
	v_mov_b32_e32 v62, v61
	v_mov_b32_e32 v61, v60
	s_and_saveexec_b64 s[92:93], s[20:21]
; %bb.1616:                             ;   in Loop: Header=BB6_128 Depth=2
	v_bfe_u32 v38, v60, 20, 1
	v_add_co_u32_e64 v38, s[20:21], v60, v38
	v_add_co_u32_e64 v61, s[20:21], -1, v38
; %bb.1617:                             ;   in Loop: Header=BB6_128 Depth=2
	s_or_b64 exec, exec, s[92:93]
	v_add_u32_e32 v27, 0xffffff81, v27
	v_mov_b32_e32 v38, 0xffffff82
	v_cndmask_b32_e32 v27, v27, v38, vcc
	v_lshrrev_b32_e32 v38, 23, v60
	v_add3_u32 v38, v30, v27, v38
	v_add_u32_e32 v30, 6, v38
	v_and_b32_e32 v27, 0xfffff, v61
	v_add_u32_e32 v60, v27, v60
	v_mov_b32_e32 v61, v53
	v_cmp_ne_u32_e32 vcc, 0, v30
                                        ; implicit-def: $vgpr27
	s_and_saveexec_b64 s[20:21], vcc
	s_xor_b64 s[20:21], exec, s[20:21]
; %bb.1618:                             ;   in Loop: Header=BB6_128 Depth=2
	v_cmp_lt_u64_e32 vcc, s[60:61], v[60:61]
	v_add_u32_e32 v27, 7, v38
	v_cndmask_b32_e32 v27, v30, v27, vcc
	v_cndmask_b32_e64 v30, 0, 1, vcc
	v_lshrrev_b64 v[60:61], v30, v[60:61]
; %bb.1619:                             ;   in Loop: Header=BB6_128 Depth=2
	s_or_saveexec_b64 s[20:21], s[20:21]
	v_mov_b32_e32 v43, v1
	s_xor_b64 exec, exec, s[20:21]
; %bb.1620:                             ;   in Loop: Header=BB6_128 Depth=2
	v_bfe_u32 v27, v60, 23, 1
; %bb.1621:                             ;   in Loop: Header=BB6_128 Depth=2
	s_or_b64 exec, exec, s[20:21]
	v_lshrrev_b64 v[38:39], 20, v[60:61]
	v_cmp_gt_i32_e32 vcc, 16, v27
	v_cndmask_b32_e32 v39, 0, v39, vcc
	v_cndmask_b32_e32 v38, 7, v38, vcc
	v_cmp_eq_u32_e32 vcc, 0, v27
	v_min_i32_e32 v27, 15, v27
	v_cmp_eq_u64_e64 s[20:21], 0, v[38:39]
	v_lshlrev_b32_e32 v27, 3, v27
	v_and_b32_e32 v27, 0xf8, v27
	v_and_or_b32 v27, v38, 7, v27
	s_and_b64 s[20:21], vcc, s[20:21]
	v_cndmask_b32_e64 v27, v27, 0, s[20:21]
	v_or_b32_e32 v0, v27, v0
	buffer_store_dword v0, off, s[0:3], s33 offset:116 ; 4-byte Folded Spill
.LBB6_1622:                             ;   in Loop: Header=BB6_128 Depth=2
	s_or_b64 exec, exec, s[90:91]
                                        ; implicit-def: $vgpr0
.LBB6_1623:                             ;   in Loop: Header=BB6_128 Depth=2
	s_andn2_saveexec_b64 s[20:21], s[88:89]
	s_cbranch_execz .LBB6_1625
; %bb.1624:                             ;   in Loop: Header=BB6_128 Depth=2
	v_or_b32_e32 v0, 0x7e, v0
	buffer_store_dword v0, off, s[0:3], s33 offset:116 ; 4-byte Folded Spill
.LBB6_1625:                             ;   in Loop: Header=BB6_128 Depth=2
	s_or_b64 exec, exec, s[20:21]
                                        ; implicit-def: $vgpr27
.LBB6_1626:                             ;   in Loop: Header=BB6_128 Depth=2
	s_andn2_saveexec_b64 s[20:21], s[78:79]
	s_cbranch_execz .LBB6_1628
; %bb.1627:                             ;   in Loop: Header=BB6_128 Depth=2
	v_or_b32_sdwa v0, v27, s51 dst_sel:DWORD dst_unused:UNUSED_PAD src0_sel:BYTE_3 src1_sel:DWORD
	buffer_store_dword v0, off, s[0:3], s33 offset:116 ; 4-byte Folded Spill
.LBB6_1628:                             ;   in Loop: Header=BB6_128 Depth=2
	s_or_b64 exec, exec, s[20:21]
	v_cmp_lt_u32_e32 vcc, s63, v52
	v_mov_b32_e32 v0, 0
	v_mov_b32_e32 v27, 0
	s_and_saveexec_b64 s[20:21], vcc
	s_cbranch_execz .LBB6_1634
; %bb.1629:                             ;   in Loop: Header=BB6_128 Depth=2
	v_lshrrev_b32_e32 v30, 24, v52
	v_cmp_ne_u32_sdwa s[88:89], v52, s53 src0_sel:BYTE_3 src1_sel:DWORD
	v_bfrev_b32_e32 v27, 1
	s_and_saveexec_b64 s[78:79], s[88:89]
	s_cbranch_execz .LBB6_1633
; %bb.1630:                             ;   in Loop: Header=BB6_128 Depth=2
	v_bfe_u32 v38, v52, 24, 7
	v_cmp_ne_u32_e32 vcc, s51, v38
	v_mov_b32_e32 v27, 0x7f800001
	s_and_saveexec_b64 s[88:89], vcc
	s_cbranch_execz .LBB6_1632
; %bb.1631:                             ;   in Loop: Header=BB6_128 Depth=2
	v_and_b32_e32 v27, 7, v30
	v_lshrrev_b32_e32 v54, 3, v38
	v_cmp_gt_u32_e32 vcc, 8, v38
	v_ffbh_u32_e32 v38, v27
	v_min_u32_e32 v55, 32, v38
	v_subrev_u32_e32 v38, 28, v55
	v_lshlrev_b64 v[38:39], v38, v[30:31]
	v_sub_u32_e32 v30, 29, v55
	v_and_b32_e32 v38, 7, v38
	v_cndmask_b32_e32 v27, v27, v38, vcc
	v_mov_b32_e32 v38, 24
	v_cndmask_b32_e32 v30, v54, v30, vcc
	v_lshlrev_b32_sdwa v38, v38, v52 dst_sel:DWORD dst_unused:UNUSED_PAD src0_sel:DWORD src1_sel:BYTE_3
	v_bfrev_b32_e32 v1, 60
	v_lshlrev_b32_e32 v27, 20, v27
	v_and_b32_e32 v38, 0x80000000, v38
	v_lshl_add_u32 v30, v30, 23, v1
	v_or3_b32 v27, v38, v30, v27
.LBB6_1632:                             ;   in Loop: Header=BB6_128 Depth=2
	s_or_b64 exec, exec, s[88:89]
.LBB6_1633:                             ;   in Loop: Header=BB6_128 Depth=2
	s_or_b64 exec, exec, s[78:79]
.LBB6_1634:                             ;   in Loop: Header=BB6_128 Depth=2
	s_or_b64 exec, exec, s[20:21]
	v_cmp_lt_u32_e32 vcc, s63, v22
	s_and_saveexec_b64 s[20:21], vcc
	s_cbranch_execz .LBB6_1640
; %bb.1635:                             ;   in Loop: Header=BB6_128 Depth=2
	v_lshrrev_b32_e32 v30, 24, v22
	v_cmp_ne_u32_e32 vcc, s53, v30
	v_bfrev_b32_e32 v0, 1
	s_and_saveexec_b64 s[78:79], vcc
	s_cbranch_execz .LBB6_1639
; %bb.1636:                             ;   in Loop: Header=BB6_128 Depth=2
	v_bfe_u32 v38, v22, 24, 7
	v_cmp_ne_u32_e32 vcc, s51, v38
	v_mov_b32_e32 v0, 0x7f800001
	s_and_saveexec_b64 s[88:89], vcc
	s_cbranch_execz .LBB6_1638
; %bb.1637:                             ;   in Loop: Header=BB6_128 Depth=2
	v_and_b32_e32 v0, 7, v30
	v_lshrrev_b32_e32 v52, 3, v38
	v_cmp_gt_u32_e32 vcc, 8, v38
	v_ffbh_u32_e32 v38, v0
	v_min_u32_e32 v54, 32, v38
	v_subrev_u32_e32 v38, 28, v54
	v_lshlrev_b64 v[38:39], v38, v[30:31]
	v_sub_u32_e32 v39, 29, v54
	v_and_b32_e32 v38, 7, v38
	v_cndmask_b32_e32 v39, v52, v39, vcc
	v_cndmask_b32_e32 v0, v0, v38, vcc
	v_lshlrev_b32_e32 v30, 24, v30
	v_bfrev_b32_e32 v1, 60
	v_lshlrev_b32_e32 v0, 20, v0
	v_and_b32_e32 v30, 0x80000000, v30
	v_lshl_add_u32 v38, v39, 23, v1
	v_or3_b32 v0, v30, v38, v0
.LBB6_1638:                             ;   in Loop: Header=BB6_128 Depth=2
	s_or_b64 exec, exec, s[88:89]
.LBB6_1639:                             ;   in Loop: Header=BB6_128 Depth=2
	s_or_b64 exec, exec, s[78:79]
.LBB6_1640:                             ;   in Loop: Header=BB6_128 Depth=2
	s_or_b64 exec, exec, s[20:21]
	v_add_f32_e32 v27, v27, v0
	v_and_b32_e32 v52, 0x7f800000, v27
	v_cmp_ne_u64_e32 vcc, s[56:57], v[52:53]
                                        ; implicit-def: $vgpr0
                                        ; kill: killed $vgpr0
	s_and_saveexec_b64 s[20:21], vcc
	s_xor_b64 s[78:79], exec, s[20:21]
	s_cbranch_execz .LBB6_1654
; %bb.1641:                             ;   in Loop: Header=BB6_128 Depth=2
	v_and_b32_e32 v52, 0x7fffffff, v27
	v_cmp_gt_u64_e32 vcc, s[58:59], v[52:53]
	v_and_b32_sdwa v0, v27, s53 dst_sel:DWORD dst_unused:UNUSED_PAD src0_sel:BYTE_3 src1_sel:DWORD
                                        ; implicit-def: $vgpr30
                                        ; kill: killed $vgpr30
	s_and_saveexec_b64 s[20:21], vcc
	s_xor_b64 s[88:89], exec, s[20:21]
	s_cbranch_execz .LBB6_1651
; %bb.1642:                             ;   in Loop: Header=BB6_128 Depth=2
	v_mov_b32_e32 v30, 0
	v_cmp_ne_u32_e32 vcc, 0, v27
	buffer_store_dword v30, off, s[0:3], s33 offset:132 ; 4-byte Folded Spill
	s_and_saveexec_b64 s[90:91], vcc
	s_cbranch_execz .LBB6_1650
; %bb.1643:                             ;   in Loop: Header=BB6_128 Depth=2
	v_and_b32_e32 v38, 0x7fffff, v27
	v_bfe_u32 v27, v27, 23, 8
	v_cmp_gt_u32_e64 s[20:21], s54, v27
	v_sub_u32_e32 v30, 0x79, v27
	v_cmp_eq_u32_e32 vcc, 0, v27
	v_cndmask_b32_e64 v30, 0, v30, s[20:21]
	v_mov_b32_e32 v52, 0x78
	v_or_b32_e32 v39, 0x800000, v38
	v_cndmask_b32_e32 v30, v30, v52, vcc
	v_cndmask_b32_e32 v52, v39, v38, vcc
	v_add_u32_e32 v38, 20, v30
	v_lshlrev_b64 v[38:39], v38, -1
	v_add_u32_e32 v54, 19, v30
	v_lshlrev_b64 v[54:55], v54, 1
	v_lshrrev_b64 v[60:61], v30, v[52:53]
	v_bfi_b32 v39, v39, 0, 0
	v_bfi_b32 v38, v38, 0, v52
	v_cmp_eq_u64_e64 s[20:21], v[38:39], v[54:55]
	v_mov_b32_e32 v62, v61
	v_mov_b32_e32 v61, v60
	s_and_saveexec_b64 s[92:93], s[20:21]
; %bb.1644:                             ;   in Loop: Header=BB6_128 Depth=2
	v_bfe_u32 v38, v60, 20, 1
	v_add_co_u32_e64 v38, s[20:21], v60, v38
	v_add_co_u32_e64 v61, s[20:21], -1, v38
; %bb.1645:                             ;   in Loop: Header=BB6_128 Depth=2
	s_or_b64 exec, exec, s[92:93]
	v_add_u32_e32 v27, 0xffffff81, v27
	v_mov_b32_e32 v38, 0xffffff82
	v_cndmask_b32_e32 v27, v27, v38, vcc
	v_lshrrev_b32_e32 v38, 23, v60
	v_add3_u32 v38, v30, v27, v38
	v_add_u32_e32 v30, 6, v38
	v_and_b32_e32 v27, 0xfffff, v61
	v_add_u32_e32 v52, v27, v60
	v_cmp_ne_u32_e32 vcc, 0, v30
                                        ; implicit-def: $vgpr60_vgpr61
                                        ; implicit-def: $vgpr27
	s_and_saveexec_b64 s[20:21], vcc
	s_xor_b64 s[20:21], exec, s[20:21]
; %bb.1646:                             ;   in Loop: Header=BB6_128 Depth=2
	v_cmp_lt_u64_e32 vcc, s[60:61], v[52:53]
	v_add_u32_e32 v27, 7, v38
	v_cndmask_b32_e32 v27, v30, v27, vcc
	v_cndmask_b32_e64 v30, 0, 1, vcc
	v_lshrrev_b64 v[60:61], v30, v[52:53]
; %bb.1647:                             ;   in Loop: Header=BB6_128 Depth=2
	s_andn2_saveexec_b64 s[20:21], s[20:21]
; %bb.1648:                             ;   in Loop: Header=BB6_128 Depth=2
	v_mov_b32_e32 v61, v53
	v_bfe_u32 v27, v52, 23, 1
	v_mov_b32_e32 v60, v52
; %bb.1649:                             ;   in Loop: Header=BB6_128 Depth=2
	s_or_b64 exec, exec, s[20:21]
	v_lshrrev_b64 v[38:39], 20, v[60:61]
	v_cmp_gt_i32_e32 vcc, 16, v27
	v_cndmask_b32_e32 v39, 0, v39, vcc
	v_cndmask_b32_e32 v38, 7, v38, vcc
	v_cmp_eq_u32_e32 vcc, 0, v27
	v_min_i32_e32 v27, 15, v27
	v_cmp_eq_u64_e64 s[20:21], 0, v[38:39]
	v_lshlrev_b32_e32 v27, 3, v27
	v_and_b32_e32 v27, 0xf8, v27
	v_and_or_b32 v27, v38, 7, v27
	s_and_b64 s[20:21], vcc, s[20:21]
	v_cndmask_b32_e64 v27, v27, 0, s[20:21]
	v_or_b32_e32 v0, v27, v0
	buffer_store_dword v0, off, s[0:3], s33 offset:132 ; 4-byte Folded Spill
.LBB6_1650:                             ;   in Loop: Header=BB6_128 Depth=2
	s_or_b64 exec, exec, s[90:91]
                                        ; implicit-def: $vgpr0
.LBB6_1651:                             ;   in Loop: Header=BB6_128 Depth=2
	s_andn2_saveexec_b64 s[20:21], s[88:89]
	s_cbranch_execz .LBB6_1653
; %bb.1652:                             ;   in Loop: Header=BB6_128 Depth=2
	v_or_b32_e32 v0, 0x7e, v0
	buffer_store_dword v0, off, s[0:3], s33 offset:132 ; 4-byte Folded Spill
.LBB6_1653:                             ;   in Loop: Header=BB6_128 Depth=2
	s_or_b64 exec, exec, s[20:21]
                                        ; implicit-def: $vgpr27
.LBB6_1654:                             ;   in Loop: Header=BB6_128 Depth=2
	s_andn2_saveexec_b64 s[20:21], s[78:79]
	s_cbranch_execz .LBB6_1656
; %bb.1655:                             ;   in Loop: Header=BB6_128 Depth=2
	v_or_b32_sdwa v0, v27, s51 dst_sel:DWORD dst_unused:UNUSED_PAD src0_sel:BYTE_3 src1_sel:DWORD
	buffer_store_dword v0, off, s[0:3], s33 offset:132 ; 4-byte Folded Spill
.LBB6_1656:                             ;   in Loop: Header=BB6_128 Depth=2
	s_or_b64 exec, exec, s[20:21]
	v_lshl_or_b32 v0, v40, 8, v50
	v_lshlrev_b32_e32 v27, 16, v32
	v_lshlrev_b32_e32 v30, 24, v37
	v_or3_b32 v52, v27, v30, v0
	v_cmp_ne_u32_e32 vcc, 0, v50
	v_mov_b32_e32 v30, 0
	v_mov_b32_e32 v27, 0
	s_and_saveexec_b64 s[20:21], vcc
	s_cbranch_execz .LBB6_1662
; %bb.1657:                             ;   in Loop: Header=BB6_128 Depth=2
	v_cmp_ne_u32_e32 vcc, s53, v50
	v_bfrev_b32_e32 v27, 1
	s_and_saveexec_b64 s[78:79], vcc
	s_cbranch_execz .LBB6_1661
; %bb.1658:                             ;   in Loop: Header=BB6_128 Depth=2
	v_and_b32_e32 v32, 0x7f, v50
	v_cmp_ne_u32_e32 vcc, s51, v32
	v_mov_b32_e32 v27, 0x7f800001
	s_and_saveexec_b64 s[88:89], vcc
	s_cbranch_execz .LBB6_1660
; %bb.1659:                             ;   in Loop: Header=BB6_128 Depth=2
	v_and_b32_e32 v27, 7, v50
	v_ffbh_u32_e32 v27, v27
	v_min_u32_e32 v27, 32, v27
	v_lshrrev_b32_e32 v37, 3, v32
	v_cmp_gt_u32_e32 vcc, 8, v32
	v_subrev_u32_e32 v32, 28, v27
	v_sub_u32_e32 v27, 29, v27
	v_cndmask_b32_e32 v32, 0, v32, vcc
	v_cndmask_b32_e32 v27, v37, v27, vcc
	v_lshlrev_b64 v[37:38], v32, v[52:53]
	v_bfrev_b32_e32 v1, 60
	v_lshlrev_b32_e32 v32, 20, v37
	v_lshlrev_b32_e32 v37, 24, v52
	v_and_b32_e32 v32, 0x700000, v32
	v_and_b32_e32 v37, 0x80000000, v37
	v_lshl_add_u32 v27, v27, 23, v1
	v_or3_b32 v27, v37, v27, v32
.LBB6_1660:                             ;   in Loop: Header=BB6_128 Depth=2
	s_or_b64 exec, exec, s[88:89]
.LBB6_1661:                             ;   in Loop: Header=BB6_128 Depth=2
	s_or_b64 exec, exec, s[78:79]
.LBB6_1662:                             ;   in Loop: Header=BB6_128 Depth=2
	s_or_b64 exec, exec, s[20:21]
	v_cmp_ne_u16_sdwa s[78:79], v23, v53 src0_sel:BYTE_0 src1_sel:DWORD
	s_and_saveexec_b64 s[20:21], s[78:79]
	s_cbranch_execz .LBB6_1668
; %bb.1663:                             ;   in Loop: Header=BB6_128 Depth=2
	v_cmp_ne_u16_sdwa s[88:89], v23, s53 src0_sel:BYTE_0 src1_sel:DWORD
	v_bfrev_b32_e32 v30, 1
	s_and_saveexec_b64 s[78:79], s[88:89]
	s_cbranch_execz .LBB6_1667
; %bb.1664:                             ;   in Loop: Header=BB6_128 Depth=2
	v_and_b32_e32 v32, 0x7f, v23
	v_cmp_ne_u32_e32 vcc, s51, v32
	v_mov_b32_e32 v30, 0x7f800001
	s_and_saveexec_b64 s[88:89], vcc
	s_cbranch_execz .LBB6_1666
; %bb.1665:                             ;   in Loop: Header=BB6_128 Depth=2
	v_and_b32_e32 v30, 7, v23
	v_ffbh_u32_e32 v30, v30
	v_min_u32_e32 v30, 32, v30
	v_lshrrev_b32_e32 v39, 3, v32
	v_cmp_gt_u32_e32 vcc, 8, v32
	v_subrev_u32_e32 v32, 28, v30
	v_mov_b32_e32 v37, v23
	v_mov_b32_e32 v38, v53
	v_sub_u32_e32 v30, 29, v30
	v_cndmask_b32_e32 v32, 0, v32, vcc
	v_cndmask_b32_e32 v30, v39, v30, vcc
	v_lshlrev_b64 v[38:39], v32, v[37:38]
	v_lshlrev_b32_e32 v37, 24, v37
	v_lshlrev_b32_e32 v32, 20, v38
	v_bfrev_b32_e32 v1, 60
	v_and_b32_e32 v32, 0x700000, v32
	v_and_b32_e32 v37, 0x80000000, v37
	v_lshl_add_u32 v30, v30, 23, v1
	v_or3_b32 v30, v37, v30, v32
.LBB6_1666:                             ;   in Loop: Header=BB6_128 Depth=2
	s_or_b64 exec, exec, s[88:89]
.LBB6_1667:                             ;   in Loop: Header=BB6_128 Depth=2
	s_or_b64 exec, exec, s[78:79]
.LBB6_1668:                             ;   in Loop: Header=BB6_128 Depth=2
	s_or_b64 exec, exec, s[20:21]
	v_add_f32_e32 v30, v27, v30
	v_and_b32_e32 v37, 0x7f800000, v30
	v_mov_b32_e32 v38, v53
	v_cmp_ne_u64_e32 vcc, s[56:57], v[37:38]
                                        ; implicit-def: $vgpr27
                                        ; kill: killed $vgpr27
	s_and_saveexec_b64 s[20:21], vcc
	s_xor_b64 s[78:79], exec, s[20:21]
	s_cbranch_execz .LBB6_1682
; %bb.1669:                             ;   in Loop: Header=BB6_128 Depth=2
	v_and_b32_e32 v37, 0x7fffffff, v30
	v_mov_b32_e32 v38, v53
	v_cmp_gt_u64_e32 vcc, s[58:59], v[37:38]
	v_and_b32_sdwa v27, v30, s53 dst_sel:DWORD dst_unused:UNUSED_PAD src0_sel:BYTE_3 src1_sel:DWORD
                                        ; implicit-def: $vgpr32
                                        ; kill: killed $vgpr32
	s_and_saveexec_b64 s[20:21], vcc
	s_xor_b64 s[88:89], exec, s[20:21]
	s_cbranch_execz .LBB6_1679
; %bb.1670:                             ;   in Loop: Header=BB6_128 Depth=2
	v_mov_b32_e32 v32, 0
	v_cmp_ne_u32_e32 vcc, 0, v30
	buffer_store_dword v32, off, s[0:3], s33 offset:160 ; 4-byte Folded Spill
	s_and_saveexec_b64 s[90:91], vcc
	s_cbranch_execz .LBB6_1678
; %bb.1671:                             ;   in Loop: Header=BB6_128 Depth=2
	v_and_b32_e32 v37, 0x7fffff, v30
	v_bfe_u32 v30, v30, 23, 8
	v_cmp_gt_u32_e64 s[20:21], s54, v30
	v_sub_u32_e32 v32, 0x79, v30
	v_cmp_eq_u32_e32 vcc, 0, v30
	v_cndmask_b32_e64 v32, 0, v32, s[20:21]
	v_mov_b32_e32 v39, 0x78
	v_cndmask_b32_e32 v32, v32, v39, vcc
	v_or_b32_e32 v38, 0x800000, v37
	v_add_u32_e32 v39, 20, v32
	v_cndmask_b32_e32 v37, v38, v37, vcc
	v_mov_b32_e32 v38, v53
	v_lshlrev_b64 v[54:55], v39, -1
	v_add_u32_e32 v39, 19, v32
	v_lshlrev_b64 v[39:40], v39, 1
	v_lshrrev_b64 v[60:61], v32, v[37:38]
	v_bfi_b32 v55, v55, 0, 0
	v_bfi_b32 v54, v54, 0, v37
	v_cmp_eq_u64_e64 s[20:21], v[54:55], v[39:40]
	v_mov_b32_e32 v62, v61
	v_mov_b32_e32 v61, v60
	s_and_saveexec_b64 s[92:93], s[20:21]
; %bb.1672:                             ;   in Loop: Header=BB6_128 Depth=2
	v_bfe_u32 v37, v60, 20, 1
	v_add_co_u32_e64 v37, s[20:21], v60, v37
	v_add_co_u32_e64 v61, s[20:21], -1, v37
; %bb.1673:                             ;   in Loop: Header=BB6_128 Depth=2
	s_or_b64 exec, exec, s[92:93]
	v_add_u32_e32 v30, 0xffffff81, v30
	v_mov_b32_e32 v37, 0xffffff82
	v_cndmask_b32_e32 v30, v30, v37, vcc
	v_lshrrev_b32_e32 v37, 23, v60
	v_add3_u32 v37, v32, v30, v37
	v_add_u32_e32 v32, 6, v37
	v_and_b32_e32 v30, 0xfffff, v61
	v_add_u32_e32 v60, v30, v60
	v_mov_b32_e32 v61, v53
	v_cmp_ne_u32_e32 vcc, 0, v32
                                        ; implicit-def: $vgpr30
	s_and_saveexec_b64 s[20:21], vcc
	s_xor_b64 s[20:21], exec, s[20:21]
; %bb.1674:                             ;   in Loop: Header=BB6_128 Depth=2
	v_cmp_lt_u64_e32 vcc, s[60:61], v[60:61]
	v_add_u32_e32 v30, 7, v37
	v_cndmask_b32_e32 v30, v32, v30, vcc
	v_cndmask_b32_e64 v32, 0, 1, vcc
	v_lshrrev_b64 v[60:61], v32, v[60:61]
; %bb.1675:                             ;   in Loop: Header=BB6_128 Depth=2
	s_andn2_saveexec_b64 s[20:21], s[20:21]
; %bb.1676:                             ;   in Loop: Header=BB6_128 Depth=2
	v_bfe_u32 v30, v60, 23, 1
; %bb.1677:                             ;   in Loop: Header=BB6_128 Depth=2
	s_or_b64 exec, exec, s[20:21]
	v_lshrrev_b64 v[37:38], 20, v[60:61]
	v_cmp_gt_i32_e32 vcc, 16, v30
	v_cndmask_b32_e32 v38, 0, v38, vcc
	v_cndmask_b32_e32 v37, 7, v37, vcc
	v_cmp_eq_u32_e32 vcc, 0, v30
	v_min_i32_e32 v30, 15, v30
	v_cmp_eq_u64_e64 s[20:21], 0, v[37:38]
	v_lshlrev_b32_e32 v30, 3, v30
	v_and_b32_e32 v30, 0xf8, v30
	v_and_or_b32 v30, v37, 7, v30
	s_and_b64 s[20:21], vcc, s[20:21]
	v_cndmask_b32_e64 v30, v30, 0, s[20:21]
	v_or_b32_e32 v27, v30, v27
	buffer_store_dword v27, off, s[0:3], s33 offset:160 ; 4-byte Folded Spill
.LBB6_1678:                             ;   in Loop: Header=BB6_128 Depth=2
	s_or_b64 exec, exec, s[90:91]
                                        ; implicit-def: $vgpr27
.LBB6_1679:                             ;   in Loop: Header=BB6_128 Depth=2
	s_andn2_saveexec_b64 s[20:21], s[88:89]
	s_cbranch_execz .LBB6_1681
; %bb.1680:                             ;   in Loop: Header=BB6_128 Depth=2
	v_or_b32_e32 v27, 0x7e, v27
	buffer_store_dword v27, off, s[0:3], s33 offset:160 ; 4-byte Folded Spill
.LBB6_1681:                             ;   in Loop: Header=BB6_128 Depth=2
	s_or_b64 exec, exec, s[20:21]
                                        ; implicit-def: $vgpr30
.LBB6_1682:                             ;   in Loop: Header=BB6_128 Depth=2
	s_andn2_saveexec_b64 s[20:21], s[78:79]
	s_cbranch_execz .LBB6_1684
; %bb.1683:                             ;   in Loop: Header=BB6_128 Depth=2
	v_or_b32_sdwa v27, v30, s51 dst_sel:DWORD dst_unused:UNUSED_PAD src0_sel:BYTE_3 src1_sel:DWORD
	buffer_store_dword v27, off, s[0:3], s33 offset:160 ; 4-byte Folded Spill
.LBB6_1684:                             ;   in Loop: Header=BB6_128 Depth=2
	s_or_b64 exec, exec, s[20:21]
	v_lshrrev_b16_e32 v30, 8, v0
	v_cmp_ne_u16_e32 vcc, 0, v30
	v_mov_b32_e32 v27, 0
	v_mov_b32_e32 v32, 0
	s_and_saveexec_b64 s[20:21], vcc
	s_cbranch_execz .LBB6_1690
; %bb.1685:                             ;   in Loop: Header=BB6_128 Depth=2
	v_cmp_ne_u16_e32 vcc, s53, v30
	v_bfrev_b32_e32 v32, 1
	s_and_saveexec_b64 s[78:79], vcc
	s_cbranch_execz .LBB6_1689
; %bb.1686:                             ;   in Loop: Header=BB6_128 Depth=2
	v_and_b32_e32 v37, 0x7f, v30
	v_cmp_ne_u32_e32 vcc, s51, v37
	v_mov_b32_e32 v32, 0x7f800001
	s_and_saveexec_b64 s[88:89], vcc
	s_cbranch_execz .LBB6_1688
; %bb.1687:                             ;   in Loop: Header=BB6_128 Depth=2
	v_and_b32_e32 v32, 7, v30
	v_lshrrev_b32_e32 v39, 3, v37
	v_cmp_gt_u32_e32 vcc, 8, v37
	v_ffbh_u32_e32 v37, v32
	v_min_u32_e32 v50, 32, v37
	v_subrev_u32_e32 v37, 28, v50
	v_lshlrev_b64 v[37:38], v37, v[30:31]
	v_sub_u32_e32 v30, 29, v50
	v_and_b32_e32 v37, 7, v37
	v_cndmask_b32_e32 v30, v39, v30, vcc
	v_cndmask_b32_e32 v32, v32, v37, vcc
	v_lshlrev_b32_e32 v0, 16, v0
	v_bfrev_b32_e32 v1, 60
	v_lshlrev_b32_e32 v32, 20, v32
	v_and_b32_e32 v0, 0x80000000, v0
	v_lshl_add_u32 v30, v30, 23, v1
	v_or3_b32 v32, v0, v30, v32
.LBB6_1688:                             ;   in Loop: Header=BB6_128 Depth=2
	s_or_b64 exec, exec, s[88:89]
.LBB6_1689:                             ;   in Loop: Header=BB6_128 Depth=2
	s_or_b64 exec, exec, s[78:79]
.LBB6_1690:                             ;   in Loop: Header=BB6_128 Depth=2
	s_or_b64 exec, exec, s[20:21]
	v_lshrrev_b16_e32 v30, 8, v23
	v_cmp_ne_u16_e32 vcc, 0, v30
	s_and_saveexec_b64 s[20:21], vcc
	s_cbranch_execz .LBB6_1696
; %bb.1691:                             ;   in Loop: Header=BB6_128 Depth=2
	v_cmp_ne_u16_e32 vcc, s53, v30
	v_bfrev_b32_e32 v27, 1
	s_and_saveexec_b64 s[78:79], vcc
	s_cbranch_execz .LBB6_1695
; %bb.1692:                             ;   in Loop: Header=BB6_128 Depth=2
	v_and_b32_e32 v0, 0x7f, v30
	v_cmp_ne_u32_e32 vcc, s51, v0
	v_mov_b32_e32 v27, 0x7f800001
	s_and_saveexec_b64 s[88:89], vcc
	s_cbranch_execz .LBB6_1694
; %bb.1693:                             ;   in Loop: Header=BB6_128 Depth=2
	v_and_b32_e32 v27, 7, v30
	v_lshrrev_b32_e32 v39, 3, v0
	v_cmp_gt_u32_e32 vcc, 8, v0
	v_ffbh_u32_e32 v0, v27
	v_min_u32_e32 v0, 32, v0
	v_subrev_u32_e32 v37, 28, v0
	v_lshlrev_b64 v[37:38], v37, v[30:31]
	v_sub_u32_e32 v0, 29, v0
	v_and_b32_e32 v30, 7, v37
	v_cndmask_b32_e32 v0, v39, v0, vcc
	v_cndmask_b32_e32 v27, v27, v30, vcc
	v_lshlrev_b32_e32 v30, 16, v23
	v_bfrev_b32_e32 v1, 60
	v_lshlrev_b32_e32 v27, 20, v27
	v_and_b32_e32 v30, 0x80000000, v30
	v_lshl_add_u32 v0, v0, 23, v1
	v_or3_b32 v27, v30, v0, v27
.LBB6_1694:                             ;   in Loop: Header=BB6_128 Depth=2
	s_or_b64 exec, exec, s[88:89]
.LBB6_1695:                             ;   in Loop: Header=BB6_128 Depth=2
	s_or_b64 exec, exec, s[78:79]
.LBB6_1696:                             ;   in Loop: Header=BB6_128 Depth=2
	s_or_b64 exec, exec, s[20:21]
	v_add_f32_e32 v27, v32, v27
	v_and_b32_e32 v37, 0x7f800000, v27
	v_mov_b32_e32 v38, v53
	v_cmp_ne_u64_e32 vcc, s[56:57], v[37:38]
                                        ; implicit-def: $vgpr0
                                        ; kill: killed $vgpr0
	s_and_saveexec_b64 s[20:21], vcc
	s_xor_b64 s[78:79], exec, s[20:21]
	s_cbranch_execz .LBB6_1710
; %bb.1697:                             ;   in Loop: Header=BB6_128 Depth=2
	v_and_b32_e32 v37, 0x7fffffff, v27
	v_mov_b32_e32 v38, v53
	v_cmp_gt_u64_e32 vcc, s[58:59], v[37:38]
	v_and_b32_sdwa v0, v27, s53 dst_sel:DWORD dst_unused:UNUSED_PAD src0_sel:BYTE_3 src1_sel:DWORD
                                        ; implicit-def: $vgpr30
                                        ; kill: killed $vgpr30
	s_and_saveexec_b64 s[20:21], vcc
	s_xor_b64 s[88:89], exec, s[20:21]
	s_cbranch_execz .LBB6_1707
; %bb.1698:                             ;   in Loop: Header=BB6_128 Depth=2
	v_mov_b32_e32 v30, 0
	v_cmp_ne_u32_e32 vcc, 0, v27
	buffer_store_dword v30, off, s[0:3], s33 offset:184 ; 4-byte Folded Spill
	s_and_saveexec_b64 s[90:91], vcc
	s_cbranch_execz .LBB6_1706
; %bb.1699:                             ;   in Loop: Header=BB6_128 Depth=2
	v_and_b32_e32 v32, 0x7fffff, v27
	v_bfe_u32 v27, v27, 23, 8
	v_cmp_gt_u32_e64 s[20:21], s54, v27
	v_sub_u32_e32 v30, 0x79, v27
	v_cmp_eq_u32_e32 vcc, 0, v27
	v_cndmask_b32_e64 v30, 0, v30, s[20:21]
	v_mov_b32_e32 v38, 0x78
	v_or_b32_e32 v37, 0x800000, v32
	v_cndmask_b32_e32 v30, v30, v38, vcc
	v_cndmask_b32_e32 v37, v37, v32, vcc
	v_add_u32_e32 v32, 20, v30
	v_mov_b32_e32 v38, v53
	v_lshlrev_b64 v[54:55], v32, -1
	v_add_u32_e32 v32, 19, v30
	v_lshlrev_b64 v[39:40], v32, 1
	v_lshrrev_b64 v[60:61], v30, v[37:38]
	v_bfi_b32 v55, v55, 0, 0
	v_bfi_b32 v54, v54, 0, v37
	v_cmp_eq_u64_e64 s[20:21], v[54:55], v[39:40]
	v_mov_b32_e32 v62, v61
	v_mov_b32_e32 v61, v60
	s_and_saveexec_b64 s[92:93], s[20:21]
; %bb.1700:                             ;   in Loop: Header=BB6_128 Depth=2
	v_bfe_u32 v32, v60, 20, 1
	v_add_co_u32_e64 v32, s[20:21], v60, v32
	v_add_co_u32_e64 v61, s[20:21], -1, v32
; %bb.1701:                             ;   in Loop: Header=BB6_128 Depth=2
	s_or_b64 exec, exec, s[92:93]
	v_add_u32_e32 v27, 0xffffff81, v27
	v_mov_b32_e32 v32, 0xffffff82
	v_cndmask_b32_e32 v27, v27, v32, vcc
	v_lshrrev_b32_e32 v32, 23, v60
	v_add3_u32 v32, v30, v27, v32
	v_add_u32_e32 v30, 6, v32
	v_and_b32_e32 v27, 0xfffff, v61
	v_add_u32_e32 v60, v27, v60
	v_mov_b32_e32 v61, v53
	v_cmp_ne_u32_e32 vcc, 0, v30
                                        ; implicit-def: $vgpr27
	s_and_saveexec_b64 s[20:21], vcc
	s_xor_b64 s[20:21], exec, s[20:21]
; %bb.1702:                             ;   in Loop: Header=BB6_128 Depth=2
	v_cmp_lt_u64_e32 vcc, s[60:61], v[60:61]
	v_add_u32_e32 v27, 7, v32
	v_cndmask_b32_e32 v27, v30, v27, vcc
	v_cndmask_b32_e64 v30, 0, 1, vcc
	v_lshrrev_b64 v[60:61], v30, v[60:61]
; %bb.1703:                             ;   in Loop: Header=BB6_128 Depth=2
	s_andn2_saveexec_b64 s[20:21], s[20:21]
; %bb.1704:                             ;   in Loop: Header=BB6_128 Depth=2
	v_bfe_u32 v27, v60, 23, 1
; %bb.1705:                             ;   in Loop: Header=BB6_128 Depth=2
	s_or_b64 exec, exec, s[20:21]
	v_lshrrev_b64 v[37:38], 20, v[60:61]
	v_cmp_gt_i32_e32 vcc, 16, v27
	v_cndmask_b32_e32 v38, 0, v38, vcc
	v_cndmask_b32_e32 v37, 7, v37, vcc
	v_cmp_eq_u32_e32 vcc, 0, v27
	v_min_i32_e32 v27, 15, v27
	v_cmp_eq_u64_e64 s[20:21], 0, v[37:38]
	v_lshlrev_b32_e32 v27, 3, v27
	v_and_b32_e32 v27, 0xf8, v27
	v_and_or_b32 v27, v37, 7, v27
	s_and_b64 s[20:21], vcc, s[20:21]
	v_cndmask_b32_e64 v27, v27, 0, s[20:21]
	v_or_b32_e32 v0, v27, v0
	buffer_store_dword v0, off, s[0:3], s33 offset:184 ; 4-byte Folded Spill
.LBB6_1706:                             ;   in Loop: Header=BB6_128 Depth=2
	s_or_b64 exec, exec, s[90:91]
                                        ; implicit-def: $vgpr0
.LBB6_1707:                             ;   in Loop: Header=BB6_128 Depth=2
	s_andn2_saveexec_b64 s[20:21], s[88:89]
	s_cbranch_execz .LBB6_1709
; %bb.1708:                             ;   in Loop: Header=BB6_128 Depth=2
	v_or_b32_e32 v0, 0x7e, v0
	buffer_store_dword v0, off, s[0:3], s33 offset:184 ; 4-byte Folded Spill
.LBB6_1709:                             ;   in Loop: Header=BB6_128 Depth=2
	s_or_b64 exec, exec, s[20:21]
                                        ; implicit-def: $vgpr27
.LBB6_1710:                             ;   in Loop: Header=BB6_128 Depth=2
	s_andn2_saveexec_b64 s[20:21], s[78:79]
	s_cbranch_execz .LBB6_1712
; %bb.1711:                             ;   in Loop: Header=BB6_128 Depth=2
	v_or_b32_sdwa v0, v27, s51 dst_sel:DWORD dst_unused:UNUSED_PAD src0_sel:BYTE_3 src1_sel:DWORD
	buffer_store_dword v0, off, s[0:3], s33 offset:184 ; 4-byte Folded Spill
.LBB6_1712:                             ;   in Loop: Header=BB6_128 Depth=2
	s_or_b64 exec, exec, s[20:21]
	v_lshrrev_b32_e32 v30, 16, v52
	v_cmp_ne_u16_sdwa s[78:79], v30, v53 src0_sel:BYTE_0 src1_sel:DWORD
	v_mov_b32_e32 v0, 0
	v_mov_b32_e32 v27, 0
	s_and_saveexec_b64 s[20:21], s[78:79]
	s_cbranch_execz .LBB6_1718
; %bb.1713:                             ;   in Loop: Header=BB6_128 Depth=2
	v_cmp_ne_u16_sdwa s[88:89], v30, s53 src0_sel:BYTE_0 src1_sel:DWORD
	v_bfrev_b32_e32 v27, 1
	s_and_saveexec_b64 s[78:79], s[88:89]
	s_cbranch_execz .LBB6_1717
; %bb.1714:                             ;   in Loop: Header=BB6_128 Depth=2
	v_bfe_u32 v32, v52, 16, 7
	v_cmp_ne_u32_e32 vcc, s51, v32
	v_mov_b32_e32 v27, 0x7f800001
	s_and_saveexec_b64 s[88:89], vcc
	s_cbranch_execz .LBB6_1716
; %bb.1715:                             ;   in Loop: Header=BB6_128 Depth=2
	v_and_b32_e32 v27, 7, v30
	v_lshrrev_b32_e32 v39, 3, v32
	v_cmp_gt_u32_e32 vcc, 8, v32
	v_ffbh_u32_e32 v32, v27
	v_min_u32_e32 v32, 32, v32
	v_subrev_u32_e32 v37, 28, v32
	v_lshlrev_b64 v[37:38], v37, v[30:31]
	v_sub_u32_e32 v32, 29, v32
	v_and_b32_e32 v37, 7, v37
	v_cndmask_b32_e32 v32, v39, v32, vcc
	v_cndmask_b32_e32 v27, v27, v37, vcc
	v_lshlrev_b32_e32 v30, 24, v30
	v_bfrev_b32_e32 v1, 60
	v_lshlrev_b32_e32 v27, 20, v27
	v_and_b32_e32 v30, 0x80000000, v30
	v_lshl_add_u32 v32, v32, 23, v1
	v_or3_b32 v27, v30, v32, v27
.LBB6_1716:                             ;   in Loop: Header=BB6_128 Depth=2
	s_or_b64 exec, exec, s[88:89]
.LBB6_1717:                             ;   in Loop: Header=BB6_128 Depth=2
	s_or_b64 exec, exec, s[78:79]
.LBB6_1718:                             ;   in Loop: Header=BB6_128 Depth=2
	s_or_b64 exec, exec, s[20:21]
	v_lshrrev_b32_e32 v30, 16, v23
	v_cmp_ne_u16_sdwa s[78:79], v30, v53 src0_sel:BYTE_0 src1_sel:DWORD
	s_and_saveexec_b64 s[20:21], s[78:79]
	s_cbranch_execz .LBB6_1724
; %bb.1719:                             ;   in Loop: Header=BB6_128 Depth=2
	v_cmp_ne_u16_sdwa s[88:89], v30, s53 src0_sel:BYTE_0 src1_sel:DWORD
	v_bfrev_b32_e32 v0, 1
	s_and_saveexec_b64 s[78:79], s[88:89]
	s_cbranch_execz .LBB6_1723
; %bb.1720:                             ;   in Loop: Header=BB6_128 Depth=2
	v_bfe_u32 v32, v23, 16, 7
	v_cmp_ne_u32_e32 vcc, s51, v32
	v_mov_b32_e32 v0, 0x7f800001
	s_and_saveexec_b64 s[88:89], vcc
	s_cbranch_execz .LBB6_1722
; %bb.1721:                             ;   in Loop: Header=BB6_128 Depth=2
	v_and_b32_e32 v0, 7, v30
	v_lshrrev_b32_e32 v39, 3, v32
	v_cmp_gt_u32_e32 vcc, 8, v32
	v_ffbh_u32_e32 v32, v0
	v_min_u32_e32 v32, 32, v32
	v_subrev_u32_e32 v37, 28, v32
	v_lshlrev_b64 v[37:38], v37, v[30:31]
	v_sub_u32_e32 v30, 29, v32
	v_and_b32_e32 v32, 7, v37
	v_cndmask_b32_e32 v30, v39, v30, vcc
	v_cndmask_b32_e32 v0, v0, v32, vcc
	v_lshlrev_b32_e32 v32, 8, v23
	v_bfrev_b32_e32 v1, 60
	v_lshlrev_b32_e32 v0, 20, v0
	v_and_b32_e32 v32, 0x80000000, v32
	v_lshl_add_u32 v30, v30, 23, v1
	v_or3_b32 v0, v32, v30, v0
.LBB6_1722:                             ;   in Loop: Header=BB6_128 Depth=2
	s_or_b64 exec, exec, s[88:89]
.LBB6_1723:                             ;   in Loop: Header=BB6_128 Depth=2
	s_or_b64 exec, exec, s[78:79]
.LBB6_1724:                             ;   in Loop: Header=BB6_128 Depth=2
	s_or_b64 exec, exec, s[20:21]
	v_add_f32_e32 v27, v27, v0
	v_and_b32_e32 v37, 0x7f800000, v27
	v_mov_b32_e32 v38, v53
	v_cmp_ne_u64_e32 vcc, s[56:57], v[37:38]
                                        ; implicit-def: $vgpr0
                                        ; kill: killed $vgpr0
	s_and_saveexec_b64 s[20:21], vcc
	s_xor_b64 s[78:79], exec, s[20:21]
	s_cbranch_execz .LBB6_1738
; %bb.1725:                             ;   in Loop: Header=BB6_128 Depth=2
	v_and_b32_e32 v37, 0x7fffffff, v27
	v_mov_b32_e32 v38, v53
	v_cmp_gt_u64_e32 vcc, s[58:59], v[37:38]
	v_and_b32_sdwa v0, v27, s53 dst_sel:DWORD dst_unused:UNUSED_PAD src0_sel:BYTE_3 src1_sel:DWORD
                                        ; implicit-def: $vgpr30
                                        ; kill: killed $vgpr30
	s_and_saveexec_b64 s[20:21], vcc
	s_xor_b64 s[88:89], exec, s[20:21]
	s_cbranch_execz .LBB6_1735
; %bb.1726:                             ;   in Loop: Header=BB6_128 Depth=2
	v_mov_b32_e32 v30, 0
	v_cmp_ne_u32_e32 vcc, 0, v27
	buffer_store_dword v30, off, s[0:3], s33 offset:204 ; 4-byte Folded Spill
	s_and_saveexec_b64 s[90:91], vcc
	s_cbranch_execz .LBB6_1734
; %bb.1727:                             ;   in Loop: Header=BB6_128 Depth=2
	v_and_b32_e32 v32, 0x7fffff, v27
	v_bfe_u32 v27, v27, 23, 8
	v_cmp_gt_u32_e64 s[20:21], s54, v27
	v_sub_u32_e32 v30, 0x79, v27
	v_cmp_eq_u32_e32 vcc, 0, v27
	v_cndmask_b32_e64 v30, 0, v30, s[20:21]
	v_mov_b32_e32 v38, 0x78
	v_or_b32_e32 v37, 0x800000, v32
	v_cndmask_b32_e32 v30, v30, v38, vcc
	v_cndmask_b32_e32 v37, v37, v32, vcc
	v_add_u32_e32 v32, 20, v30
	v_mov_b32_e32 v38, v53
	v_lshlrev_b64 v[54:55], v32, -1
	v_add_u32_e32 v32, 19, v30
	v_lshlrev_b64 v[39:40], v32, 1
	v_lshrrev_b64 v[60:61], v30, v[37:38]
	v_bfi_b32 v55, v55, 0, 0
	v_bfi_b32 v54, v54, 0, v37
	v_cmp_eq_u64_e64 s[20:21], v[54:55], v[39:40]
	v_mov_b32_e32 v62, v61
	v_mov_b32_e32 v61, v60
	s_and_saveexec_b64 s[92:93], s[20:21]
; %bb.1728:                             ;   in Loop: Header=BB6_128 Depth=2
	v_bfe_u32 v32, v60, 20, 1
	v_add_co_u32_e64 v32, s[20:21], v60, v32
	v_add_co_u32_e64 v61, s[20:21], -1, v32
; %bb.1729:                             ;   in Loop: Header=BB6_128 Depth=2
	s_or_b64 exec, exec, s[92:93]
	v_add_u32_e32 v27, 0xffffff81, v27
	v_mov_b32_e32 v32, 0xffffff82
	v_cndmask_b32_e32 v27, v27, v32, vcc
	v_lshrrev_b32_e32 v32, 23, v60
	v_add3_u32 v32, v30, v27, v32
	v_add_u32_e32 v30, 6, v32
	v_and_b32_e32 v27, 0xfffff, v61
	v_add_u32_e32 v60, v27, v60
	v_mov_b32_e32 v61, v53
	v_cmp_ne_u32_e32 vcc, 0, v30
                                        ; implicit-def: $vgpr27
	s_and_saveexec_b64 s[20:21], vcc
	s_xor_b64 s[20:21], exec, s[20:21]
; %bb.1730:                             ;   in Loop: Header=BB6_128 Depth=2
	v_cmp_lt_u64_e32 vcc, s[60:61], v[60:61]
	v_add_u32_e32 v27, 7, v32
	v_cndmask_b32_e32 v27, v30, v27, vcc
	v_cndmask_b32_e64 v30, 0, 1, vcc
	v_lshrrev_b64 v[60:61], v30, v[60:61]
; %bb.1731:                             ;   in Loop: Header=BB6_128 Depth=2
	s_andn2_saveexec_b64 s[20:21], s[20:21]
; %bb.1732:                             ;   in Loop: Header=BB6_128 Depth=2
	v_bfe_u32 v27, v60, 23, 1
; %bb.1733:                             ;   in Loop: Header=BB6_128 Depth=2
	s_or_b64 exec, exec, s[20:21]
	v_lshrrev_b64 v[37:38], 20, v[60:61]
	v_cmp_gt_i32_e32 vcc, 16, v27
	v_cndmask_b32_e32 v38, 0, v38, vcc
	v_cndmask_b32_e32 v37, 7, v37, vcc
	v_cmp_eq_u32_e32 vcc, 0, v27
	v_min_i32_e32 v27, 15, v27
	v_cmp_eq_u64_e64 s[20:21], 0, v[37:38]
	v_lshlrev_b32_e32 v27, 3, v27
	v_and_b32_e32 v27, 0xf8, v27
	v_and_or_b32 v27, v37, 7, v27
	s_and_b64 s[20:21], vcc, s[20:21]
	v_cndmask_b32_e64 v27, v27, 0, s[20:21]
	v_or_b32_e32 v0, v27, v0
	buffer_store_dword v0, off, s[0:3], s33 offset:204 ; 4-byte Folded Spill
.LBB6_1734:                             ;   in Loop: Header=BB6_128 Depth=2
	s_or_b64 exec, exec, s[90:91]
                                        ; implicit-def: $vgpr0
.LBB6_1735:                             ;   in Loop: Header=BB6_128 Depth=2
	s_andn2_saveexec_b64 s[20:21], s[88:89]
	s_cbranch_execz .LBB6_1737
; %bb.1736:                             ;   in Loop: Header=BB6_128 Depth=2
	v_or_b32_e32 v0, 0x7e, v0
	buffer_store_dword v0, off, s[0:3], s33 offset:204 ; 4-byte Folded Spill
.LBB6_1737:                             ;   in Loop: Header=BB6_128 Depth=2
	s_or_b64 exec, exec, s[20:21]
                                        ; implicit-def: $vgpr27
.LBB6_1738:                             ;   in Loop: Header=BB6_128 Depth=2
	s_andn2_saveexec_b64 s[20:21], s[78:79]
	s_cbranch_execz .LBB6_1740
; %bb.1739:                             ;   in Loop: Header=BB6_128 Depth=2
	v_or_b32_sdwa v0, v27, s51 dst_sel:DWORD dst_unused:UNUSED_PAD src0_sel:BYTE_3 src1_sel:DWORD
	buffer_store_dword v0, off, s[0:3], s33 offset:204 ; 4-byte Folded Spill
.LBB6_1740:                             ;   in Loop: Header=BB6_128 Depth=2
	s_or_b64 exec, exec, s[20:21]
	v_cmp_lt_u32_e32 vcc, s63, v52
	v_mov_b32_e32 v0, 0
	v_mov_b32_e32 v27, 0
	s_and_saveexec_b64 s[20:21], vcc
	s_cbranch_execz .LBB6_1746
; %bb.1741:                             ;   in Loop: Header=BB6_128 Depth=2
	v_lshrrev_b32_e32 v30, 24, v52
	v_cmp_ne_u32_sdwa s[88:89], v52, s53 src0_sel:BYTE_3 src1_sel:DWORD
	v_bfrev_b32_e32 v27, 1
	s_and_saveexec_b64 s[78:79], s[88:89]
	s_cbranch_execz .LBB6_1745
; %bb.1742:                             ;   in Loop: Header=BB6_128 Depth=2
	v_bfe_u32 v32, v52, 24, 7
	v_cmp_ne_u32_e32 vcc, s51, v32
	v_mov_b32_e32 v27, 0x7f800001
	s_and_saveexec_b64 s[88:89], vcc
	s_cbranch_execz .LBB6_1744
; %bb.1743:                             ;   in Loop: Header=BB6_128 Depth=2
	v_and_b32_e32 v27, 7, v30
	v_lshrrev_b32_e32 v39, 3, v32
	v_cmp_gt_u32_e32 vcc, 8, v32
	v_ffbh_u32_e32 v32, v27
	v_min_u32_e32 v32, 32, v32
	v_subrev_u32_e32 v37, 28, v32
	v_lshlrev_b64 v[37:38], v37, v[30:31]
	v_sub_u32_e32 v30, 29, v32
	v_and_b32_e32 v32, 7, v37
	v_cndmask_b32_e32 v27, v27, v32, vcc
	v_mov_b32_e32 v32, 24
	v_cndmask_b32_e32 v30, v39, v30, vcc
	v_lshlrev_b32_sdwa v32, v32, v52 dst_sel:DWORD dst_unused:UNUSED_PAD src0_sel:DWORD src1_sel:BYTE_3
	v_bfrev_b32_e32 v1, 60
	v_lshlrev_b32_e32 v27, 20, v27
	v_and_b32_e32 v32, 0x80000000, v32
	v_lshl_add_u32 v30, v30, 23, v1
	v_or3_b32 v27, v32, v30, v27
.LBB6_1744:                             ;   in Loop: Header=BB6_128 Depth=2
	s_or_b64 exec, exec, s[88:89]
.LBB6_1745:                             ;   in Loop: Header=BB6_128 Depth=2
	s_or_b64 exec, exec, s[78:79]
.LBB6_1746:                             ;   in Loop: Header=BB6_128 Depth=2
	s_or_b64 exec, exec, s[20:21]
	v_cmp_lt_u64_e32 vcc, s[62:63], v[22:23]
	s_and_saveexec_b64 s[20:21], vcc
	s_cbranch_execz .LBB6_1752
; %bb.1747:                             ;   in Loop: Header=BB6_128 Depth=2
	v_lshrrev_b32_e32 v22, 24, v23
	v_cmp_ne_u32_e32 vcc, s53, v22
	v_bfrev_b32_e32 v0, 1
	s_and_saveexec_b64 s[78:79], vcc
	s_cbranch_execz .LBB6_1751
; %bb.1748:                             ;   in Loop: Header=BB6_128 Depth=2
	v_bfe_u32 v23, v23, 24, 7
	v_cmp_ne_u32_e32 vcc, s51, v23
	v_mov_b32_e32 v0, 0x7f800001
	s_and_saveexec_b64 s[88:89], vcc
	s_cbranch_execz .LBB6_1750
; %bb.1749:                             ;   in Loop: Header=BB6_128 Depth=2
	v_and_b32_e32 v0, 7, v22
	v_lshrrev_b32_e32 v30, 3, v23
	v_cmp_gt_u32_e32 vcc, 8, v23
	v_ffbh_u32_e32 v23, v0
	v_min_u32_e32 v23, 32, v23
	v_subrev_u32_e32 v32, 28, v23
	v_lshlrev_b64 v[37:38], v32, v[22:23]
	v_sub_u32_e32 v23, 29, v23
	v_and_b32_e32 v32, 7, v37
	v_cndmask_b32_e32 v23, v30, v23, vcc
	v_cndmask_b32_e32 v0, v0, v32, vcc
	v_lshlrev_b32_e32 v22, 24, v22
	v_bfrev_b32_e32 v1, 60
	v_lshlrev_b32_e32 v0, 20, v0
	v_and_b32_e32 v22, 0x80000000, v22
	v_lshl_add_u32 v23, v23, 23, v1
	v_or3_b32 v0, v22, v23, v0
.LBB6_1750:                             ;   in Loop: Header=BB6_128 Depth=2
	s_or_b64 exec, exec, s[88:89]
.LBB6_1751:                             ;   in Loop: Header=BB6_128 Depth=2
	s_or_b64 exec, exec, s[78:79]
.LBB6_1752:                             ;   in Loop: Header=BB6_128 Depth=2
	s_or_b64 exec, exec, s[20:21]
	v_add_f32_e32 v22, v27, v0
	v_and_b32_e32 v52, 0x7f800000, v22
	v_cmp_ne_u64_e32 vcc, s[56:57], v[52:53]
                                        ; implicit-def: $vgpr0
                                        ; kill: killed $vgpr0
	s_and_saveexec_b64 s[20:21], vcc
	s_xor_b64 s[78:79], exec, s[20:21]
	s_cbranch_execz .LBB6_1766
; %bb.1753:                             ;   in Loop: Header=BB6_128 Depth=2
	v_and_b32_e32 v52, 0x7fffffff, v22
	v_cmp_gt_u64_e32 vcc, s[58:59], v[52:53]
	v_and_b32_sdwa v0, v22, s53 dst_sel:DWORD dst_unused:UNUSED_PAD src0_sel:BYTE_3 src1_sel:DWORD
                                        ; implicit-def: $vgpr23
                                        ; kill: killed $vgpr23
	s_and_saveexec_b64 s[20:21], vcc
	s_xor_b64 s[88:89], exec, s[20:21]
	s_cbranch_execz .LBB6_1763
; %bb.1754:                             ;   in Loop: Header=BB6_128 Depth=2
	v_mov_b32_e32 v23, 0
	v_cmp_ne_u32_e32 vcc, 0, v22
	buffer_store_dword v23, off, s[0:3], s33 offset:228 ; 4-byte Folded Spill
	s_and_saveexec_b64 s[90:91], vcc
	s_cbranch_execz .LBB6_1762
; %bb.1755:                             ;   in Loop: Header=BB6_128 Depth=2
	v_bfe_u32 v27, v22, 23, 8
	v_and_b32_e32 v23, 0x7fffff, v22
	v_cmp_gt_u32_e64 s[20:21], s54, v27
	v_sub_u32_e32 v22, 0x79, v27
	v_cmp_eq_u32_e32 vcc, 0, v27
	v_cndmask_b32_e64 v22, 0, v22, s[20:21]
	v_mov_b32_e32 v30, 0x78
	v_cndmask_b32_e32 v30, v22, v30, vcc
	v_or_b32_e32 v32, 0x800000, v23
	v_add_u32_e32 v22, 20, v30
	v_cndmask_b32_e32 v52, v32, v23, vcc
	v_lshlrev_b64 v[22:23], v22, -1
	v_add_u32_e32 v32, 19, v30
	v_lshlrev_b64 v[37:38], v32, 1
	v_bfi_b32 v23, v23, 0, 0
	v_bfi_b32 v22, v22, 0, v52
	v_cmp_eq_u64_e64 s[20:21], v[22:23], v[37:38]
	v_lshrrev_b64 v[22:23], v30, v[52:53]
	v_mov_b32_e32 v61, v23
	v_mov_b32_e32 v60, v22
	s_and_saveexec_b64 s[92:93], s[20:21]
; %bb.1756:                             ;   in Loop: Header=BB6_128 Depth=2
	v_bfe_u32 v23, v22, 20, 1
	v_add_co_u32_e64 v23, s[20:21], v22, v23
	v_add_co_u32_e64 v60, s[20:21], -1, v23
; %bb.1757:                             ;   in Loop: Header=BB6_128 Depth=2
	s_or_b64 exec, exec, s[92:93]
	v_add_u32_e32 v23, 0xffffff81, v27
	v_mov_b32_e32 v27, 0xffffff82
	v_cndmask_b32_e32 v23, v23, v27, vcc
	v_lshrrev_b32_e32 v27, 23, v22
	v_add3_u32 v32, v30, v23, v27
	v_add_u32_e32 v30, 6, v32
	v_and_b32_e32 v23, 0xfffff, v60
	v_add_u32_e32 v52, v23, v22
	v_cmp_ne_u32_e32 vcc, 0, v30
                                        ; implicit-def: $vgpr22_vgpr23
                                        ; implicit-def: $vgpr27
	s_and_saveexec_b64 s[20:21], vcc
	s_xor_b64 s[20:21], exec, s[20:21]
; %bb.1758:                             ;   in Loop: Header=BB6_128 Depth=2
	v_cmp_lt_u64_e32 vcc, s[60:61], v[52:53]
	v_add_u32_e32 v22, 7, v32
	v_cndmask_b32_e32 v27, v30, v22, vcc
	v_cndmask_b32_e64 v22, 0, 1, vcc
	v_lshrrev_b64 v[22:23], v22, v[52:53]
; %bb.1759:                             ;   in Loop: Header=BB6_128 Depth=2
	s_andn2_saveexec_b64 s[20:21], s[20:21]
; %bb.1760:                             ;   in Loop: Header=BB6_128 Depth=2
	v_mov_b32_e32 v22, v52
	v_bfe_u32 v27, v52, 23, 1
	v_mov_b32_e32 v23, v53
; %bb.1761:                             ;   in Loop: Header=BB6_128 Depth=2
	s_or_b64 exec, exec, s[20:21]
	v_lshrrev_b64 v[22:23], 20, v[22:23]
	v_cmp_gt_i32_e32 vcc, 16, v27
	v_cndmask_b32_e32 v23, 0, v23, vcc
	v_cndmask_b32_e32 v22, 7, v22, vcc
	v_cmp_eq_u64_e64 s[20:21], 0, v[22:23]
	v_min_i32_e32 v23, 15, v27
	v_lshlrev_b32_e32 v23, 3, v23
	v_cmp_eq_u32_e32 vcc, 0, v27
	v_and_b32_e32 v23, 0xf8, v23
	v_and_or_b32 v22, v22, 7, v23
	s_and_b64 s[20:21], vcc, s[20:21]
	v_cndmask_b32_e64 v22, v22, 0, s[20:21]
	v_or_b32_e32 v0, v22, v0
	buffer_store_dword v0, off, s[0:3], s33 offset:228 ; 4-byte Folded Spill
.LBB6_1762:                             ;   in Loop: Header=BB6_128 Depth=2
	s_or_b64 exec, exec, s[90:91]
                                        ; implicit-def: $vgpr0
.LBB6_1763:                             ;   in Loop: Header=BB6_128 Depth=2
	s_andn2_saveexec_b64 s[20:21], s[88:89]
	s_cbranch_execz .LBB6_1765
; %bb.1764:                             ;   in Loop: Header=BB6_128 Depth=2
	v_or_b32_e32 v0, 0x7e, v0
	buffer_store_dword v0, off, s[0:3], s33 offset:228 ; 4-byte Folded Spill
.LBB6_1765:                             ;   in Loop: Header=BB6_128 Depth=2
	s_or_b64 exec, exec, s[20:21]
                                        ; implicit-def: $vgpr22
.LBB6_1766:                             ;   in Loop: Header=BB6_128 Depth=2
	s_andn2_saveexec_b64 s[20:21], s[78:79]
	s_cbranch_execz .LBB6_1768
; %bb.1767:                             ;   in Loop: Header=BB6_128 Depth=2
	v_or_b32_sdwa v0, v22, s51 dst_sel:DWORD dst_unused:UNUSED_PAD src0_sel:BYTE_3 src1_sel:DWORD
	buffer_store_dword v0, off, s[0:3], s33 offset:228 ; 4-byte Folded Spill
.LBB6_1768:                             ;   in Loop: Header=BB6_128 Depth=2
	s_or_b64 exec, exec, s[20:21]
	buffer_load_dword v0, off, s[0:3], s33 offset:244 ; 4-byte Folded Reload
	v_lshlrev_b32_e32 v7, 16, v7
	v_lshlrev_b32_e32 v22, 24, v33
	v_cmp_ne_u32_e32 vcc, 0, v3
	s_waitcnt vmcnt(0)
	v_lshl_or_b32 v0, v0, 8, v3
	v_or3_b32 v52, v7, v22, v0
	v_mov_b32_e32 v7, 0
	v_mov_b32_e32 v22, 0
	s_and_saveexec_b64 s[20:21], vcc
	s_cbranch_execz .LBB6_1774
; %bb.1769:                             ;   in Loop: Header=BB6_128 Depth=2
	v_cmp_ne_u32_e32 vcc, s53, v3
	v_bfrev_b32_e32 v22, 1
	s_and_saveexec_b64 s[78:79], vcc
	s_cbranch_execz .LBB6_1773
; %bb.1770:                             ;   in Loop: Header=BB6_128 Depth=2
	v_and_b32_e32 v23, 0x7f, v3
	v_cmp_ne_u32_e32 vcc, s51, v23
	v_mov_b32_e32 v22, 0x7f800001
	s_and_saveexec_b64 s[88:89], vcc
	s_cbranch_execz .LBB6_1772
; %bb.1771:                             ;   in Loop: Header=BB6_128 Depth=2
	v_and_b32_e32 v3, 7, v3
	v_ffbh_u32_e32 v3, v3
	v_min_u32_e32 v3, 32, v3
	v_lshrrev_b32_e32 v22, 3, v23
	v_cmp_gt_u32_e32 vcc, 8, v23
	v_subrev_u32_e32 v23, 28, v3
	v_sub_u32_e32 v3, 29, v3
	v_cndmask_b32_e32 v3, v22, v3, vcc
	v_cndmask_b32_e32 v22, 0, v23, vcc
	v_lshlrev_b64 v[22:23], v22, v[52:53]
	v_lshlrev_b32_e32 v23, 24, v52
	v_lshlrev_b32_e32 v22, 20, v22
	v_bfrev_b32_e32 v1, 60
	v_and_b32_e32 v22, 0x700000, v22
	v_and_b32_e32 v23, 0x80000000, v23
	v_lshl_add_u32 v3, v3, 23, v1
	v_or3_b32 v22, v23, v3, v22
.LBB6_1772:                             ;   in Loop: Header=BB6_128 Depth=2
	s_or_b64 exec, exec, s[88:89]
.LBB6_1773:                             ;   in Loop: Header=BB6_128 Depth=2
	s_or_b64 exec, exec, s[78:79]
.LBB6_1774:                             ;   in Loop: Header=BB6_128 Depth=2
	s_or_b64 exec, exec, s[20:21]
	v_cmp_ne_u16_sdwa s[78:79], v24, v53 src0_sel:BYTE_0 src1_sel:DWORD
	s_and_saveexec_b64 s[20:21], s[78:79]
	s_cbranch_execz .LBB6_1780
; %bb.1775:                             ;   in Loop: Header=BB6_128 Depth=2
	v_cmp_ne_u16_sdwa s[88:89], v24, s53 src0_sel:BYTE_0 src1_sel:DWORD
	v_bfrev_b32_e32 v7, 1
	s_and_saveexec_b64 s[78:79], s[88:89]
	s_cbranch_execz .LBB6_1779
; %bb.1776:                             ;   in Loop: Header=BB6_128 Depth=2
	v_and_b32_e32 v3, 0x7f, v24
	v_cmp_ne_u32_e32 vcc, s51, v3
	v_mov_b32_e32 v7, 0x7f800001
	s_and_saveexec_b64 s[88:89], vcc
	s_cbranch_execz .LBB6_1778
; %bb.1777:                             ;   in Loop: Header=BB6_128 Depth=2
	v_and_b32_e32 v7, 7, v24
	v_lshrrev_b32_e32 v23, 3, v3
	v_cmp_gt_u32_e32 vcc, 8, v3
	v_ffbh_u32_e32 v3, v7
	v_min_u32_e32 v3, 32, v3
	v_subrev_u32_e32 v7, 28, v3
	v_cndmask_b32_e32 v7, 0, v7, vcc
	v_lshlrev_b64 v[32:33], v7, v[24:25]
	v_sub_u32_e32 v3, 29, v3
	v_cndmask_b32_e32 v3, v23, v3, vcc
	v_lshlrev_b32_e32 v7, 20, v32
	v_lshlrev_b32_e32 v23, 24, v24
	v_bfrev_b32_e32 v1, 60
	v_and_b32_e32 v7, 0x700000, v7
	v_and_b32_e32 v23, 0x80000000, v23
	v_lshl_add_u32 v3, v3, 23, v1
	v_or3_b32 v7, v23, v3, v7
.LBB6_1778:                             ;   in Loop: Header=BB6_128 Depth=2
	s_or_b64 exec, exec, s[88:89]
.LBB6_1779:                             ;   in Loop: Header=BB6_128 Depth=2
	s_or_b64 exec, exec, s[78:79]
.LBB6_1780:                             ;   in Loop: Header=BB6_128 Depth=2
	s_or_b64 exec, exec, s[20:21]
	v_add_f32_e32 v7, v22, v7
	v_and_b32_e32 v22, 0x7f800000, v7
	v_mov_b32_e32 v23, v53
	v_cmp_ne_u64_e32 vcc, s[56:57], v[22:23]
                                        ; implicit-def: $vgpr3
                                        ; kill: killed $vgpr3
	s_and_saveexec_b64 s[20:21], vcc
	s_xor_b64 s[78:79], exec, s[20:21]
	s_cbranch_execz .LBB6_1794
; %bb.1781:                             ;   in Loop: Header=BB6_128 Depth=2
	v_and_b32_e32 v22, 0x7fffffff, v7
	v_mov_b32_e32 v23, v53
	v_cmp_gt_u64_e32 vcc, s[58:59], v[22:23]
	v_and_b32_sdwa v3, v7, s53 dst_sel:DWORD dst_unused:UNUSED_PAD src0_sel:BYTE_3 src1_sel:DWORD
                                        ; implicit-def: $vgpr22
                                        ; kill: killed $vgpr22
	s_and_saveexec_b64 s[20:21], vcc
	s_xor_b64 s[88:89], exec, s[20:21]
	s_cbranch_execz .LBB6_1791
; %bb.1782:                             ;   in Loop: Header=BB6_128 Depth=2
	v_mov_b32_e32 v22, 0
	v_cmp_ne_u32_e32 vcc, 0, v7
	buffer_store_dword v22, off, s[0:3], s33 offset:244 ; 4-byte Folded Spill
	s_and_saveexec_b64 s[90:91], vcc
	s_cbranch_execz .LBB6_1790
; %bb.1783:                             ;   in Loop: Header=BB6_128 Depth=2
	v_and_b32_e32 v22, 0x7fffff, v7
	v_bfe_u32 v7, v7, 23, 8
	v_cmp_gt_u32_e64 s[20:21], s54, v7
	v_sub_u32_e32 v23, 0x79, v7
	v_cmp_eq_u32_e32 vcc, 0, v7
	v_cndmask_b32_e64 v23, 0, v23, s[20:21]
	v_mov_b32_e32 v27, 0x78
	v_or_b32_e32 v30, 0x800000, v22
	v_cndmask_b32_e32 v27, v23, v27, vcc
	v_cndmask_b32_e32 v22, v30, v22, vcc
	v_add_u32_e32 v30, 20, v27
	v_lshlrev_b64 v[32:33], v30, -1
	v_mov_b32_e32 v23, v53
	v_add_u32_e32 v30, 19, v27
	v_bfi_b32 v32, v32, 0, v22
	v_lshlrev_b64 v[37:38], v30, 1
	v_lshrrev_b64 v[22:23], v27, v[22:23]
	v_bfi_b32 v33, v33, 0, 0
	v_cmp_eq_u64_e64 s[20:21], v[32:33], v[37:38]
	v_mov_b32_e32 v61, v23
	v_mov_b32_e32 v60, v22
	s_and_saveexec_b64 s[92:93], s[20:21]
; %bb.1784:                             ;   in Loop: Header=BB6_128 Depth=2
	v_bfe_u32 v23, v22, 20, 1
	v_add_co_u32_e64 v23, s[20:21], v22, v23
	v_add_co_u32_e64 v60, s[20:21], -1, v23
; %bb.1785:                             ;   in Loop: Header=BB6_128 Depth=2
	s_or_b64 exec, exec, s[92:93]
	v_add_u32_e32 v7, 0xffffff81, v7
	v_mov_b32_e32 v23, 0xffffff82
	v_cndmask_b32_e32 v7, v7, v23, vcc
	v_lshrrev_b32_e32 v23, 23, v22
	v_add3_u32 v30, v27, v7, v23
	v_add_u32_e32 v27, 6, v30
	v_and_b32_e32 v7, 0xfffff, v60
	v_add_u32_e32 v22, v7, v22
	v_mov_b32_e32 v23, v53
	v_cmp_ne_u32_e32 vcc, 0, v27
                                        ; implicit-def: $vgpr7
	s_and_saveexec_b64 s[20:21], vcc
	s_xor_b64 s[20:21], exec, s[20:21]
; %bb.1786:                             ;   in Loop: Header=BB6_128 Depth=2
	v_cmp_lt_u64_e32 vcc, s[60:61], v[22:23]
	v_add_u32_e32 v7, 7, v30
	v_cndmask_b32_e32 v7, v27, v7, vcc
	v_cndmask_b32_e64 v27, 0, 1, vcc
	v_lshrrev_b64 v[22:23], v27, v[22:23]
; %bb.1787:                             ;   in Loop: Header=BB6_128 Depth=2
	s_andn2_saveexec_b64 s[20:21], s[20:21]
; %bb.1788:                             ;   in Loop: Header=BB6_128 Depth=2
	v_bfe_u32 v7, v22, 23, 1
; %bb.1789:                             ;   in Loop: Header=BB6_128 Depth=2
	s_or_b64 exec, exec, s[20:21]
	v_lshrrev_b64 v[22:23], 20, v[22:23]
	v_cmp_gt_i32_e32 vcc, 16, v7
	v_cndmask_b32_e32 v23, 0, v23, vcc
	v_cndmask_b32_e32 v22, 7, v22, vcc
	v_cmp_eq_u32_e32 vcc, 0, v7
	v_min_i32_e32 v7, 15, v7
	v_cmp_eq_u64_e64 s[20:21], 0, v[22:23]
	v_lshlrev_b32_e32 v7, 3, v7
	v_and_b32_e32 v7, 0xf8, v7
	v_and_or_b32 v7, v22, 7, v7
	s_and_b64 s[20:21], vcc, s[20:21]
	v_cndmask_b32_e64 v7, v7, 0, s[20:21]
	v_or_b32_e32 v3, v7, v3
	buffer_store_dword v3, off, s[0:3], s33 offset:244 ; 4-byte Folded Spill
.LBB6_1790:                             ;   in Loop: Header=BB6_128 Depth=2
	s_or_b64 exec, exec, s[90:91]
                                        ; implicit-def: $vgpr3
.LBB6_1791:                             ;   in Loop: Header=BB6_128 Depth=2
	s_andn2_saveexec_b64 s[20:21], s[88:89]
	s_cbranch_execz .LBB6_1793
; %bb.1792:                             ;   in Loop: Header=BB6_128 Depth=2
	v_or_b32_e32 v3, 0x7e, v3
	buffer_store_dword v3, off, s[0:3], s33 offset:244 ; 4-byte Folded Spill
.LBB6_1793:                             ;   in Loop: Header=BB6_128 Depth=2
	s_or_b64 exec, exec, s[20:21]
                                        ; implicit-def: $vgpr7
.LBB6_1794:                             ;   in Loop: Header=BB6_128 Depth=2
	s_andn2_saveexec_b64 s[20:21], s[78:79]
	s_cbranch_execz .LBB6_1796
; %bb.1795:                             ;   in Loop: Header=BB6_128 Depth=2
	v_or_b32_sdwa v3, v7, s51 dst_sel:DWORD dst_unused:UNUSED_PAD src0_sel:BYTE_3 src1_sel:DWORD
	buffer_store_dword v3, off, s[0:3], s33 offset:244 ; 4-byte Folded Spill
.LBB6_1796:                             ;   in Loop: Header=BB6_128 Depth=2
	s_or_b64 exec, exec, s[20:21]
	v_lshrrev_b16_e32 v22, 8, v0
	v_cmp_ne_u16_e32 vcc, 0, v22
	v_mov_b32_e32 v3, 0
	v_mov_b32_e32 v7, 0
	s_and_saveexec_b64 s[20:21], vcc
	s_cbranch_execz .LBB6_1802
; %bb.1797:                             ;   in Loop: Header=BB6_128 Depth=2
	v_cmp_ne_u16_e32 vcc, s53, v22
	v_bfrev_b32_e32 v7, 1
	s_and_saveexec_b64 s[78:79], vcc
	s_cbranch_execz .LBB6_1801
; %bb.1798:                             ;   in Loop: Header=BB6_128 Depth=2
	v_and_b32_e32 v23, 0x7f, v22
	v_cmp_ne_u32_e32 vcc, s51, v23
	v_mov_b32_e32 v7, 0x7f800001
	s_and_saveexec_b64 s[88:89], vcc
	s_cbranch_execz .LBB6_1800
; %bb.1799:                             ;   in Loop: Header=BB6_128 Depth=2
	v_and_b32_e32 v7, 7, v22
	v_lshrrev_b32_e32 v27, 3, v23
	v_cmp_gt_u32_e32 vcc, 8, v23
	v_ffbh_u32_e32 v23, v7
	v_min_u32_e32 v30, 32, v23
	v_subrev_u32_e32 v23, 28, v30
	v_lshlrev_b64 v[22:23], v23, v[22:23]
	v_sub_u32_e32 v23, 29, v30
	v_and_b32_e32 v22, 7, v22
	v_cndmask_b32_e32 v23, v27, v23, vcc
	v_cndmask_b32_e32 v7, v7, v22, vcc
	v_lshlrev_b32_e32 v0, 16, v0
	v_bfrev_b32_e32 v1, 60
	v_lshlrev_b32_e32 v7, 20, v7
	v_and_b32_e32 v0, 0x80000000, v0
	v_lshl_add_u32 v22, v23, 23, v1
	v_or3_b32 v7, v0, v22, v7
.LBB6_1800:                             ;   in Loop: Header=BB6_128 Depth=2
	s_or_b64 exec, exec, s[88:89]
.LBB6_1801:                             ;   in Loop: Header=BB6_128 Depth=2
	s_or_b64 exec, exec, s[78:79]
.LBB6_1802:                             ;   in Loop: Header=BB6_128 Depth=2
	s_or_b64 exec, exec, s[20:21]
	v_lshrrev_b16_e32 v22, 8, v24
	v_cmp_ne_u16_e32 vcc, 0, v22
	s_and_saveexec_b64 s[20:21], vcc
	s_cbranch_execz .LBB6_1808
; %bb.1803:                             ;   in Loop: Header=BB6_128 Depth=2
	v_cmp_ne_u16_e32 vcc, s53, v22
	v_bfrev_b32_e32 v3, 1
	s_and_saveexec_b64 s[78:79], vcc
	s_cbranch_execz .LBB6_1807
; %bb.1804:                             ;   in Loop: Header=BB6_128 Depth=2
	v_and_b32_e32 v0, 0x7f, v22
	v_cmp_ne_u32_e32 vcc, s51, v0
	v_mov_b32_e32 v3, 0x7f800001
	s_and_saveexec_b64 s[88:89], vcc
	s_cbranch_execz .LBB6_1806
; %bb.1805:                             ;   in Loop: Header=BB6_128 Depth=2
	v_and_b32_e32 v3, 7, v22
	v_lshrrev_b32_e32 v27, 3, v0
	v_cmp_gt_u32_e32 vcc, 8, v0
	v_ffbh_u32_e32 v0, v3
	v_min_u32_e32 v0, 32, v0
	v_subrev_u32_e32 v23, 28, v0
	v_lshlrev_b64 v[22:23], v23, v[22:23]
	v_sub_u32_e32 v0, 29, v0
	v_and_b32_e32 v22, 7, v22
	v_cndmask_b32_e32 v0, v27, v0, vcc
	v_cndmask_b32_e32 v3, v3, v22, vcc
	v_lshlrev_b32_e32 v22, 16, v24
	v_bfrev_b32_e32 v1, 60
	v_lshlrev_b32_e32 v3, 20, v3
	v_and_b32_e32 v22, 0x80000000, v22
	v_lshl_add_u32 v0, v0, 23, v1
	v_or3_b32 v3, v22, v0, v3
.LBB6_1806:                             ;   in Loop: Header=BB6_128 Depth=2
	s_or_b64 exec, exec, s[88:89]
.LBB6_1807:                             ;   in Loop: Header=BB6_128 Depth=2
	s_or_b64 exec, exec, s[78:79]
.LBB6_1808:                             ;   in Loop: Header=BB6_128 Depth=2
	s_or_b64 exec, exec, s[20:21]
	v_add_f32_e32 v3, v7, v3
	v_and_b32_e32 v22, 0x7f800000, v3
	v_mov_b32_e32 v23, v53
	v_cmp_ne_u64_e32 vcc, s[56:57], v[22:23]
                                        ; implicit-def: $vgpr0
                                        ; kill: killed $vgpr0
	s_and_saveexec_b64 s[20:21], vcc
	s_xor_b64 s[78:79], exec, s[20:21]
	s_cbranch_execz .LBB6_1822
; %bb.1809:                             ;   in Loop: Header=BB6_128 Depth=2
	v_and_b32_e32 v22, 0x7fffffff, v3
	v_mov_b32_e32 v23, v53
	v_cmp_gt_u64_e32 vcc, s[58:59], v[22:23]
	v_and_b32_sdwa v0, v3, s53 dst_sel:DWORD dst_unused:UNUSED_PAD src0_sel:BYTE_3 src1_sel:DWORD
                                        ; implicit-def: $vgpr1
                                        ; kill: killed $vgpr1
	s_and_saveexec_b64 s[20:21], vcc
	s_xor_b64 s[88:89], exec, s[20:21]
	s_cbranch_execz .LBB6_1819
; %bb.1810:                             ;   in Loop: Header=BB6_128 Depth=2
	v_mov_b32_e32 v1, 0
	v_cmp_ne_u32_e32 vcc, 0, v3
	buffer_store_dword v1, off, s[0:3], s33 offset:256 ; 4-byte Folded Spill
	s_and_saveexec_b64 s[90:91], vcc
	s_cbranch_execz .LBB6_1818
; %bb.1811:                             ;   in Loop: Header=BB6_128 Depth=2
	v_and_b32_e32 v22, 0x7fffff, v3
	v_bfe_u32 v3, v3, 23, 8
	v_cmp_gt_u32_e64 s[20:21], s54, v3
	v_sub_u32_e32 v7, 0x79, v3
	v_cmp_eq_u32_e32 vcc, 0, v3
	v_cndmask_b32_e64 v7, 0, v7, s[20:21]
	v_mov_b32_e32 v27, 0x78
	v_cndmask_b32_e32 v7, v7, v27, vcc
	v_add_u32_e32 v27, 20, v7
	v_or_b32_e32 v23, 0x800000, v22
	v_lshlrev_b64 v[32:33], v27, -1
	v_cndmask_b32_e32 v22, v23, v22, vcc
	v_mov_b32_e32 v23, v53
	v_add_u32_e32 v27, 19, v7
	v_bfi_b32 v32, v32, 0, v22
	v_lshlrev_b64 v[37:38], v27, 1
	v_lshrrev_b64 v[22:23], v7, v[22:23]
	v_bfi_b32 v33, v33, 0, 0
	v_cmp_eq_u64_e64 s[20:21], v[32:33], v[37:38]
	v_mov_b32_e32 v61, v23
	v_mov_b32_e32 v60, v22
	s_and_saveexec_b64 s[92:93], s[20:21]
; %bb.1812:                             ;   in Loop: Header=BB6_128 Depth=2
	v_bfe_u32 v23, v22, 20, 1
	v_add_co_u32_e64 v23, s[20:21], v22, v23
	v_add_co_u32_e64 v60, s[20:21], -1, v23
; %bb.1813:                             ;   in Loop: Header=BB6_128 Depth=2
	s_or_b64 exec, exec, s[92:93]
	v_add_u32_e32 v3, 0xffffff81, v3
	v_mov_b32_e32 v23, 0xffffff82
	v_cndmask_b32_e32 v3, v3, v23, vcc
	v_lshrrev_b32_e32 v23, 23, v22
	v_add3_u32 v27, v7, v3, v23
	v_add_u32_e32 v7, 6, v27
	v_and_b32_e32 v3, 0xfffff, v60
	v_add_u32_e32 v22, v3, v22
	v_mov_b32_e32 v23, v53
	v_cmp_ne_u32_e32 vcc, 0, v7
                                        ; implicit-def: $vgpr3
	s_and_saveexec_b64 s[20:21], vcc
	s_xor_b64 s[20:21], exec, s[20:21]
; %bb.1814:                             ;   in Loop: Header=BB6_128 Depth=2
	v_cmp_lt_u64_e32 vcc, s[60:61], v[22:23]
	v_add_u32_e32 v3, 7, v27
	v_cndmask_b32_e32 v3, v7, v3, vcc
	v_cndmask_b32_e64 v7, 0, 1, vcc
	v_lshrrev_b64 v[22:23], v7, v[22:23]
; %bb.1815:                             ;   in Loop: Header=BB6_128 Depth=2
	s_andn2_saveexec_b64 s[20:21], s[20:21]
; %bb.1816:                             ;   in Loop: Header=BB6_128 Depth=2
	v_bfe_u32 v3, v22, 23, 1
; %bb.1817:                             ;   in Loop: Header=BB6_128 Depth=2
	s_or_b64 exec, exec, s[20:21]
	v_lshrrev_b64 v[22:23], 20, v[22:23]
	v_cmp_gt_i32_e32 vcc, 16, v3
	v_cndmask_b32_e32 v23, 0, v23, vcc
	v_cndmask_b32_e32 v22, 7, v22, vcc
	v_cmp_eq_u32_e32 vcc, 0, v3
	v_min_i32_e32 v3, 15, v3
	v_cmp_eq_u64_e64 s[20:21], 0, v[22:23]
	v_lshlrev_b32_e32 v3, 3, v3
	v_and_b32_e32 v3, 0xf8, v3
	v_and_or_b32 v3, v22, 7, v3
	s_and_b64 s[20:21], vcc, s[20:21]
	v_cndmask_b32_e64 v3, v3, 0, s[20:21]
	v_or_b32_e32 v0, v3, v0
	buffer_store_dword v0, off, s[0:3], s33 offset:256 ; 4-byte Folded Spill
.LBB6_1818:                             ;   in Loop: Header=BB6_128 Depth=2
	s_or_b64 exec, exec, s[90:91]
                                        ; implicit-def: $vgpr0
.LBB6_1819:                             ;   in Loop: Header=BB6_128 Depth=2
	s_andn2_saveexec_b64 s[20:21], s[88:89]
	s_cbranch_execz .LBB6_1821
; %bb.1820:                             ;   in Loop: Header=BB6_128 Depth=2
	v_or_b32_e32 v0, 0x7e, v0
	buffer_store_dword v0, off, s[0:3], s33 offset:256 ; 4-byte Folded Spill
.LBB6_1821:                             ;   in Loop: Header=BB6_128 Depth=2
	s_or_b64 exec, exec, s[20:21]
                                        ; implicit-def: $vgpr3
.LBB6_1822:                             ;   in Loop: Header=BB6_128 Depth=2
	s_andn2_saveexec_b64 s[20:21], s[78:79]
	s_cbranch_execz .LBB6_1824
; %bb.1823:                             ;   in Loop: Header=BB6_128 Depth=2
	v_or_b32_sdwa v0, v3, s51 dst_sel:DWORD dst_unused:UNUSED_PAD src0_sel:BYTE_3 src1_sel:DWORD
	buffer_store_dword v0, off, s[0:3], s33 offset:256 ; 4-byte Folded Spill
.LBB6_1824:                             ;   in Loop: Header=BB6_128 Depth=2
	s_or_b64 exec, exec, s[20:21]
	v_lshrrev_b32_e32 v22, 16, v52
	v_cmp_ne_u16_sdwa s[78:79], v22, v53 src0_sel:BYTE_0 src1_sel:DWORD
	v_mov_b32_e32 v0, 0
	v_mov_b32_e32 v3, 0
	s_and_saveexec_b64 s[20:21], s[78:79]
	s_cbranch_execz .LBB6_1830
; %bb.1825:                             ;   in Loop: Header=BB6_128 Depth=2
	v_cmp_ne_u16_sdwa s[88:89], v22, s53 src0_sel:BYTE_0 src1_sel:DWORD
	v_bfrev_b32_e32 v3, 1
	s_and_saveexec_b64 s[78:79], s[88:89]
	s_cbranch_execz .LBB6_1829
; %bb.1826:                             ;   in Loop: Header=BB6_128 Depth=2
	v_bfe_u32 v7, v52, 16, 7
	v_cmp_ne_u32_e32 vcc, s51, v7
	v_mov_b32_e32 v3, 0x7f800001
	s_and_saveexec_b64 s[88:89], vcc
	s_cbranch_execz .LBB6_1828
; %bb.1827:                             ;   in Loop: Header=BB6_128 Depth=2
	v_and_b32_e32 v3, 7, v22
	v_lshrrev_b32_e32 v23, 3, v7
	v_cmp_gt_u32_e32 vcc, 8, v7
	v_ffbh_u32_e32 v7, v3
	v_min_u32_e32 v7, 32, v7
	v_subrev_u32_e32 v27, 28, v7
	v_lshlrev_b64 v[32:33], v27, v[22:23]
	v_sub_u32_e32 v7, 29, v7
	v_and_b32_e32 v27, 7, v32
	v_cndmask_b32_e32 v7, v23, v7, vcc
	v_cndmask_b32_e32 v3, v3, v27, vcc
	v_lshlrev_b32_e32 v22, 24, v22
	v_bfrev_b32_e32 v1, 60
	v_lshlrev_b32_e32 v3, 20, v3
	v_and_b32_e32 v22, 0x80000000, v22
	v_lshl_add_u32 v7, v7, 23, v1
	v_or3_b32 v3, v22, v7, v3
.LBB6_1828:                             ;   in Loop: Header=BB6_128 Depth=2
	s_or_b64 exec, exec, s[88:89]
.LBB6_1829:                             ;   in Loop: Header=BB6_128 Depth=2
	s_or_b64 exec, exec, s[78:79]
.LBB6_1830:                             ;   in Loop: Header=BB6_128 Depth=2
	s_or_b64 exec, exec, s[20:21]
	v_lshrrev_b32_e32 v22, 16, v24
	v_cmp_ne_u16_sdwa s[78:79], v22, v53 src0_sel:BYTE_0 src1_sel:DWORD
	s_and_saveexec_b64 s[20:21], s[78:79]
	s_cbranch_execz .LBB6_1836
; %bb.1831:                             ;   in Loop: Header=BB6_128 Depth=2
	v_cmp_ne_u16_sdwa s[88:89], v22, s53 src0_sel:BYTE_0 src1_sel:DWORD
	v_bfrev_b32_e32 v0, 1
	s_and_saveexec_b64 s[78:79], s[88:89]
	s_cbranch_execz .LBB6_1835
; %bb.1832:                             ;   in Loop: Header=BB6_128 Depth=2
	v_bfe_u32 v7, v24, 16, 7
	v_cmp_ne_u32_e32 vcc, s51, v7
	v_mov_b32_e32 v0, 0x7f800001
	s_and_saveexec_b64 s[88:89], vcc
	s_cbranch_execz .LBB6_1834
; %bb.1833:                             ;   in Loop: Header=BB6_128 Depth=2
	v_and_b32_e32 v0, 7, v22
	v_lshrrev_b32_e32 v27, 3, v7
	v_cmp_gt_u32_e32 vcc, 8, v7
	v_ffbh_u32_e32 v7, v0
	v_min_u32_e32 v7, 32, v7
	v_subrev_u32_e32 v23, 28, v7
	v_lshlrev_b64 v[22:23], v23, v[22:23]
	v_sub_u32_e32 v7, 29, v7
	v_and_b32_e32 v22, 7, v22
	v_cndmask_b32_e32 v7, v27, v7, vcc
	v_cndmask_b32_e32 v0, v0, v22, vcc
	v_lshlrev_b32_e32 v22, 8, v24
	v_bfrev_b32_e32 v1, 60
	v_lshlrev_b32_e32 v0, 20, v0
	v_and_b32_e32 v22, 0x80000000, v22
	v_lshl_add_u32 v7, v7, 23, v1
	v_or3_b32 v0, v22, v7, v0
.LBB6_1834:                             ;   in Loop: Header=BB6_128 Depth=2
	s_or_b64 exec, exec, s[88:89]
.LBB6_1835:                             ;   in Loop: Header=BB6_128 Depth=2
	s_or_b64 exec, exec, s[78:79]
.LBB6_1836:                             ;   in Loop: Header=BB6_128 Depth=2
	s_or_b64 exec, exec, s[20:21]
	v_add_f32_e32 v3, v3, v0
	v_and_b32_e32 v22, 0x7f800000, v3
	v_mov_b32_e32 v23, v53
	v_cmp_ne_u64_e32 vcc, s[56:57], v[22:23]
                                        ; implicit-def: $vgpr0
                                        ; kill: killed $vgpr0
	s_and_saveexec_b64 s[20:21], vcc
	s_xor_b64 s[78:79], exec, s[20:21]
	s_cbranch_execz .LBB6_1850
; %bb.1837:                             ;   in Loop: Header=BB6_128 Depth=2
	v_and_b32_e32 v22, 0x7fffffff, v3
	v_mov_b32_e32 v23, v53
	v_cmp_gt_u64_e32 vcc, s[58:59], v[22:23]
	v_and_b32_sdwa v0, v3, s53 dst_sel:DWORD dst_unused:UNUSED_PAD src0_sel:BYTE_3 src1_sel:DWORD
                                        ; implicit-def: $vgpr1
                                        ; kill: killed $vgpr1
	s_and_saveexec_b64 s[20:21], vcc
	s_xor_b64 s[88:89], exec, s[20:21]
	s_cbranch_execz .LBB6_1847
; %bb.1838:                             ;   in Loop: Header=BB6_128 Depth=2
	v_mov_b32_e32 v1, 0
	v_cmp_ne_u32_e32 vcc, 0, v3
	buffer_store_dword v1, off, s[0:3], s33 offset:280 ; 4-byte Folded Spill
	s_and_saveexec_b64 s[90:91], vcc
	s_cbranch_execz .LBB6_1846
; %bb.1839:                             ;   in Loop: Header=BB6_128 Depth=2
	v_and_b32_e32 v22, 0x7fffff, v3
	v_bfe_u32 v3, v3, 23, 8
	v_cmp_gt_u32_e64 s[20:21], s54, v3
	v_sub_u32_e32 v7, 0x79, v3
	v_cmp_eq_u32_e32 vcc, 0, v3
	v_cndmask_b32_e64 v7, 0, v7, s[20:21]
	v_mov_b32_e32 v27, 0x78
	v_cndmask_b32_e32 v7, v7, v27, vcc
	v_add_u32_e32 v27, 20, v7
	v_or_b32_e32 v23, 0x800000, v22
	v_lshlrev_b64 v[32:33], v27, -1
	v_cndmask_b32_e32 v22, v23, v22, vcc
	v_mov_b32_e32 v23, v53
	v_add_u32_e32 v27, 19, v7
	v_bfi_b32 v32, v32, 0, v22
	v_lshlrev_b64 v[37:38], v27, 1
	v_lshrrev_b64 v[22:23], v7, v[22:23]
	v_bfi_b32 v33, v33, 0, 0
	v_cmp_eq_u64_e64 s[20:21], v[32:33], v[37:38]
	v_mov_b32_e32 v61, v23
	v_mov_b32_e32 v60, v22
	s_and_saveexec_b64 s[92:93], s[20:21]
; %bb.1840:                             ;   in Loop: Header=BB6_128 Depth=2
	v_bfe_u32 v23, v22, 20, 1
	v_add_co_u32_e64 v23, s[20:21], v22, v23
	v_add_co_u32_e64 v60, s[20:21], -1, v23
; %bb.1841:                             ;   in Loop: Header=BB6_128 Depth=2
	s_or_b64 exec, exec, s[92:93]
	v_add_u32_e32 v3, 0xffffff81, v3
	v_mov_b32_e32 v23, 0xffffff82
	v_cndmask_b32_e32 v3, v3, v23, vcc
	v_lshrrev_b32_e32 v23, 23, v22
	v_add3_u32 v27, v7, v3, v23
	v_add_u32_e32 v7, 6, v27
	v_and_b32_e32 v3, 0xfffff, v60
	v_add_u32_e32 v22, v3, v22
	v_mov_b32_e32 v23, v53
	v_cmp_ne_u32_e32 vcc, 0, v7
                                        ; implicit-def: $vgpr3
	s_and_saveexec_b64 s[20:21], vcc
	s_xor_b64 s[20:21], exec, s[20:21]
; %bb.1842:                             ;   in Loop: Header=BB6_128 Depth=2
	v_cmp_lt_u64_e32 vcc, s[60:61], v[22:23]
	v_add_u32_e32 v3, 7, v27
	v_cndmask_b32_e32 v3, v7, v3, vcc
	v_cndmask_b32_e64 v7, 0, 1, vcc
	v_lshrrev_b64 v[22:23], v7, v[22:23]
; %bb.1843:                             ;   in Loop: Header=BB6_128 Depth=2
	s_andn2_saveexec_b64 s[20:21], s[20:21]
; %bb.1844:                             ;   in Loop: Header=BB6_128 Depth=2
	v_bfe_u32 v3, v22, 23, 1
; %bb.1845:                             ;   in Loop: Header=BB6_128 Depth=2
	s_or_b64 exec, exec, s[20:21]
	v_lshrrev_b64 v[22:23], 20, v[22:23]
	v_cmp_gt_i32_e32 vcc, 16, v3
	v_cndmask_b32_e32 v23, 0, v23, vcc
	v_cndmask_b32_e32 v22, 7, v22, vcc
	v_cmp_eq_u32_e32 vcc, 0, v3
	v_min_i32_e32 v3, 15, v3
	v_cmp_eq_u64_e64 s[20:21], 0, v[22:23]
	v_lshlrev_b32_e32 v3, 3, v3
	v_and_b32_e32 v3, 0xf8, v3
	v_and_or_b32 v3, v22, 7, v3
	s_and_b64 s[20:21], vcc, s[20:21]
	v_cndmask_b32_e64 v3, v3, 0, s[20:21]
	v_or_b32_e32 v0, v3, v0
	buffer_store_dword v0, off, s[0:3], s33 offset:280 ; 4-byte Folded Spill
.LBB6_1846:                             ;   in Loop: Header=BB6_128 Depth=2
	s_or_b64 exec, exec, s[90:91]
                                        ; implicit-def: $vgpr0
.LBB6_1847:                             ;   in Loop: Header=BB6_128 Depth=2
	s_andn2_saveexec_b64 s[20:21], s[88:89]
	s_cbranch_execz .LBB6_1849
; %bb.1848:                             ;   in Loop: Header=BB6_128 Depth=2
	v_or_b32_e32 v0, 0x7e, v0
	buffer_store_dword v0, off, s[0:3], s33 offset:280 ; 4-byte Folded Spill
.LBB6_1849:                             ;   in Loop: Header=BB6_128 Depth=2
	s_or_b64 exec, exec, s[20:21]
                                        ; implicit-def: $vgpr3
.LBB6_1850:                             ;   in Loop: Header=BB6_128 Depth=2
	s_andn2_saveexec_b64 s[20:21], s[78:79]
	s_cbranch_execz .LBB6_1852
; %bb.1851:                             ;   in Loop: Header=BB6_128 Depth=2
	v_or_b32_sdwa v0, v3, s51 dst_sel:DWORD dst_unused:UNUSED_PAD src0_sel:BYTE_3 src1_sel:DWORD
	buffer_store_dword v0, off, s[0:3], s33 offset:280 ; 4-byte Folded Spill
.LBB6_1852:                             ;   in Loop: Header=BB6_128 Depth=2
	s_or_b64 exec, exec, s[20:21]
	v_cmp_lt_u32_e32 vcc, s63, v52
	v_mov_b32_e32 v0, 0
	v_mov_b32_e32 v3, 0
	s_and_saveexec_b64 s[20:21], vcc
	s_cbranch_execz .LBB6_1858
; %bb.1853:                             ;   in Loop: Header=BB6_128 Depth=2
	v_lshrrev_b32_e32 v22, 24, v52
	v_cmp_ne_u32_sdwa s[88:89], v52, s53 src0_sel:BYTE_3 src1_sel:DWORD
	v_bfrev_b32_e32 v3, 1
	s_and_saveexec_b64 s[78:79], s[88:89]
	s_cbranch_execz .LBB6_1857
; %bb.1854:                             ;   in Loop: Header=BB6_128 Depth=2
	v_bfe_u32 v7, v52, 24, 7
	v_cmp_ne_u32_e32 vcc, s51, v7
	v_mov_b32_e32 v3, 0x7f800001
	s_and_saveexec_b64 s[88:89], vcc
	s_cbranch_execz .LBB6_1856
; %bb.1855:                             ;   in Loop: Header=BB6_128 Depth=2
	v_and_b32_e32 v3, 7, v22
	v_lshrrev_b32_e32 v27, 3, v7
	v_cmp_gt_u32_e32 vcc, 8, v7
	v_ffbh_u32_e32 v7, v3
	v_min_u32_e32 v7, 32, v7
	v_subrev_u32_e32 v23, 28, v7
	v_lshlrev_b64 v[22:23], v23, v[22:23]
	v_sub_u32_e32 v7, 29, v7
	v_and_b32_e32 v22, 7, v22
	v_cndmask_b32_e32 v3, v3, v22, vcc
	v_mov_b32_e32 v22, 24
	v_cndmask_b32_e32 v7, v27, v7, vcc
	v_lshlrev_b32_sdwa v22, v22, v52 dst_sel:DWORD dst_unused:UNUSED_PAD src0_sel:DWORD src1_sel:BYTE_3
	v_bfrev_b32_e32 v1, 60
	v_lshlrev_b32_e32 v3, 20, v3
	v_and_b32_e32 v22, 0x80000000, v22
	v_lshl_add_u32 v7, v7, 23, v1
	v_or3_b32 v3, v22, v7, v3
.LBB6_1856:                             ;   in Loop: Header=BB6_128 Depth=2
	s_or_b64 exec, exec, s[88:89]
.LBB6_1857:                             ;   in Loop: Header=BB6_128 Depth=2
	s_or_b64 exec, exec, s[78:79]
.LBB6_1858:                             ;   in Loop: Header=BB6_128 Depth=2
	s_or_b64 exec, exec, s[20:21]
	v_cmp_lt_u32_e32 vcc, s63, v24
	s_and_saveexec_b64 s[20:21], vcc
	s_cbranch_execz .LBB6_1864
; %bb.1859:                             ;   in Loop: Header=BB6_128 Depth=2
	v_lshrrev_b32_e32 v22, 24, v24
	v_cmp_ne_u32_e32 vcc, s53, v22
	v_bfrev_b32_e32 v0, 1
	s_and_saveexec_b64 s[78:79], vcc
	s_cbranch_execz .LBB6_1863
; %bb.1860:                             ;   in Loop: Header=BB6_128 Depth=2
	v_bfe_u32 v7, v24, 24, 7
	v_cmp_ne_u32_e32 vcc, s51, v7
	v_mov_b32_e32 v0, 0x7f800001
	s_and_saveexec_b64 s[88:89], vcc
	s_cbranch_execz .LBB6_1862
; %bb.1861:                             ;   in Loop: Header=BB6_128 Depth=2
	v_and_b32_e32 v0, 7, v22
	v_lshrrev_b32_e32 v23, 3, v7
	v_cmp_gt_u32_e32 vcc, 8, v7
	v_ffbh_u32_e32 v7, v0
	v_min_u32_e32 v7, 32, v7
	v_subrev_u32_e32 v27, 28, v7
	v_lshlrev_b64 v[32:33], v27, v[22:23]
	v_sub_u32_e32 v7, 29, v7
	v_and_b32_e32 v27, 7, v32
	v_cndmask_b32_e32 v7, v23, v7, vcc
	v_cndmask_b32_e32 v0, v0, v27, vcc
	v_lshlrev_b32_e32 v22, 24, v22
	v_bfrev_b32_e32 v1, 60
	v_lshlrev_b32_e32 v0, 20, v0
	v_and_b32_e32 v22, 0x80000000, v22
	v_lshl_add_u32 v7, v7, 23, v1
	v_or3_b32 v0, v22, v7, v0
.LBB6_1862:                             ;   in Loop: Header=BB6_128 Depth=2
	s_or_b64 exec, exec, s[88:89]
.LBB6_1863:                             ;   in Loop: Header=BB6_128 Depth=2
	s_or_b64 exec, exec, s[78:79]
.LBB6_1864:                             ;   in Loop: Header=BB6_128 Depth=2
	s_or_b64 exec, exec, s[20:21]
	v_add_f32_e32 v3, v3, v0
	v_and_b32_e32 v52, 0x7f800000, v3
	v_cmp_ne_u64_e32 vcc, s[56:57], v[52:53]
                                        ; implicit-def: $vgpr0
                                        ; kill: killed $vgpr0
	s_and_saveexec_b64 s[20:21], vcc
	s_xor_b64 s[78:79], exec, s[20:21]
	s_cbranch_execz .LBB6_1878
; %bb.1865:                             ;   in Loop: Header=BB6_128 Depth=2
	v_and_b32_e32 v52, 0x7fffffff, v3
	v_cmp_gt_u64_e32 vcc, s[58:59], v[52:53]
	v_and_b32_sdwa v0, v3, s53 dst_sel:DWORD dst_unused:UNUSED_PAD src0_sel:BYTE_3 src1_sel:DWORD
                                        ; implicit-def: $vgpr1
                                        ; kill: killed $vgpr1
	s_and_saveexec_b64 s[20:21], vcc
	s_xor_b64 s[88:89], exec, s[20:21]
	s_cbranch_execz .LBB6_1875
; %bb.1866:                             ;   in Loop: Header=BB6_128 Depth=2
	v_mov_b32_e32 v1, 0
	v_cmp_ne_u32_e32 vcc, 0, v3
	buffer_store_dword v1, off, s[0:3], s33 offset:296 ; 4-byte Folded Spill
	s_and_saveexec_b64 s[90:91], vcc
	s_cbranch_execz .LBB6_1874
; %bb.1867:                             ;   in Loop: Header=BB6_128 Depth=2
	v_and_b32_e32 v22, 0x7fffff, v3
	v_bfe_u32 v3, v3, 23, 8
	v_cmp_gt_u32_e64 s[20:21], s54, v3
	v_sub_u32_e32 v7, 0x79, v3
	v_cmp_eq_u32_e32 vcc, 0, v3
	v_cndmask_b32_e64 v7, 0, v7, s[20:21]
	v_mov_b32_e32 v27, 0x78
	v_or_b32_e32 v23, 0x800000, v22
	v_cndmask_b32_e32 v7, v7, v27, vcc
	v_cndmask_b32_e32 v52, v23, v22, vcc
	v_add_u32_e32 v22, 20, v7
	v_lshlrev_b64 v[22:23], v22, -1
	v_add_u32_e32 v27, 19, v7
	v_lshlrev_b64 v[32:33], v27, 1
	v_bfi_b32 v23, v23, 0, 0
	v_bfi_b32 v22, v22, 0, v52
	v_cmp_eq_u64_e64 s[20:21], v[22:23], v[32:33]
	v_lshrrev_b64 v[22:23], v7, v[52:53]
	v_mov_b32_e32 v61, v23
	v_mov_b32_e32 v60, v22
	s_and_saveexec_b64 s[92:93], s[20:21]
; %bb.1868:                             ;   in Loop: Header=BB6_128 Depth=2
	v_bfe_u32 v23, v22, 20, 1
	v_add_co_u32_e64 v23, s[20:21], v22, v23
	v_add_co_u32_e64 v60, s[20:21], -1, v23
; %bb.1869:                             ;   in Loop: Header=BB6_128 Depth=2
	s_or_b64 exec, exec, s[92:93]
	v_add_u32_e32 v3, 0xffffff81, v3
	v_mov_b32_e32 v23, 0xffffff82
	v_cndmask_b32_e32 v3, v3, v23, vcc
	v_lshrrev_b32_e32 v23, 23, v22
	v_add3_u32 v27, v7, v3, v23
	v_add_u32_e32 v7, 6, v27
	v_and_b32_e32 v3, 0xfffff, v60
	v_add_u32_e32 v52, v3, v22
	v_cmp_ne_u32_e32 vcc, 0, v7
                                        ; implicit-def: $vgpr22_vgpr23
                                        ; implicit-def: $vgpr3
	s_and_saveexec_b64 s[20:21], vcc
	s_xor_b64 s[20:21], exec, s[20:21]
; %bb.1870:                             ;   in Loop: Header=BB6_128 Depth=2
	v_cmp_lt_u64_e32 vcc, s[60:61], v[52:53]
	v_add_u32_e32 v3, 7, v27
	v_cndmask_b32_e32 v3, v7, v3, vcc
	v_cndmask_b32_e64 v7, 0, 1, vcc
	v_lshrrev_b64 v[22:23], v7, v[52:53]
; %bb.1871:                             ;   in Loop: Header=BB6_128 Depth=2
	s_andn2_saveexec_b64 s[20:21], s[20:21]
; %bb.1872:                             ;   in Loop: Header=BB6_128 Depth=2
	v_mov_b32_e32 v22, v52
	v_bfe_u32 v3, v52, 23, 1
	v_mov_b32_e32 v23, v53
; %bb.1873:                             ;   in Loop: Header=BB6_128 Depth=2
	s_or_b64 exec, exec, s[20:21]
	v_lshrrev_b64 v[22:23], 20, v[22:23]
	v_cmp_gt_i32_e32 vcc, 16, v3
	v_cndmask_b32_e32 v23, 0, v23, vcc
	v_cndmask_b32_e32 v22, 7, v22, vcc
	v_cmp_eq_u32_e32 vcc, 0, v3
	v_min_i32_e32 v3, 15, v3
	v_cmp_eq_u64_e64 s[20:21], 0, v[22:23]
	v_lshlrev_b32_e32 v3, 3, v3
	v_and_b32_e32 v3, 0xf8, v3
	v_and_or_b32 v3, v22, 7, v3
	s_and_b64 s[20:21], vcc, s[20:21]
	v_cndmask_b32_e64 v3, v3, 0, s[20:21]
	v_or_b32_e32 v0, v3, v0
	buffer_store_dword v0, off, s[0:3], s33 offset:296 ; 4-byte Folded Spill
.LBB6_1874:                             ;   in Loop: Header=BB6_128 Depth=2
	s_or_b64 exec, exec, s[90:91]
                                        ; implicit-def: $vgpr0
.LBB6_1875:                             ;   in Loop: Header=BB6_128 Depth=2
	s_andn2_saveexec_b64 s[20:21], s[88:89]
	s_cbranch_execz .LBB6_1877
; %bb.1876:                             ;   in Loop: Header=BB6_128 Depth=2
	v_or_b32_e32 v0, 0x7e, v0
	buffer_store_dword v0, off, s[0:3], s33 offset:296 ; 4-byte Folded Spill
.LBB6_1877:                             ;   in Loop: Header=BB6_128 Depth=2
	s_or_b64 exec, exec, s[20:21]
                                        ; implicit-def: $vgpr3
.LBB6_1878:                             ;   in Loop: Header=BB6_128 Depth=2
	s_andn2_saveexec_b64 s[20:21], s[78:79]
	s_cbranch_execz .LBB6_1880
; %bb.1879:                             ;   in Loop: Header=BB6_128 Depth=2
	v_or_b32_sdwa v0, v3, s51 dst_sel:DWORD dst_unused:UNUSED_PAD src0_sel:BYTE_3 src1_sel:DWORD
	buffer_store_dword v0, off, s[0:3], s33 offset:296 ; 4-byte Folded Spill
.LBB6_1880:                             ;   in Loop: Header=BB6_128 Depth=2
	s_or_b64 exec, exec, s[20:21]
	buffer_load_dword v0, off, s[0:3], s33 offset:284 ; 4-byte Folded Reload
	v_lshlrev_b32_e32 v3, 24, v8
	v_lshlrev_b32_e32 v7, 16, v28
	v_cmp_ne_u32_e32 vcc, 0, v34
	s_waitcnt vmcnt(0)
	v_lshl_or_b32 v0, v0, 8, v34
	v_or3_b32 v52, v7, v3, v0
	v_mov_b32_e32 v7, 0
	v_mov_b32_e32 v3, 0
	s_and_saveexec_b64 s[20:21], vcc
	s_cbranch_execz .LBB6_1886
; %bb.1881:                             ;   in Loop: Header=BB6_128 Depth=2
	v_cmp_ne_u32_e32 vcc, s53, v34
	v_bfrev_b32_e32 v3, 1
	s_and_saveexec_b64 s[78:79], vcc
	s_cbranch_execz .LBB6_1885
; %bb.1882:                             ;   in Loop: Header=BB6_128 Depth=2
	v_and_b32_e32 v8, 0x7f, v34
	v_cmp_ne_u32_e32 vcc, s51, v8
	v_mov_b32_e32 v3, 0x7f800001
	s_and_saveexec_b64 s[88:89], vcc
	s_cbranch_execz .LBB6_1884
; %bb.1883:                             ;   in Loop: Header=BB6_128 Depth=2
	v_and_b32_e32 v3, 7, v34
	v_ffbh_u32_e32 v3, v3
	v_min_u32_e32 v3, 32, v3
	v_lshrrev_b32_e32 v22, 3, v8
	v_cmp_gt_u32_e32 vcc, 8, v8
	v_subrev_u32_e32 v8, 28, v3
	v_sub_u32_e32 v3, 29, v3
	v_cndmask_b32_e32 v8, 0, v8, vcc
	v_cndmask_b32_e32 v3, v22, v3, vcc
	v_lshlrev_b64 v[22:23], v8, v[52:53]
	v_bfrev_b32_e32 v1, 60
	v_lshlrev_b32_e32 v8, 20, v22
	v_lshlrev_b32_e32 v22, 24, v52
	v_and_b32_e32 v8, 0x700000, v8
	v_and_b32_e32 v22, 0x80000000, v22
	v_lshl_add_u32 v3, v3, 23, v1
	v_or3_b32 v3, v22, v3, v8
.LBB6_1884:                             ;   in Loop: Header=BB6_128 Depth=2
	s_or_b64 exec, exec, s[88:89]
.LBB6_1885:                             ;   in Loop: Header=BB6_128 Depth=2
	s_or_b64 exec, exec, s[78:79]
.LBB6_1886:                             ;   in Loop: Header=BB6_128 Depth=2
	s_or_b64 exec, exec, s[20:21]
	v_cmp_ne_u16_sdwa s[78:79], v25, v53 src0_sel:BYTE_0 src1_sel:DWORD
	s_and_saveexec_b64 s[20:21], s[78:79]
	s_cbranch_execz .LBB6_1892
; %bb.1887:                             ;   in Loop: Header=BB6_128 Depth=2
	v_cmp_ne_u16_sdwa s[88:89], v25, s53 src0_sel:BYTE_0 src1_sel:DWORD
	v_bfrev_b32_e32 v7, 1
	s_and_saveexec_b64 s[78:79], s[88:89]
	s_cbranch_execz .LBB6_1891
; %bb.1888:                             ;   in Loop: Header=BB6_128 Depth=2
	v_and_b32_e32 v8, 0x7f, v25
	v_cmp_ne_u32_e32 vcc, s51, v8
	v_mov_b32_e32 v7, 0x7f800001
	s_and_saveexec_b64 s[88:89], vcc
	s_cbranch_execz .LBB6_1890
; %bb.1889:                             ;   in Loop: Header=BB6_128 Depth=2
	v_and_b32_e32 v7, 7, v25
	v_ffbh_u32_e32 v7, v7
	v_min_u32_e32 v7, 32, v7
	v_lshrrev_b32_e32 v27, 3, v8
	v_cmp_gt_u32_e32 vcc, 8, v8
	v_subrev_u32_e32 v8, 28, v7
	v_sub_u32_e32 v7, 29, v7
	v_mov_b32_e32 v22, v25
	v_mov_b32_e32 v23, v53
	v_cndmask_b32_e32 v27, v27, v7, vcc
	v_cndmask_b32_e32 v7, 0, v8, vcc
	v_lshlrev_b64 v[7:8], v7, v[22:23]
	v_lshlrev_b32_e32 v8, 24, v22
	v_lshlrev_b32_e32 v7, 20, v7
	v_bfrev_b32_e32 v1, 60
	v_and_b32_e32 v7, 0x700000, v7
	v_and_b32_e32 v8, 0x80000000, v8
	v_lshl_add_u32 v22, v27, 23, v1
	v_or3_b32 v7, v8, v22, v7
.LBB6_1890:                             ;   in Loop: Header=BB6_128 Depth=2
	s_or_b64 exec, exec, s[88:89]
.LBB6_1891:                             ;   in Loop: Header=BB6_128 Depth=2
	s_or_b64 exec, exec, s[78:79]
.LBB6_1892:                             ;   in Loop: Header=BB6_128 Depth=2
	s_or_b64 exec, exec, s[20:21]
	v_add_f32_e32 v7, v3, v7
	v_and_b32_e32 v22, 0x7f800000, v7
	v_mov_b32_e32 v23, v53
	v_cmp_ne_u64_e32 vcc, s[56:57], v[22:23]
                                        ; implicit-def: $vgpr1
                                        ; kill: killed $vgpr1
	s_and_saveexec_b64 s[20:21], vcc
	s_xor_b64 s[78:79], exec, s[20:21]
	s_cbranch_execz .LBB6_1906
; %bb.1893:                             ;   in Loop: Header=BB6_128 Depth=2
	v_and_b32_e32 v22, 0x7fffffff, v7
	v_mov_b32_e32 v23, v53
	v_cmp_gt_u64_e32 vcc, s[58:59], v[22:23]
	v_and_b32_sdwa v3, v7, s53 dst_sel:DWORD dst_unused:UNUSED_PAD src0_sel:BYTE_3 src1_sel:DWORD
                                        ; implicit-def: $vgpr1
                                        ; kill: killed $vgpr1
	s_and_saveexec_b64 s[20:21], vcc
	s_xor_b64 s[88:89], exec, s[20:21]
	s_cbranch_execz .LBB6_1903
; %bb.1894:                             ;   in Loop: Header=BB6_128 Depth=2
	v_mov_b32_e32 v1, 0
	v_cmp_ne_u32_e32 vcc, 0, v7
	buffer_store_dword v1, off, s[0:3], s33 offset:284 ; 4-byte Folded Spill
	s_and_saveexec_b64 s[90:91], vcc
	s_cbranch_execz .LBB6_1902
; %bb.1895:                             ;   in Loop: Header=BB6_128 Depth=2
	v_and_b32_e32 v22, 0x7fffff, v7
	v_bfe_u32 v7, v7, 23, 8
	v_cmp_gt_u32_e64 s[20:21], s54, v7
	v_sub_u32_e32 v8, 0x79, v7
	v_cmp_eq_u32_e32 vcc, 0, v7
	v_cndmask_b32_e64 v8, 0, v8, s[20:21]
	v_mov_b32_e32 v27, 0x78
	v_cndmask_b32_e32 v8, v8, v27, vcc
	v_add_u32_e32 v27, 20, v8
	v_or_b32_e32 v23, 0x800000, v22
	v_lshlrev_b64 v[27:28], v27, -1
	v_cndmask_b32_e32 v22, v23, v22, vcc
	v_mov_b32_e32 v23, v53
	v_add_u32_e32 v30, 19, v8
	v_bfi_b32 v27, v27, 0, v22
	v_lshlrev_b64 v[32:33], v30, 1
	v_lshrrev_b64 v[22:23], v8, v[22:23]
	v_bfi_b32 v28, v28, 0, 0
	v_cmp_eq_u64_e64 s[20:21], v[27:28], v[32:33]
	v_mov_b32_e32 v61, v23
	v_mov_b32_e32 v60, v22
	s_and_saveexec_b64 s[92:93], s[20:21]
; %bb.1896:                             ;   in Loop: Header=BB6_128 Depth=2
	v_bfe_u32 v23, v22, 20, 1
	v_add_co_u32_e64 v23, s[20:21], v22, v23
	v_add_co_u32_e64 v60, s[20:21], -1, v23
; %bb.1897:                             ;   in Loop: Header=BB6_128 Depth=2
	s_or_b64 exec, exec, s[92:93]
	v_add_u32_e32 v7, 0xffffff81, v7
	v_mov_b32_e32 v23, 0xffffff82
	v_cndmask_b32_e32 v7, v7, v23, vcc
	v_lshrrev_b32_e32 v23, 23, v22
	v_add3_u32 v27, v8, v7, v23
	v_add_u32_e32 v8, 6, v27
	v_and_b32_e32 v7, 0xfffff, v60
	v_add_u32_e32 v22, v7, v22
	v_mov_b32_e32 v23, v53
	v_cmp_ne_u32_e32 vcc, 0, v8
                                        ; implicit-def: $vgpr7
	s_and_saveexec_b64 s[20:21], vcc
	s_xor_b64 s[20:21], exec, s[20:21]
; %bb.1898:                             ;   in Loop: Header=BB6_128 Depth=2
	v_cmp_lt_u64_e32 vcc, s[60:61], v[22:23]
	v_add_u32_e32 v7, 7, v27
	v_cndmask_b32_e32 v7, v8, v7, vcc
	v_cndmask_b32_e64 v8, 0, 1, vcc
	v_lshrrev_b64 v[22:23], v8, v[22:23]
; %bb.1899:                             ;   in Loop: Header=BB6_128 Depth=2
	s_andn2_saveexec_b64 s[20:21], s[20:21]
; %bb.1900:                             ;   in Loop: Header=BB6_128 Depth=2
	v_bfe_u32 v7, v22, 23, 1
; %bb.1901:                             ;   in Loop: Header=BB6_128 Depth=2
	s_or_b64 exec, exec, s[20:21]
	v_lshrrev_b64 v[22:23], 20, v[22:23]
	v_cmp_gt_i32_e32 vcc, 16, v7
	v_cndmask_b32_e32 v23, 0, v23, vcc
	v_cndmask_b32_e32 v22, 7, v22, vcc
	v_cmp_eq_u32_e32 vcc, 0, v7
	v_min_i32_e32 v7, 15, v7
	v_cmp_eq_u64_e64 s[20:21], 0, v[22:23]
	v_lshlrev_b32_e32 v7, 3, v7
	v_and_b32_e32 v7, 0xf8, v7
	v_and_or_b32 v7, v22, 7, v7
	s_and_b64 s[20:21], vcc, s[20:21]
	v_cndmask_b32_e64 v7, v7, 0, s[20:21]
	v_or_b32_e32 v1, v7, v3
	buffer_store_dword v1, off, s[0:3], s33 offset:284 ; 4-byte Folded Spill
.LBB6_1902:                             ;   in Loop: Header=BB6_128 Depth=2
	s_or_b64 exec, exec, s[90:91]
                                        ; implicit-def: $vgpr3
.LBB6_1903:                             ;   in Loop: Header=BB6_128 Depth=2
	s_andn2_saveexec_b64 s[20:21], s[88:89]
	s_cbranch_execz .LBB6_1905
; %bb.1904:                             ;   in Loop: Header=BB6_128 Depth=2
	v_or_b32_e32 v1, 0x7e, v3
	buffer_store_dword v1, off, s[0:3], s33 offset:284 ; 4-byte Folded Spill
.LBB6_1905:                             ;   in Loop: Header=BB6_128 Depth=2
	s_or_b64 exec, exec, s[20:21]
                                        ; implicit-def: $vgpr7
.LBB6_1906:                             ;   in Loop: Header=BB6_128 Depth=2
	s_andn2_saveexec_b64 s[20:21], s[78:79]
	s_cbranch_execz .LBB6_1908
; %bb.1907:                             ;   in Loop: Header=BB6_128 Depth=2
	v_or_b32_sdwa v1, v7, s51 dst_sel:DWORD dst_unused:UNUSED_PAD src0_sel:BYTE_3 src1_sel:DWORD
	buffer_store_dword v1, off, s[0:3], s33 offset:284 ; 4-byte Folded Spill
.LBB6_1908:                             ;   in Loop: Header=BB6_128 Depth=2
	s_or_b64 exec, exec, s[20:21]
	v_lshrrev_b16_e32 v22, 8, v0
	v_cmp_ne_u16_e32 vcc, 0, v22
	v_mov_b32_e32 v3, 0
	v_mov_b32_e32 v7, 0
	s_and_saveexec_b64 s[20:21], vcc
	s_cbranch_execz .LBB6_1914
; %bb.1909:                             ;   in Loop: Header=BB6_128 Depth=2
	v_cmp_ne_u16_e32 vcc, s53, v22
	v_bfrev_b32_e32 v7, 1
	s_and_saveexec_b64 s[78:79], vcc
	s_cbranch_execz .LBB6_1913
; %bb.1910:                             ;   in Loop: Header=BB6_128 Depth=2
	v_and_b32_e32 v8, 0x7f, v22
	v_cmp_ne_u32_e32 vcc, s51, v8
	v_mov_b32_e32 v7, 0x7f800001
	s_and_saveexec_b64 s[88:89], vcc
	s_cbranch_execz .LBB6_1912
; %bb.1911:                             ;   in Loop: Header=BB6_128 Depth=2
	v_and_b32_e32 v23, 7, v22
	v_ffbh_u32_e32 v7, v23
	v_min_u32_e32 v28, 32, v7
	v_subrev_u32_e32 v7, 28, v28
	v_lshrrev_b32_e32 v27, 3, v8
	v_cmp_gt_u32_e32 vcc, 8, v8
	v_lshlrev_b64 v[7:8], v7, v[22:23]
	v_sub_u32_e32 v8, 29, v28
	v_and_b32_e32 v7, 7, v7
	v_cndmask_b32_e32 v8, v27, v8, vcc
	v_cndmask_b32_e32 v7, v23, v7, vcc
	v_lshlrev_b32_e32 v0, 16, v0
	v_bfrev_b32_e32 v1, 60
	v_lshlrev_b32_e32 v7, 20, v7
	v_and_b32_e32 v0, 0x80000000, v0
	v_lshl_add_u32 v8, v8, 23, v1
	v_or3_b32 v7, v0, v8, v7
.LBB6_1912:                             ;   in Loop: Header=BB6_128 Depth=2
	s_or_b64 exec, exec, s[88:89]
.LBB6_1913:                             ;   in Loop: Header=BB6_128 Depth=2
	s_or_b64 exec, exec, s[78:79]
.LBB6_1914:                             ;   in Loop: Header=BB6_128 Depth=2
	s_or_b64 exec, exec, s[20:21]
	v_lshrrev_b16_e32 v22, 8, v25
	v_cmp_ne_u16_e32 vcc, 0, v22
	s_and_saveexec_b64 s[20:21], vcc
	s_cbranch_execz .LBB6_1920
; %bb.1915:                             ;   in Loop: Header=BB6_128 Depth=2
	v_cmp_ne_u16_e32 vcc, s53, v22
	v_bfrev_b32_e32 v3, 1
	s_and_saveexec_b64 s[78:79], vcc
	s_cbranch_execz .LBB6_1919
; %bb.1916:                             ;   in Loop: Header=BB6_128 Depth=2
	v_and_b32_e32 v0, 0x7f, v22
	v_cmp_ne_u32_e32 vcc, s51, v0
	v_mov_b32_e32 v3, 0x7f800001
	s_and_saveexec_b64 s[88:89], vcc
	s_cbranch_execz .LBB6_1918
; %bb.1917:                             ;   in Loop: Header=BB6_128 Depth=2
	v_and_b32_e32 v3, 7, v22
	v_lshrrev_b32_e32 v8, 3, v0
	v_cmp_gt_u32_e32 vcc, 8, v0
	v_ffbh_u32_e32 v0, v3
	v_min_u32_e32 v0, 32, v0
	v_subrev_u32_e32 v23, 28, v0
	v_lshlrev_b64 v[22:23], v23, v[22:23]
	v_sub_u32_e32 v0, 29, v0
	v_and_b32_e32 v22, 7, v22
	v_cndmask_b32_e32 v0, v8, v0, vcc
	v_cndmask_b32_e32 v3, v3, v22, vcc
	v_lshlrev_b32_e32 v8, 16, v25
	v_bfrev_b32_e32 v1, 60
	v_lshlrev_b32_e32 v3, 20, v3
	v_and_b32_e32 v8, 0x80000000, v8
	v_lshl_add_u32 v0, v0, 23, v1
	v_or3_b32 v3, v8, v0, v3
.LBB6_1918:                             ;   in Loop: Header=BB6_128 Depth=2
	s_or_b64 exec, exec, s[88:89]
.LBB6_1919:                             ;   in Loop: Header=BB6_128 Depth=2
	s_or_b64 exec, exec, s[78:79]
.LBB6_1920:                             ;   in Loop: Header=BB6_128 Depth=2
	s_or_b64 exec, exec, s[20:21]
	v_add_f32_e32 v3, v7, v3
	v_and_b32_e32 v7, 0x7f800000, v3
	v_mov_b32_e32 v8, v53
	v_cmp_ne_u64_e32 vcc, s[56:57], v[7:8]
                                        ; implicit-def: $vgpr0
                                        ; kill: killed $vgpr0
	s_and_saveexec_b64 s[20:21], vcc
	s_xor_b64 s[78:79], exec, s[20:21]
	s_cbranch_execz .LBB6_1934
; %bb.1921:                             ;   in Loop: Header=BB6_128 Depth=2
	v_and_b32_e32 v7, 0x7fffffff, v3
	v_mov_b32_e32 v8, v53
	v_cmp_gt_u64_e32 vcc, s[58:59], v[7:8]
	v_and_b32_sdwa v0, v3, s53 dst_sel:DWORD dst_unused:UNUSED_PAD src0_sel:BYTE_3 src1_sel:DWORD
                                        ; implicit-def: $vgpr1
                                        ; kill: killed $vgpr1
	s_and_saveexec_b64 s[20:21], vcc
	s_xor_b64 s[88:89], exec, s[20:21]
	s_cbranch_execz .LBB6_1931
; %bb.1922:                             ;   in Loop: Header=BB6_128 Depth=2
	v_mov_b32_e32 v1, 0
	v_cmp_ne_u32_e32 vcc, 0, v3
	buffer_store_dword v1, off, s[0:3], s33 offset:300 ; 4-byte Folded Spill
	s_and_saveexec_b64 s[90:91], vcc
	s_cbranch_execz .LBB6_1930
; %bb.1923:                             ;   in Loop: Header=BB6_128 Depth=2
	v_and_b32_e32 v8, 0x7fffff, v3
	v_bfe_u32 v3, v3, 23, 8
	v_cmp_gt_u32_e64 s[20:21], s54, v3
	v_sub_u32_e32 v7, 0x79, v3
	v_cmp_eq_u32_e32 vcc, 0, v3
	v_cndmask_b32_e64 v7, 0, v7, s[20:21]
	v_mov_b32_e32 v23, 0x78
	v_or_b32_e32 v22, 0x800000, v8
	v_cndmask_b32_e32 v7, v7, v23, vcc
	v_cndmask_b32_e32 v22, v22, v8, vcc
	v_add_u32_e32 v8, 20, v7
	v_lshlrev_b64 v[27:28], v8, -1
	v_mov_b32_e32 v23, v53
	v_add_u32_e32 v8, 19, v7
	v_bfi_b32 v27, v27, 0, v22
	v_lshlrev_b64 v[32:33], v8, 1
	v_lshrrev_b64 v[22:23], v7, v[22:23]
	v_bfi_b32 v28, v28, 0, 0
	v_cmp_eq_u64_e64 s[20:21], v[27:28], v[32:33]
	v_mov_b32_e32 v61, v23
	v_mov_b32_e32 v60, v22
	s_and_saveexec_b64 s[92:93], s[20:21]
; %bb.1924:                             ;   in Loop: Header=BB6_128 Depth=2
	v_bfe_u32 v8, v22, 20, 1
	v_add_co_u32_e64 v8, s[20:21], v22, v8
	v_add_co_u32_e64 v60, s[20:21], -1, v8
; %bb.1925:                             ;   in Loop: Header=BB6_128 Depth=2
	s_or_b64 exec, exec, s[92:93]
	v_add_u32_e32 v3, 0xffffff81, v3
	v_mov_b32_e32 v8, 0xffffff82
	v_cndmask_b32_e32 v3, v3, v8, vcc
	v_lshrrev_b32_e32 v8, 23, v22
	v_add3_u32 v8, v7, v3, v8
	v_add_u32_e32 v7, 6, v8
	v_and_b32_e32 v3, 0xfffff, v60
	v_add_u32_e32 v22, v3, v22
	v_mov_b32_e32 v23, v53
	v_cmp_ne_u32_e32 vcc, 0, v7
                                        ; implicit-def: $vgpr3
	s_and_saveexec_b64 s[20:21], vcc
	s_xor_b64 s[20:21], exec, s[20:21]
; %bb.1926:                             ;   in Loop: Header=BB6_128 Depth=2
	v_cmp_lt_u64_e32 vcc, s[60:61], v[22:23]
	v_add_u32_e32 v3, 7, v8
	v_cndmask_b32_e32 v3, v7, v3, vcc
	v_cndmask_b32_e64 v7, 0, 1, vcc
	v_lshrrev_b64 v[22:23], v7, v[22:23]
; %bb.1927:                             ;   in Loop: Header=BB6_128 Depth=2
	s_andn2_saveexec_b64 s[20:21], s[20:21]
; %bb.1928:                             ;   in Loop: Header=BB6_128 Depth=2
	v_bfe_u32 v3, v22, 23, 1
; %bb.1929:                             ;   in Loop: Header=BB6_128 Depth=2
	s_or_b64 exec, exec, s[20:21]
	v_lshrrev_b64 v[7:8], 20, v[22:23]
	v_cmp_gt_i32_e32 vcc, 16, v3
	v_cndmask_b32_e32 v8, 0, v8, vcc
	v_cndmask_b32_e32 v7, 7, v7, vcc
	v_cmp_eq_u32_e32 vcc, 0, v3
	v_min_i32_e32 v3, 15, v3
	v_cmp_eq_u64_e64 s[20:21], 0, v[7:8]
	v_lshlrev_b32_e32 v3, 3, v3
	v_and_b32_e32 v3, 0xf8, v3
	v_and_or_b32 v3, v7, 7, v3
	s_and_b64 s[20:21], vcc, s[20:21]
	v_cndmask_b32_e64 v3, v3, 0, s[20:21]
	v_or_b32_e32 v0, v3, v0
	buffer_store_dword v0, off, s[0:3], s33 offset:300 ; 4-byte Folded Spill
.LBB6_1930:                             ;   in Loop: Header=BB6_128 Depth=2
	s_or_b64 exec, exec, s[90:91]
                                        ; implicit-def: $vgpr0
.LBB6_1931:                             ;   in Loop: Header=BB6_128 Depth=2
	s_andn2_saveexec_b64 s[20:21], s[88:89]
	s_cbranch_execz .LBB6_1933
; %bb.1932:                             ;   in Loop: Header=BB6_128 Depth=2
	v_or_b32_e32 v0, 0x7e, v0
	buffer_store_dword v0, off, s[0:3], s33 offset:300 ; 4-byte Folded Spill
.LBB6_1933:                             ;   in Loop: Header=BB6_128 Depth=2
	s_or_b64 exec, exec, s[20:21]
                                        ; implicit-def: $vgpr3
.LBB6_1934:                             ;   in Loop: Header=BB6_128 Depth=2
	s_andn2_saveexec_b64 s[20:21], s[78:79]
	s_cbranch_execz .LBB6_1936
; %bb.1935:                             ;   in Loop: Header=BB6_128 Depth=2
	v_or_b32_sdwa v0, v3, s51 dst_sel:DWORD dst_unused:UNUSED_PAD src0_sel:BYTE_3 src1_sel:DWORD
	buffer_store_dword v0, off, s[0:3], s33 offset:300 ; 4-byte Folded Spill
.LBB6_1936:                             ;   in Loop: Header=BB6_128 Depth=2
	s_or_b64 exec, exec, s[20:21]
	v_lshrrev_b32_e32 v22, 16, v52
	v_cmp_ne_u16_sdwa s[78:79], v22, v53 src0_sel:BYTE_0 src1_sel:DWORD
	v_mov_b32_e32 v0, 0
	v_mov_b32_e32 v3, 0
	s_and_saveexec_b64 s[20:21], s[78:79]
	s_cbranch_execz .LBB6_1942
; %bb.1937:                             ;   in Loop: Header=BB6_128 Depth=2
	v_cmp_ne_u16_sdwa s[88:89], v22, s53 src0_sel:BYTE_0 src1_sel:DWORD
	v_bfrev_b32_e32 v3, 1
	s_and_saveexec_b64 s[78:79], s[88:89]
	s_cbranch_execz .LBB6_1941
; %bb.1938:                             ;   in Loop: Header=BB6_128 Depth=2
	v_bfe_u32 v7, v52, 16, 7
	v_cmp_ne_u32_e32 vcc, s51, v7
	v_mov_b32_e32 v3, 0x7f800001
	s_and_saveexec_b64 s[88:89], vcc
	s_cbranch_execz .LBB6_1940
; %bb.1939:                             ;   in Loop: Header=BB6_128 Depth=2
	v_and_b32_e32 v3, 7, v22
	v_lshrrev_b32_e32 v23, 3, v7
	v_cmp_gt_u32_e32 vcc, 8, v7
	v_ffbh_u32_e32 v7, v3
	v_min_u32_e32 v27, 32, v7
	v_subrev_u32_e32 v7, 28, v27
	v_lshlrev_b64 v[7:8], v7, v[22:23]
	v_sub_u32_e32 v8, 29, v27
	v_and_b32_e32 v7, 7, v7
	v_cndmask_b32_e32 v8, v23, v8, vcc
	v_cndmask_b32_e32 v3, v3, v7, vcc
	v_lshlrev_b32_e32 v7, 24, v22
	v_bfrev_b32_e32 v1, 60
	v_lshlrev_b32_e32 v3, 20, v3
	v_and_b32_e32 v7, 0x80000000, v7
	v_lshl_add_u32 v8, v8, 23, v1
	v_or3_b32 v3, v7, v8, v3
.LBB6_1940:                             ;   in Loop: Header=BB6_128 Depth=2
	s_or_b64 exec, exec, s[88:89]
.LBB6_1941:                             ;   in Loop: Header=BB6_128 Depth=2
	s_or_b64 exec, exec, s[78:79]
.LBB6_1942:                             ;   in Loop: Header=BB6_128 Depth=2
	s_or_b64 exec, exec, s[20:21]
	v_lshrrev_b32_e32 v22, 16, v25
	v_cmp_ne_u16_sdwa s[78:79], v22, v53 src0_sel:BYTE_0 src1_sel:DWORD
	s_and_saveexec_b64 s[20:21], s[78:79]
	s_cbranch_execz .LBB6_1948
; %bb.1943:                             ;   in Loop: Header=BB6_128 Depth=2
	v_cmp_ne_u16_sdwa s[88:89], v22, s53 src0_sel:BYTE_0 src1_sel:DWORD
	v_bfrev_b32_e32 v0, 1
	s_and_saveexec_b64 s[78:79], s[88:89]
	s_cbranch_execz .LBB6_1947
; %bb.1944:                             ;   in Loop: Header=BB6_128 Depth=2
	v_bfe_u32 v7, v25, 16, 7
	v_cmp_ne_u32_e32 vcc, s51, v7
	v_mov_b32_e32 v0, 0x7f800001
	s_and_saveexec_b64 s[88:89], vcc
	s_cbranch_execz .LBB6_1946
; %bb.1945:                             ;   in Loop: Header=BB6_128 Depth=2
	v_and_b32_e32 v0, 7, v22
	v_lshrrev_b32_e32 v23, 3, v7
	v_cmp_gt_u32_e32 vcc, 8, v7
	v_ffbh_u32_e32 v7, v0
	v_min_u32_e32 v27, 32, v7
	v_subrev_u32_e32 v7, 28, v27
	v_lshlrev_b64 v[7:8], v7, v[22:23]
	v_sub_u32_e32 v8, 29, v27
	v_and_b32_e32 v7, 7, v7
	v_cndmask_b32_e32 v8, v23, v8, vcc
	v_cndmask_b32_e32 v0, v0, v7, vcc
	v_lshlrev_b32_e32 v7, 8, v25
	v_bfrev_b32_e32 v1, 60
	v_lshlrev_b32_e32 v0, 20, v0
	v_and_b32_e32 v7, 0x80000000, v7
	v_lshl_add_u32 v8, v8, 23, v1
	v_or3_b32 v0, v7, v8, v0
.LBB6_1946:                             ;   in Loop: Header=BB6_128 Depth=2
	s_or_b64 exec, exec, s[88:89]
.LBB6_1947:                             ;   in Loop: Header=BB6_128 Depth=2
	s_or_b64 exec, exec, s[78:79]
.LBB6_1948:                             ;   in Loop: Header=BB6_128 Depth=2
	s_or_b64 exec, exec, s[20:21]
	v_add_f32_e32 v3, v3, v0
	v_and_b32_e32 v7, 0x7f800000, v3
	v_mov_b32_e32 v8, v53
	v_cmp_ne_u64_e32 vcc, s[56:57], v[7:8]
                                        ; implicit-def: $vgpr0
                                        ; kill: killed $vgpr0
	s_and_saveexec_b64 s[20:21], vcc
	s_xor_b64 s[78:79], exec, s[20:21]
	s_cbranch_execz .LBB6_1962
; %bb.1949:                             ;   in Loop: Header=BB6_128 Depth=2
	v_and_b32_e32 v7, 0x7fffffff, v3
	v_mov_b32_e32 v8, v53
	v_cmp_gt_u64_e32 vcc, s[58:59], v[7:8]
	v_and_b32_sdwa v0, v3, s53 dst_sel:DWORD dst_unused:UNUSED_PAD src0_sel:BYTE_3 src1_sel:DWORD
                                        ; implicit-def: $vgpr1
                                        ; kill: killed $vgpr1
	s_and_saveexec_b64 s[20:21], vcc
	s_xor_b64 s[88:89], exec, s[20:21]
	s_cbranch_execz .LBB6_1959
; %bb.1950:                             ;   in Loop: Header=BB6_128 Depth=2
	v_mov_b32_e32 v1, 0
	v_cmp_ne_u32_e32 vcc, 0, v3
	buffer_store_dword v1, off, s[0:3], s33 offset:304 ; 4-byte Folded Spill
	s_and_saveexec_b64 s[90:91], vcc
	s_cbranch_execz .LBB6_1958
; %bb.1951:                             ;   in Loop: Header=BB6_128 Depth=2
	v_and_b32_e32 v8, 0x7fffff, v3
	v_bfe_u32 v3, v3, 23, 8
	v_cmp_gt_u32_e64 s[20:21], s54, v3
	v_sub_u32_e32 v7, 0x79, v3
	v_cmp_eq_u32_e32 vcc, 0, v3
	v_cndmask_b32_e64 v7, 0, v7, s[20:21]
	v_mov_b32_e32 v23, 0x78
	v_or_b32_e32 v22, 0x800000, v8
	v_cndmask_b32_e32 v7, v7, v23, vcc
	v_cndmask_b32_e32 v22, v22, v8, vcc
	v_add_u32_e32 v8, 20, v7
	v_lshlrev_b64 v[27:28], v8, -1
	v_mov_b32_e32 v23, v53
	v_add_u32_e32 v8, 19, v7
	v_bfi_b32 v27, v27, 0, v22
	v_lshlrev_b64 v[32:33], v8, 1
	v_lshrrev_b64 v[22:23], v7, v[22:23]
	v_bfi_b32 v28, v28, 0, 0
	v_cmp_eq_u64_e64 s[20:21], v[27:28], v[32:33]
	v_mov_b32_e32 v61, v23
	v_mov_b32_e32 v60, v22
	s_and_saveexec_b64 s[92:93], s[20:21]
; %bb.1952:                             ;   in Loop: Header=BB6_128 Depth=2
	v_bfe_u32 v8, v22, 20, 1
	v_add_co_u32_e64 v8, s[20:21], v22, v8
	v_add_co_u32_e64 v60, s[20:21], -1, v8
; %bb.1953:                             ;   in Loop: Header=BB6_128 Depth=2
	s_or_b64 exec, exec, s[92:93]
	v_add_u32_e32 v3, 0xffffff81, v3
	v_mov_b32_e32 v8, 0xffffff82
	v_cndmask_b32_e32 v3, v3, v8, vcc
	v_lshrrev_b32_e32 v8, 23, v22
	v_add3_u32 v8, v7, v3, v8
	v_add_u32_e32 v7, 6, v8
	v_and_b32_e32 v3, 0xfffff, v60
	v_add_u32_e32 v22, v3, v22
	v_mov_b32_e32 v23, v53
	v_cmp_ne_u32_e32 vcc, 0, v7
                                        ; implicit-def: $vgpr3
	s_and_saveexec_b64 s[20:21], vcc
	s_xor_b64 s[20:21], exec, s[20:21]
; %bb.1954:                             ;   in Loop: Header=BB6_128 Depth=2
	v_cmp_lt_u64_e32 vcc, s[60:61], v[22:23]
	v_add_u32_e32 v3, 7, v8
	v_cndmask_b32_e32 v3, v7, v3, vcc
	v_cndmask_b32_e64 v7, 0, 1, vcc
	v_lshrrev_b64 v[22:23], v7, v[22:23]
; %bb.1955:                             ;   in Loop: Header=BB6_128 Depth=2
	s_andn2_saveexec_b64 s[20:21], s[20:21]
; %bb.1956:                             ;   in Loop: Header=BB6_128 Depth=2
	v_bfe_u32 v3, v22, 23, 1
; %bb.1957:                             ;   in Loop: Header=BB6_128 Depth=2
	s_or_b64 exec, exec, s[20:21]
	v_lshrrev_b64 v[7:8], 20, v[22:23]
	v_cmp_gt_i32_e32 vcc, 16, v3
	v_cndmask_b32_e32 v8, 0, v8, vcc
	v_cndmask_b32_e32 v7, 7, v7, vcc
	v_cmp_eq_u32_e32 vcc, 0, v3
	v_min_i32_e32 v3, 15, v3
	v_cmp_eq_u64_e64 s[20:21], 0, v[7:8]
	v_lshlrev_b32_e32 v3, 3, v3
	v_and_b32_e32 v3, 0xf8, v3
	v_and_or_b32 v3, v7, 7, v3
	s_and_b64 s[20:21], vcc, s[20:21]
	v_cndmask_b32_e64 v3, v3, 0, s[20:21]
	v_or_b32_e32 v0, v3, v0
	buffer_store_dword v0, off, s[0:3], s33 offset:304 ; 4-byte Folded Spill
.LBB6_1958:                             ;   in Loop: Header=BB6_128 Depth=2
	s_or_b64 exec, exec, s[90:91]
                                        ; implicit-def: $vgpr0
.LBB6_1959:                             ;   in Loop: Header=BB6_128 Depth=2
	s_andn2_saveexec_b64 s[20:21], s[88:89]
	s_cbranch_execz .LBB6_1961
; %bb.1960:                             ;   in Loop: Header=BB6_128 Depth=2
	v_or_b32_e32 v0, 0x7e, v0
	buffer_store_dword v0, off, s[0:3], s33 offset:304 ; 4-byte Folded Spill
.LBB6_1961:                             ;   in Loop: Header=BB6_128 Depth=2
	s_or_b64 exec, exec, s[20:21]
                                        ; implicit-def: $vgpr3
.LBB6_1962:                             ;   in Loop: Header=BB6_128 Depth=2
	s_andn2_saveexec_b64 s[20:21], s[78:79]
	s_cbranch_execz .LBB6_1964
; %bb.1963:                             ;   in Loop: Header=BB6_128 Depth=2
	v_or_b32_sdwa v0, v3, s51 dst_sel:DWORD dst_unused:UNUSED_PAD src0_sel:BYTE_3 src1_sel:DWORD
	buffer_store_dword v0, off, s[0:3], s33 offset:304 ; 4-byte Folded Spill
.LBB6_1964:                             ;   in Loop: Header=BB6_128 Depth=2
	s_or_b64 exec, exec, s[20:21]
	v_cmp_lt_u32_e32 vcc, s63, v52
	v_mov_b32_e32 v0, 0
	v_mov_b32_e32 v3, 0
	s_and_saveexec_b64 s[20:21], vcc
	s_cbranch_execz .LBB6_1970
; %bb.1965:                             ;   in Loop: Header=BB6_128 Depth=2
	v_lshrrev_b32_e32 v22, 24, v52
	v_cmp_ne_u32_sdwa s[88:89], v52, s53 src0_sel:BYTE_3 src1_sel:DWORD
	v_bfrev_b32_e32 v3, 1
	s_and_saveexec_b64 s[78:79], s[88:89]
	s_cbranch_execz .LBB6_1969
; %bb.1966:                             ;   in Loop: Header=BB6_128 Depth=2
	v_bfe_u32 v7, v52, 24, 7
	v_cmp_ne_u32_e32 vcc, s51, v7
	v_mov_b32_e32 v3, 0x7f800001
	s_and_saveexec_b64 s[88:89], vcc
	s_cbranch_execz .LBB6_1968
; %bb.1967:                             ;   in Loop: Header=BB6_128 Depth=2
	v_and_b32_e32 v3, 7, v22
	v_lshrrev_b32_e32 v23, 3, v7
	v_cmp_gt_u32_e32 vcc, 8, v7
	v_ffbh_u32_e32 v7, v3
	v_min_u32_e32 v27, 32, v7
	v_subrev_u32_e32 v7, 28, v27
	v_lshlrev_b64 v[7:8], v7, v[22:23]
	v_sub_u32_e32 v8, 29, v27
	v_and_b32_e32 v7, 7, v7
	v_cndmask_b32_e32 v3, v3, v7, vcc
	v_mov_b32_e32 v7, 24
	v_cndmask_b32_e32 v8, v23, v8, vcc
	v_lshlrev_b32_sdwa v7, v7, v52 dst_sel:DWORD dst_unused:UNUSED_PAD src0_sel:DWORD src1_sel:BYTE_3
	v_bfrev_b32_e32 v1, 60
	v_lshlrev_b32_e32 v3, 20, v3
	v_and_b32_e32 v7, 0x80000000, v7
	v_lshl_add_u32 v8, v8, 23, v1
	v_or3_b32 v3, v7, v8, v3
.LBB6_1968:                             ;   in Loop: Header=BB6_128 Depth=2
	s_or_b64 exec, exec, s[88:89]
.LBB6_1969:                             ;   in Loop: Header=BB6_128 Depth=2
	s_or_b64 exec, exec, s[78:79]
.LBB6_1970:                             ;   in Loop: Header=BB6_128 Depth=2
	s_or_b64 exec, exec, s[20:21]
	v_cmp_lt_u64_e32 vcc, s[62:63], v[24:25]
	s_and_saveexec_b64 s[20:21], vcc
	s_cbranch_execz .LBB6_1976
; %bb.1971:                             ;   in Loop: Header=BB6_128 Depth=2
	v_lshrrev_b32_e32 v22, 24, v25
	v_cmp_ne_u32_e32 vcc, s53, v22
	v_bfrev_b32_e32 v0, 1
	s_and_saveexec_b64 s[78:79], vcc
	s_cbranch_execz .LBB6_1975
; %bb.1972:                             ;   in Loop: Header=BB6_128 Depth=2
	v_bfe_u32 v7, v25, 24, 7
	v_cmp_ne_u32_e32 vcc, s51, v7
	v_mov_b32_e32 v0, 0x7f800001
	s_and_saveexec_b64 s[88:89], vcc
	s_cbranch_execz .LBB6_1974
; %bb.1973:                             ;   in Loop: Header=BB6_128 Depth=2
	v_and_b32_e32 v0, 7, v22
	v_lshrrev_b32_e32 v23, 3, v7
	v_cmp_gt_u32_e32 vcc, 8, v7
	v_ffbh_u32_e32 v7, v0
	v_min_u32_e32 v24, 32, v7
	v_subrev_u32_e32 v7, 28, v24
	v_lshlrev_b64 v[7:8], v7, v[22:23]
	v_sub_u32_e32 v8, 29, v24
	v_and_b32_e32 v7, 7, v7
	v_cndmask_b32_e32 v8, v23, v8, vcc
	v_cndmask_b32_e32 v0, v0, v7, vcc
	v_lshlrev_b32_e32 v7, 24, v22
	v_bfrev_b32_e32 v1, 60
	v_lshlrev_b32_e32 v0, 20, v0
	v_and_b32_e32 v7, 0x80000000, v7
	v_lshl_add_u32 v8, v8, 23, v1
	v_or3_b32 v0, v7, v8, v0
.LBB6_1974:                             ;   in Loop: Header=BB6_128 Depth=2
	s_or_b64 exec, exec, s[88:89]
.LBB6_1975:                             ;   in Loop: Header=BB6_128 Depth=2
	s_or_b64 exec, exec, s[78:79]
.LBB6_1976:                             ;   in Loop: Header=BB6_128 Depth=2
	s_or_b64 exec, exec, s[20:21]
	v_add_f32_e32 v3, v3, v0
	v_and_b32_e32 v52, 0x7f800000, v3
	v_cmp_ne_u64_e32 vcc, s[56:57], v[52:53]
                                        ; implicit-def: $vgpr0
                                        ; kill: killed $vgpr0
	s_and_saveexec_b64 s[20:21], vcc
	s_xor_b64 s[78:79], exec, s[20:21]
	s_cbranch_execz .LBB6_1990
; %bb.1977:                             ;   in Loop: Header=BB6_128 Depth=2
	v_and_b32_e32 v52, 0x7fffffff, v3
	v_cmp_gt_u64_e32 vcc, s[58:59], v[52:53]
	v_and_b32_sdwa v0, v3, s53 dst_sel:DWORD dst_unused:UNUSED_PAD src0_sel:BYTE_3 src1_sel:DWORD
                                        ; implicit-def: $vgpr1
                                        ; kill: killed $vgpr1
	s_and_saveexec_b64 s[20:21], vcc
	s_xor_b64 s[88:89], exec, s[20:21]
	s_cbranch_execz .LBB6_1987
; %bb.1978:                             ;   in Loop: Header=BB6_128 Depth=2
	v_mov_b32_e32 v1, 0
	v_cmp_ne_u32_e32 vcc, 0, v3
	buffer_store_dword v1, off, s[0:3], s33 offset:308 ; 4-byte Folded Spill
	s_and_saveexec_b64 s[90:91], vcc
	s_cbranch_execz .LBB6_1986
; %bb.1979:                             ;   in Loop: Header=BB6_128 Depth=2
	v_and_b32_e32 v8, 0x7fffff, v3
	v_bfe_u32 v3, v3, 23, 8
	v_cmp_gt_u32_e64 s[20:21], s54, v3
	v_sub_u32_e32 v7, 0x79, v3
	v_cmp_eq_u32_e32 vcc, 0, v3
	v_cndmask_b32_e64 v7, 0, v7, s[20:21]
	v_mov_b32_e32 v23, 0x78
	v_or_b32_e32 v22, 0x800000, v8
	v_cndmask_b32_e32 v7, v7, v23, vcc
	v_cndmask_b32_e32 v52, v22, v8, vcc
	v_add_u32_e32 v8, 20, v7
	v_lshlrev_b64 v[22:23], v8, -1
	v_add_u32_e32 v8, 19, v7
	v_lshlrev_b64 v[24:25], v8, 1
	v_bfi_b32 v23, v23, 0, 0
	v_bfi_b32 v22, v22, 0, v52
	v_cmp_eq_u64_e64 s[20:21], v[22:23], v[24:25]
	v_lshrrev_b64 v[22:23], v7, v[52:53]
	v_mov_b32_e32 v24, v23
	v_mov_b32_e32 v23, v22
	s_and_saveexec_b64 s[92:93], s[20:21]
; %bb.1980:                             ;   in Loop: Header=BB6_128 Depth=2
	v_bfe_u32 v8, v22, 20, 1
	v_add_co_u32_e64 v8, s[20:21], v22, v8
	v_add_co_u32_e64 v23, s[20:21], -1, v8
; %bb.1981:                             ;   in Loop: Header=BB6_128 Depth=2
	s_or_b64 exec, exec, s[92:93]
	v_add_u32_e32 v3, 0xffffff81, v3
	v_mov_b32_e32 v8, 0xffffff82
	v_cndmask_b32_e32 v3, v3, v8, vcc
	v_lshrrev_b32_e32 v8, 23, v22
	v_add3_u32 v8, v7, v3, v8
	v_add_u32_e32 v7, 6, v8
	v_and_b32_e32 v3, 0xfffff, v23
	v_add_u32_e32 v52, v3, v22
	v_cmp_ne_u32_e32 vcc, 0, v7
                                        ; implicit-def: $vgpr22_vgpr23
                                        ; implicit-def: $vgpr3
	s_and_saveexec_b64 s[20:21], vcc
	s_xor_b64 s[20:21], exec, s[20:21]
; %bb.1982:                             ;   in Loop: Header=BB6_128 Depth=2
	v_cmp_lt_u64_e32 vcc, s[60:61], v[52:53]
	v_add_u32_e32 v3, 7, v8
	v_cndmask_b32_e32 v3, v7, v3, vcc
	v_cndmask_b32_e64 v7, 0, 1, vcc
	v_lshrrev_b64 v[22:23], v7, v[52:53]
; %bb.1983:                             ;   in Loop: Header=BB6_128 Depth=2
	s_andn2_saveexec_b64 s[20:21], s[20:21]
; %bb.1984:                             ;   in Loop: Header=BB6_128 Depth=2
	v_mov_b32_e32 v22, v52
	v_bfe_u32 v3, v52, 23, 1
	v_mov_b32_e32 v23, v53
; %bb.1985:                             ;   in Loop: Header=BB6_128 Depth=2
	s_or_b64 exec, exec, s[20:21]
	v_lshrrev_b64 v[7:8], 20, v[22:23]
	v_cmp_gt_i32_e32 vcc, 16, v3
	v_cndmask_b32_e32 v8, 0, v8, vcc
	v_cndmask_b32_e32 v7, 7, v7, vcc
	v_cmp_eq_u32_e32 vcc, 0, v3
	v_min_i32_e32 v3, 15, v3
	v_cmp_eq_u64_e64 s[20:21], 0, v[7:8]
	v_lshlrev_b32_e32 v3, 3, v3
	v_and_b32_e32 v3, 0xf8, v3
	v_and_or_b32 v3, v7, 7, v3
	s_and_b64 s[20:21], vcc, s[20:21]
	v_cndmask_b32_e64 v3, v3, 0, s[20:21]
	v_or_b32_e32 v0, v3, v0
	buffer_store_dword v0, off, s[0:3], s33 offset:308 ; 4-byte Folded Spill
.LBB6_1986:                             ;   in Loop: Header=BB6_128 Depth=2
	s_or_b64 exec, exec, s[90:91]
                                        ; implicit-def: $vgpr0
.LBB6_1987:                             ;   in Loop: Header=BB6_128 Depth=2
	s_andn2_saveexec_b64 s[20:21], s[88:89]
	s_cbranch_execz .LBB6_1989
; %bb.1988:                             ;   in Loop: Header=BB6_128 Depth=2
	v_or_b32_e32 v0, 0x7e, v0
	buffer_store_dword v0, off, s[0:3], s33 offset:308 ; 4-byte Folded Spill
.LBB6_1989:                             ;   in Loop: Header=BB6_128 Depth=2
	s_or_b64 exec, exec, s[20:21]
                                        ; implicit-def: $vgpr3
.LBB6_1990:                             ;   in Loop: Header=BB6_128 Depth=2
	s_andn2_saveexec_b64 s[20:21], s[78:79]
	s_cbranch_execz .LBB6_1992
; %bb.1991:                             ;   in Loop: Header=BB6_128 Depth=2
	v_or_b32_sdwa v0, v3, s51 dst_sel:DWORD dst_unused:UNUSED_PAD src0_sel:BYTE_3 src1_sel:DWORD
	buffer_store_dword v0, off, s[0:3], s33 offset:308 ; 4-byte Folded Spill
.LBB6_1992:                             ;   in Loop: Header=BB6_128 Depth=2
	s_or_b64 exec, exec, s[20:21]
	buffer_load_dword v0, off, s[0:3], s33 offset:268 ; 4-byte Folded Reload
	buffer_load_dword v1, off, s[0:3], s33 offset:288 ; 4-byte Folded Reload
	v_lshlrev_b32_e32 v7, 24, v31
	v_cmp_ne_u32_e32 vcc, 0, v41
	s_waitcnt vmcnt(1)
	v_lshl_or_b32 v0, v0, 8, v41
	s_waitcnt vmcnt(0)
	v_lshlrev_b32_e32 v3, 16, v1
	v_or3_b32 v52, v3, v7, v0
	v_mov_b32_e32 v3, 0
	v_mov_b32_e32 v7, 0
	s_and_saveexec_b64 s[20:21], vcc
	s_cbranch_execz .LBB6_1998
; %bb.1993:                             ;   in Loop: Header=BB6_128 Depth=2
	v_cmp_ne_u32_e32 vcc, s53, v41
	v_bfrev_b32_e32 v7, 1
	s_and_saveexec_b64 s[78:79], vcc
	s_cbranch_execz .LBB6_1997
; %bb.1994:                             ;   in Loop: Header=BB6_128 Depth=2
	v_and_b32_e32 v8, 0x7f, v41
	v_cmp_ne_u32_e32 vcc, s51, v8
	v_mov_b32_e32 v7, 0x7f800001
	s_and_saveexec_b64 s[88:89], vcc
	s_cbranch_execz .LBB6_1996
; %bb.1995:                             ;   in Loop: Header=BB6_128 Depth=2
	v_and_b32_e32 v7, 7, v41
	v_ffbh_u32_e32 v7, v7
	v_min_u32_e32 v7, 32, v7
	v_lshrrev_b32_e32 v22, 3, v8
	v_cmp_gt_u32_e32 vcc, 8, v8
	v_subrev_u32_e32 v8, 28, v7
	v_sub_u32_e32 v7, 29, v7
	v_cndmask_b32_e32 v22, v22, v7, vcc
	v_cndmask_b32_e32 v7, 0, v8, vcc
	v_lshlrev_b64 v[7:8], v7, v[52:53]
	v_lshlrev_b32_e32 v8, 24, v52
	v_lshlrev_b32_e32 v7, 20, v7
	v_bfrev_b32_e32 v1, 60
	v_and_b32_e32 v7, 0x700000, v7
	v_and_b32_e32 v8, 0x80000000, v8
	v_lshl_add_u32 v22, v22, 23, v1
	v_or3_b32 v7, v8, v22, v7
.LBB6_1996:                             ;   in Loop: Header=BB6_128 Depth=2
	s_or_b64 exec, exec, s[88:89]
.LBB6_1997:                             ;   in Loop: Header=BB6_128 Depth=2
	s_or_b64 exec, exec, s[78:79]
.LBB6_1998:                             ;   in Loop: Header=BB6_128 Depth=2
	s_or_b64 exec, exec, s[20:21]
	v_cmp_ne_u16_sdwa s[78:79], v18, v53 src0_sel:BYTE_0 src1_sel:DWORD
	s_and_saveexec_b64 s[20:21], s[78:79]
	s_cbranch_execz .LBB6_2004
; %bb.1999:                             ;   in Loop: Header=BB6_128 Depth=2
	v_cmp_ne_u16_sdwa s[88:89], v18, s53 src0_sel:BYTE_0 src1_sel:DWORD
	v_bfrev_b32_e32 v3, 1
	s_and_saveexec_b64 s[78:79], s[88:89]
	s_cbranch_execz .LBB6_2003
; %bb.2000:                             ;   in Loop: Header=BB6_128 Depth=2
	v_and_b32_e32 v8, 0x7f, v18
	v_cmp_ne_u32_e32 vcc, s51, v8
	v_mov_b32_e32 v3, 0x7f800001
	s_and_saveexec_b64 s[88:89], vcc
	s_cbranch_execz .LBB6_2002
; %bb.2001:                             ;   in Loop: Header=BB6_128 Depth=2
	v_and_b32_e32 v3, 7, v18
	v_ffbh_u32_e32 v3, v3
	v_min_u32_e32 v3, 32, v3
	v_lshrrev_b32_e32 v22, 3, v8
	v_cmp_gt_u32_e32 vcc, 8, v8
	v_subrev_u32_e32 v8, 28, v3
	v_sub_u32_e32 v3, 29, v3
	v_cndmask_b32_e32 v8, 0, v8, vcc
	v_cndmask_b32_e32 v3, v22, v3, vcc
	v_lshlrev_b64 v[22:23], v8, v[18:19]
	v_bfrev_b32_e32 v1, 60
	v_lshlrev_b32_e32 v8, 20, v22
	v_lshlrev_b32_e32 v22, 24, v18
	v_and_b32_e32 v8, 0x700000, v8
	v_and_b32_e32 v22, 0x80000000, v22
	v_lshl_add_u32 v3, v3, 23, v1
	v_or3_b32 v3, v22, v3, v8
.LBB6_2002:                             ;   in Loop: Header=BB6_128 Depth=2
	s_or_b64 exec, exec, s[88:89]
.LBB6_2003:                             ;   in Loop: Header=BB6_128 Depth=2
	s_or_b64 exec, exec, s[78:79]
.LBB6_2004:                             ;   in Loop: Header=BB6_128 Depth=2
	s_or_b64 exec, exec, s[20:21]
	v_add_f32_e32 v7, v7, v3
	v_and_b32_e32 v22, 0x7f800000, v7
	v_mov_b32_e32 v23, v53
	v_cmp_ne_u64_e32 vcc, s[56:57], v[22:23]
                                        ; implicit-def: $vgpr1
                                        ; kill: killed $vgpr1
	s_and_saveexec_b64 s[20:21], vcc
	s_xor_b64 s[78:79], exec, s[20:21]
	s_cbranch_execz .LBB6_2018
; %bb.2005:                             ;   in Loop: Header=BB6_128 Depth=2
	v_and_b32_e32 v22, 0x7fffffff, v7
	v_mov_b32_e32 v23, v53
	v_cmp_gt_u64_e32 vcc, s[58:59], v[22:23]
	v_and_b32_sdwa v3, v7, s53 dst_sel:DWORD dst_unused:UNUSED_PAD src0_sel:BYTE_3 src1_sel:DWORD
                                        ; implicit-def: $vgpr1
                                        ; kill: killed $vgpr1
	s_and_saveexec_b64 s[20:21], vcc
	s_xor_b64 s[88:89], exec, s[20:21]
	s_cbranch_execz .LBB6_2015
; %bb.2006:                             ;   in Loop: Header=BB6_128 Depth=2
	v_mov_b32_e32 v1, 0
	v_cmp_ne_u32_e32 vcc, 0, v7
	buffer_store_dword v1, off, s[0:3], s33 offset:268 ; 4-byte Folded Spill
	s_and_saveexec_b64 s[90:91], vcc
	s_cbranch_execz .LBB6_2014
; %bb.2007:                             ;   in Loop: Header=BB6_128 Depth=2
	v_and_b32_e32 v22, 0x7fffff, v7
	v_bfe_u32 v7, v7, 23, 8
	v_cmp_gt_u32_e64 s[20:21], s54, v7
	v_sub_u32_e32 v8, 0x79, v7
	v_cmp_eq_u32_e32 vcc, 0, v7
	v_cndmask_b32_e64 v8, 0, v8, s[20:21]
	v_mov_b32_e32 v24, 0x78
	v_cndmask_b32_e32 v8, v8, v24, vcc
	v_add_u32_e32 v24, 20, v8
	v_or_b32_e32 v23, 0x800000, v22
	v_lshlrev_b64 v[24:25], v24, -1
	v_cndmask_b32_e32 v22, v23, v22, vcc
	v_mov_b32_e32 v23, v53
	v_add_u32_e32 v27, 19, v8
	v_bfi_b32 v24, v24, 0, v22
	v_lshlrev_b64 v[27:28], v27, 1
	v_lshrrev_b64 v[22:23], v8, v[22:23]
	v_bfi_b32 v25, v25, 0, 0
	v_cmp_eq_u64_e64 s[20:21], v[24:25], v[27:28]
	v_mov_b32_e32 v24, v23
	v_mov_b32_e32 v23, v22
	s_and_saveexec_b64 s[92:93], s[20:21]
; %bb.2008:                             ;   in Loop: Header=BB6_128 Depth=2
	v_bfe_u32 v23, v22, 20, 1
	v_add_co_u32_e64 v23, s[20:21], v22, v23
	v_add_co_u32_e64 v23, s[20:21], -1, v23
; %bb.2009:                             ;   in Loop: Header=BB6_128 Depth=2
	s_or_b64 exec, exec, s[92:93]
	v_add_u32_e32 v7, 0xffffff81, v7
	v_mov_b32_e32 v24, 0xffffff82
	v_cndmask_b32_e32 v7, v7, v24, vcc
	v_lshrrev_b32_e32 v24, 23, v22
	v_add3_u32 v24, v8, v7, v24
	v_add_u32_e32 v8, 6, v24
	v_and_b32_e32 v7, 0xfffff, v23
	v_add_u32_e32 v22, v7, v22
	v_mov_b32_e32 v23, v53
	v_cmp_ne_u32_e32 vcc, 0, v8
                                        ; implicit-def: $vgpr7
	s_and_saveexec_b64 s[20:21], vcc
	s_xor_b64 s[20:21], exec, s[20:21]
; %bb.2010:                             ;   in Loop: Header=BB6_128 Depth=2
	v_cmp_lt_u64_e32 vcc, s[60:61], v[22:23]
	v_add_u32_e32 v7, 7, v24
	v_cndmask_b32_e32 v7, v8, v7, vcc
	v_cndmask_b32_e64 v8, 0, 1, vcc
	v_lshrrev_b64 v[22:23], v8, v[22:23]
; %bb.2011:                             ;   in Loop: Header=BB6_128 Depth=2
	s_andn2_saveexec_b64 s[20:21], s[20:21]
; %bb.2012:                             ;   in Loop: Header=BB6_128 Depth=2
	v_bfe_u32 v7, v22, 23, 1
; %bb.2013:                             ;   in Loop: Header=BB6_128 Depth=2
	s_or_b64 exec, exec, s[20:21]
	v_lshrrev_b64 v[22:23], 20, v[22:23]
	v_cmp_gt_i32_e32 vcc, 16, v7
	v_cndmask_b32_e32 v23, 0, v23, vcc
	v_cndmask_b32_e32 v22, 7, v22, vcc
	v_cmp_eq_u32_e32 vcc, 0, v7
	v_min_i32_e32 v7, 15, v7
	v_cmp_eq_u64_e64 s[20:21], 0, v[22:23]
	v_lshlrev_b32_e32 v7, 3, v7
	v_and_b32_e32 v7, 0xf8, v7
	v_and_or_b32 v7, v22, 7, v7
	s_and_b64 s[20:21], vcc, s[20:21]
	v_cndmask_b32_e64 v7, v7, 0, s[20:21]
	v_or_b32_e32 v1, v7, v3
	buffer_store_dword v1, off, s[0:3], s33 offset:268 ; 4-byte Folded Spill
.LBB6_2014:                             ;   in Loop: Header=BB6_128 Depth=2
	s_or_b64 exec, exec, s[90:91]
                                        ; implicit-def: $vgpr3
.LBB6_2015:                             ;   in Loop: Header=BB6_128 Depth=2
	s_andn2_saveexec_b64 s[20:21], s[88:89]
	s_cbranch_execz .LBB6_2017
; %bb.2016:                             ;   in Loop: Header=BB6_128 Depth=2
	v_or_b32_e32 v1, 0x7e, v3
	buffer_store_dword v1, off, s[0:3], s33 offset:268 ; 4-byte Folded Spill
.LBB6_2017:                             ;   in Loop: Header=BB6_128 Depth=2
	s_or_b64 exec, exec, s[20:21]
                                        ; implicit-def: $vgpr7
.LBB6_2018:                             ;   in Loop: Header=BB6_128 Depth=2
	s_andn2_saveexec_b64 s[20:21], s[78:79]
	s_cbranch_execz .LBB6_2020
; %bb.2019:                             ;   in Loop: Header=BB6_128 Depth=2
	v_or_b32_sdwa v1, v7, s51 dst_sel:DWORD dst_unused:UNUSED_PAD src0_sel:BYTE_3 src1_sel:DWORD
	buffer_store_dword v1, off, s[0:3], s33 offset:268 ; 4-byte Folded Spill
.LBB6_2020:                             ;   in Loop: Header=BB6_128 Depth=2
	s_or_b64 exec, exec, s[20:21]
	v_lshrrev_b16_e32 v22, 8, v0
	v_cmp_ne_u16_e32 vcc, 0, v22
	v_mov_b32_e32 v3, 0
	v_mov_b32_e32 v7, 0
	s_and_saveexec_b64 s[20:21], vcc
	s_cbranch_execz .LBB6_2026
; %bb.2021:                             ;   in Loop: Header=BB6_128 Depth=2
	v_cmp_ne_u16_e32 vcc, s53, v22
	v_bfrev_b32_e32 v7, 1
	s_and_saveexec_b64 s[78:79], vcc
	s_cbranch_execz .LBB6_2025
; %bb.2022:                             ;   in Loop: Header=BB6_128 Depth=2
	v_and_b32_e32 v8, 0x7f, v22
	v_cmp_ne_u32_e32 vcc, s51, v8
	v_mov_b32_e32 v7, 0x7f800001
	s_and_saveexec_b64 s[88:89], vcc
	s_cbranch_execz .LBB6_2024
; %bb.2023:                             ;   in Loop: Header=BB6_128 Depth=2
	v_and_b32_e32 v23, 7, v22
	v_ffbh_u32_e32 v7, v23
	v_min_u32_e32 v25, 32, v7
	v_subrev_u32_e32 v7, 28, v25
	v_lshrrev_b32_e32 v24, 3, v8
	v_cmp_gt_u32_e32 vcc, 8, v8
	v_lshlrev_b64 v[7:8], v7, v[22:23]
	v_sub_u32_e32 v8, 29, v25
	v_and_b32_e32 v7, 7, v7
	v_cndmask_b32_e32 v8, v24, v8, vcc
	v_cndmask_b32_e32 v7, v23, v7, vcc
	v_lshlrev_b32_e32 v0, 16, v0
	v_bfrev_b32_e32 v1, 60
	v_lshlrev_b32_e32 v7, 20, v7
	v_and_b32_e32 v0, 0x80000000, v0
	v_lshl_add_u32 v8, v8, 23, v1
	v_or3_b32 v7, v0, v8, v7
.LBB6_2024:                             ;   in Loop: Header=BB6_128 Depth=2
	s_or_b64 exec, exec, s[88:89]
.LBB6_2025:                             ;   in Loop: Header=BB6_128 Depth=2
	s_or_b64 exec, exec, s[78:79]
.LBB6_2026:                             ;   in Loop: Header=BB6_128 Depth=2
	s_or_b64 exec, exec, s[20:21]
	v_lshrrev_b16_e32 v22, 8, v18
	v_cmp_ne_u16_e32 vcc, 0, v22
	s_and_saveexec_b64 s[20:21], vcc
	s_cbranch_execz .LBB6_2032
; %bb.2027:                             ;   in Loop: Header=BB6_128 Depth=2
	v_cmp_ne_u16_e32 vcc, s53, v22
	v_bfrev_b32_e32 v3, 1
	s_and_saveexec_b64 s[78:79], vcc
	s_cbranch_execz .LBB6_2031
; %bb.2028:                             ;   in Loop: Header=BB6_128 Depth=2
	v_and_b32_e32 v0, 0x7f, v22
	v_cmp_ne_u32_e32 vcc, s51, v0
	v_mov_b32_e32 v3, 0x7f800001
	s_and_saveexec_b64 s[88:89], vcc
	s_cbranch_execz .LBB6_2030
; %bb.2029:                             ;   in Loop: Header=BB6_128 Depth=2
	v_and_b32_e32 v3, 7, v22
	v_lshrrev_b32_e32 v8, 3, v0
	v_cmp_gt_u32_e32 vcc, 8, v0
	v_ffbh_u32_e32 v0, v3
	v_min_u32_e32 v0, 32, v0
	v_subrev_u32_e32 v23, 28, v0
	v_lshlrev_b64 v[22:23], v23, v[22:23]
	v_sub_u32_e32 v0, 29, v0
	v_and_b32_e32 v22, 7, v22
	v_cndmask_b32_e32 v0, v8, v0, vcc
	v_cndmask_b32_e32 v3, v3, v22, vcc
	v_lshlrev_b32_e32 v8, 16, v18
	v_bfrev_b32_e32 v1, 60
	v_lshlrev_b32_e32 v3, 20, v3
	v_and_b32_e32 v8, 0x80000000, v8
	v_lshl_add_u32 v0, v0, 23, v1
	v_or3_b32 v3, v8, v0, v3
.LBB6_2030:                             ;   in Loop: Header=BB6_128 Depth=2
	s_or_b64 exec, exec, s[88:89]
.LBB6_2031:                             ;   in Loop: Header=BB6_128 Depth=2
	s_or_b64 exec, exec, s[78:79]
.LBB6_2032:                             ;   in Loop: Header=BB6_128 Depth=2
	s_or_b64 exec, exec, s[20:21]
	v_add_f32_e32 v3, v7, v3
	v_and_b32_e32 v7, 0x7f800000, v3
	v_mov_b32_e32 v8, v53
	v_cmp_ne_u64_e32 vcc, s[56:57], v[7:8]
                                        ; implicit-def: $vgpr0
                                        ; kill: killed $vgpr0
	s_and_saveexec_b64 s[20:21], vcc
	s_xor_b64 s[78:79], exec, s[20:21]
	s_cbranch_execz .LBB6_2046
; %bb.2033:                             ;   in Loop: Header=BB6_128 Depth=2
	v_and_b32_e32 v7, 0x7fffffff, v3
	v_mov_b32_e32 v8, v53
	v_cmp_gt_u64_e32 vcc, s[58:59], v[7:8]
	v_and_b32_sdwa v0, v3, s53 dst_sel:DWORD dst_unused:UNUSED_PAD src0_sel:BYTE_3 src1_sel:DWORD
                                        ; implicit-def: $vgpr1
                                        ; kill: killed $vgpr1
	s_and_saveexec_b64 s[20:21], vcc
	s_xor_b64 s[88:89], exec, s[20:21]
	s_cbranch_execz .LBB6_2043
; %bb.2034:                             ;   in Loop: Header=BB6_128 Depth=2
	v_mov_b32_e32 v1, 0
	v_cmp_ne_u32_e32 vcc, 0, v3
	buffer_store_dword v1, off, s[0:3], s33 offset:288 ; 4-byte Folded Spill
	s_and_saveexec_b64 s[90:91], vcc
	s_cbranch_execz .LBB6_2042
; %bb.2035:                             ;   in Loop: Header=BB6_128 Depth=2
	v_and_b32_e32 v8, 0x7fffff, v3
	v_bfe_u32 v3, v3, 23, 8
	v_cmp_gt_u32_e64 s[20:21], s54, v3
	v_sub_u32_e32 v7, 0x79, v3
	v_cmp_eq_u32_e32 vcc, 0, v3
	v_cndmask_b32_e64 v7, 0, v7, s[20:21]
	v_mov_b32_e32 v23, 0x78
	v_or_b32_e32 v22, 0x800000, v8
	v_cndmask_b32_e32 v7, v7, v23, vcc
	v_cndmask_b32_e32 v22, v22, v8, vcc
	v_add_u32_e32 v8, 20, v7
	v_lshlrev_b64 v[24:25], v8, -1
	v_mov_b32_e32 v23, v53
	v_add_u32_e32 v8, 19, v7
	v_bfi_b32 v24, v24, 0, v22
	v_lshlrev_b64 v[27:28], v8, 1
	v_lshrrev_b64 v[22:23], v7, v[22:23]
	v_bfi_b32 v25, v25, 0, 0
	v_cmp_eq_u64_e64 s[20:21], v[24:25], v[27:28]
	v_mov_b32_e32 v24, v23
	v_mov_b32_e32 v23, v22
	s_and_saveexec_b64 s[92:93], s[20:21]
; %bb.2036:                             ;   in Loop: Header=BB6_128 Depth=2
	v_bfe_u32 v8, v22, 20, 1
	v_add_co_u32_e64 v8, s[20:21], v22, v8
	v_add_co_u32_e64 v23, s[20:21], -1, v8
; %bb.2037:                             ;   in Loop: Header=BB6_128 Depth=2
	s_or_b64 exec, exec, s[92:93]
	v_add_u32_e32 v3, 0xffffff81, v3
	v_mov_b32_e32 v8, 0xffffff82
	v_cndmask_b32_e32 v3, v3, v8, vcc
	v_lshrrev_b32_e32 v8, 23, v22
	v_add3_u32 v8, v7, v3, v8
	v_add_u32_e32 v7, 6, v8
	v_and_b32_e32 v3, 0xfffff, v23
	v_add_u32_e32 v22, v3, v22
	v_mov_b32_e32 v23, v53
	v_cmp_ne_u32_e32 vcc, 0, v7
                                        ; implicit-def: $vgpr3
	s_and_saveexec_b64 s[20:21], vcc
	s_xor_b64 s[20:21], exec, s[20:21]
; %bb.2038:                             ;   in Loop: Header=BB6_128 Depth=2
	v_cmp_lt_u64_e32 vcc, s[60:61], v[22:23]
	v_add_u32_e32 v3, 7, v8
	v_cndmask_b32_e32 v3, v7, v3, vcc
	v_cndmask_b32_e64 v7, 0, 1, vcc
	v_lshrrev_b64 v[22:23], v7, v[22:23]
; %bb.2039:                             ;   in Loop: Header=BB6_128 Depth=2
	s_andn2_saveexec_b64 s[20:21], s[20:21]
; %bb.2040:                             ;   in Loop: Header=BB6_128 Depth=2
	v_bfe_u32 v3, v22, 23, 1
; %bb.2041:                             ;   in Loop: Header=BB6_128 Depth=2
	s_or_b64 exec, exec, s[20:21]
	v_lshrrev_b64 v[7:8], 20, v[22:23]
	v_cmp_gt_i32_e32 vcc, 16, v3
	v_cndmask_b32_e32 v8, 0, v8, vcc
	v_cndmask_b32_e32 v7, 7, v7, vcc
	v_cmp_eq_u32_e32 vcc, 0, v3
	v_min_i32_e32 v3, 15, v3
	v_cmp_eq_u64_e64 s[20:21], 0, v[7:8]
	v_lshlrev_b32_e32 v3, 3, v3
	v_and_b32_e32 v3, 0xf8, v3
	v_and_or_b32 v3, v7, 7, v3
	s_and_b64 s[20:21], vcc, s[20:21]
	v_cndmask_b32_e64 v3, v3, 0, s[20:21]
	v_or_b32_e32 v0, v3, v0
	buffer_store_dword v0, off, s[0:3], s33 offset:288 ; 4-byte Folded Spill
.LBB6_2042:                             ;   in Loop: Header=BB6_128 Depth=2
	s_or_b64 exec, exec, s[90:91]
                                        ; implicit-def: $vgpr0
.LBB6_2043:                             ;   in Loop: Header=BB6_128 Depth=2
	s_andn2_saveexec_b64 s[20:21], s[88:89]
	s_cbranch_execz .LBB6_2045
; %bb.2044:                             ;   in Loop: Header=BB6_128 Depth=2
	v_or_b32_e32 v0, 0x7e, v0
	buffer_store_dword v0, off, s[0:3], s33 offset:288 ; 4-byte Folded Spill
.LBB6_2045:                             ;   in Loop: Header=BB6_128 Depth=2
	s_or_b64 exec, exec, s[20:21]
                                        ; implicit-def: $vgpr3
.LBB6_2046:                             ;   in Loop: Header=BB6_128 Depth=2
	s_andn2_saveexec_b64 s[20:21], s[78:79]
	s_cbranch_execz .LBB6_2048
; %bb.2047:                             ;   in Loop: Header=BB6_128 Depth=2
	v_or_b32_sdwa v0, v3, s51 dst_sel:DWORD dst_unused:UNUSED_PAD src0_sel:BYTE_3 src1_sel:DWORD
	buffer_store_dword v0, off, s[0:3], s33 offset:288 ; 4-byte Folded Spill
.LBB6_2048:                             ;   in Loop: Header=BB6_128 Depth=2
	s_or_b64 exec, exec, s[20:21]
	v_lshrrev_b32_e32 v22, 16, v52
	v_cmp_ne_u16_sdwa s[78:79], v22, v53 src0_sel:BYTE_0 src1_sel:DWORD
	v_mov_b32_e32 v0, 0
	v_mov_b32_e32 v3, 0
	s_and_saveexec_b64 s[20:21], s[78:79]
	s_cbranch_execz .LBB6_2054
; %bb.2049:                             ;   in Loop: Header=BB6_128 Depth=2
	v_cmp_ne_u16_sdwa s[88:89], v22, s53 src0_sel:BYTE_0 src1_sel:DWORD
	v_bfrev_b32_e32 v3, 1
	s_and_saveexec_b64 s[78:79], s[88:89]
	s_cbranch_execz .LBB6_2053
; %bb.2050:                             ;   in Loop: Header=BB6_128 Depth=2
	v_bfe_u32 v7, v52, 16, 7
	v_cmp_ne_u32_e32 vcc, s51, v7
	v_mov_b32_e32 v3, 0x7f800001
	s_and_saveexec_b64 s[88:89], vcc
	s_cbranch_execz .LBB6_2052
; %bb.2051:                             ;   in Loop: Header=BB6_128 Depth=2
	v_and_b32_e32 v3, 7, v22
	v_lshrrev_b32_e32 v23, 3, v7
	v_cmp_gt_u32_e32 vcc, 8, v7
	v_ffbh_u32_e32 v7, v3
	v_min_u32_e32 v24, 32, v7
	v_subrev_u32_e32 v7, 28, v24
	v_lshlrev_b64 v[7:8], v7, v[22:23]
	v_sub_u32_e32 v8, 29, v24
	v_and_b32_e32 v7, 7, v7
	v_cndmask_b32_e32 v8, v23, v8, vcc
	v_cndmask_b32_e32 v3, v3, v7, vcc
	v_lshlrev_b32_e32 v7, 24, v22
	v_bfrev_b32_e32 v1, 60
	v_lshlrev_b32_e32 v3, 20, v3
	v_and_b32_e32 v7, 0x80000000, v7
	v_lshl_add_u32 v8, v8, 23, v1
	v_or3_b32 v3, v7, v8, v3
.LBB6_2052:                             ;   in Loop: Header=BB6_128 Depth=2
	s_or_b64 exec, exec, s[88:89]
.LBB6_2053:                             ;   in Loop: Header=BB6_128 Depth=2
	s_or_b64 exec, exec, s[78:79]
.LBB6_2054:                             ;   in Loop: Header=BB6_128 Depth=2
	s_or_b64 exec, exec, s[20:21]
	v_lshrrev_b32_e32 v22, 16, v18
	v_cmp_ne_u16_sdwa s[78:79], v22, v53 src0_sel:BYTE_0 src1_sel:DWORD
	s_and_saveexec_b64 s[20:21], s[78:79]
	s_cbranch_execz .LBB6_2060
; %bb.2055:                             ;   in Loop: Header=BB6_128 Depth=2
	v_cmp_ne_u16_sdwa s[88:89], v22, s53 src0_sel:BYTE_0 src1_sel:DWORD
	v_bfrev_b32_e32 v0, 1
	s_and_saveexec_b64 s[78:79], s[88:89]
	s_cbranch_execz .LBB6_2059
; %bb.2056:                             ;   in Loop: Header=BB6_128 Depth=2
	v_bfe_u32 v7, v18, 16, 7
	v_cmp_ne_u32_e32 vcc, s51, v7
	v_mov_b32_e32 v0, 0x7f800001
	s_and_saveexec_b64 s[88:89], vcc
	s_cbranch_execz .LBB6_2058
; %bb.2057:                             ;   in Loop: Header=BB6_128 Depth=2
	v_and_b32_e32 v0, 7, v22
	v_lshrrev_b32_e32 v23, 3, v7
	v_cmp_gt_u32_e32 vcc, 8, v7
	v_ffbh_u32_e32 v7, v0
	v_min_u32_e32 v24, 32, v7
	v_subrev_u32_e32 v7, 28, v24
	v_lshlrev_b64 v[7:8], v7, v[22:23]
	v_sub_u32_e32 v8, 29, v24
	v_and_b32_e32 v7, 7, v7
	v_cndmask_b32_e32 v8, v23, v8, vcc
	v_cndmask_b32_e32 v0, v0, v7, vcc
	v_lshlrev_b32_e32 v7, 8, v18
	v_bfrev_b32_e32 v1, 60
	v_lshlrev_b32_e32 v0, 20, v0
	v_and_b32_e32 v7, 0x80000000, v7
	v_lshl_add_u32 v8, v8, 23, v1
	v_or3_b32 v0, v7, v8, v0
.LBB6_2058:                             ;   in Loop: Header=BB6_128 Depth=2
	s_or_b64 exec, exec, s[88:89]
.LBB6_2059:                             ;   in Loop: Header=BB6_128 Depth=2
	s_or_b64 exec, exec, s[78:79]
.LBB6_2060:                             ;   in Loop: Header=BB6_128 Depth=2
	s_or_b64 exec, exec, s[20:21]
	v_add_f32_e32 v3, v3, v0
	v_and_b32_e32 v7, 0x7f800000, v3
	v_mov_b32_e32 v8, v53
	v_cmp_ne_u64_e32 vcc, s[56:57], v[7:8]
                                        ; implicit-def: $vgpr0
                                        ; kill: killed $vgpr0
	s_and_saveexec_b64 s[20:21], vcc
	s_xor_b64 s[78:79], exec, s[20:21]
	s_cbranch_execz .LBB6_2074
; %bb.2061:                             ;   in Loop: Header=BB6_128 Depth=2
	v_and_b32_e32 v7, 0x7fffffff, v3
	v_mov_b32_e32 v8, v53
	v_cmp_gt_u64_e32 vcc, s[58:59], v[7:8]
	v_and_b32_sdwa v0, v3, s53 dst_sel:DWORD dst_unused:UNUSED_PAD src0_sel:BYTE_3 src1_sel:DWORD
                                        ; implicit-def: $vgpr1
                                        ; kill: killed $vgpr1
	s_and_saveexec_b64 s[20:21], vcc
	s_xor_b64 s[88:89], exec, s[20:21]
	s_cbranch_execz .LBB6_2071
; %bb.2062:                             ;   in Loop: Header=BB6_128 Depth=2
	v_mov_b32_e32 v1, 0
	v_cmp_ne_u32_e32 vcc, 0, v3
	buffer_store_dword v1, off, s[0:3], s33 offset:312 ; 4-byte Folded Spill
	s_and_saveexec_b64 s[90:91], vcc
	s_cbranch_execz .LBB6_2070
; %bb.2063:                             ;   in Loop: Header=BB6_128 Depth=2
	v_and_b32_e32 v8, 0x7fffff, v3
	v_bfe_u32 v3, v3, 23, 8
	v_cmp_gt_u32_e64 s[20:21], s54, v3
	v_sub_u32_e32 v7, 0x79, v3
	v_cmp_eq_u32_e32 vcc, 0, v3
	v_cndmask_b32_e64 v7, 0, v7, s[20:21]
	v_mov_b32_e32 v23, 0x78
	v_or_b32_e32 v22, 0x800000, v8
	v_cndmask_b32_e32 v7, v7, v23, vcc
	v_cndmask_b32_e32 v22, v22, v8, vcc
	v_add_u32_e32 v8, 20, v7
	v_lshlrev_b64 v[24:25], v8, -1
	v_mov_b32_e32 v23, v53
	v_add_u32_e32 v8, 19, v7
	v_bfi_b32 v24, v24, 0, v22
	v_lshlrev_b64 v[27:28], v8, 1
	v_lshrrev_b64 v[22:23], v7, v[22:23]
	v_bfi_b32 v25, v25, 0, 0
	v_cmp_eq_u64_e64 s[20:21], v[24:25], v[27:28]
	v_mov_b32_e32 v24, v23
	v_mov_b32_e32 v23, v22
	s_and_saveexec_b64 s[92:93], s[20:21]
; %bb.2064:                             ;   in Loop: Header=BB6_128 Depth=2
	v_bfe_u32 v8, v22, 20, 1
	v_add_co_u32_e64 v8, s[20:21], v22, v8
	v_add_co_u32_e64 v23, s[20:21], -1, v8
; %bb.2065:                             ;   in Loop: Header=BB6_128 Depth=2
	s_or_b64 exec, exec, s[92:93]
	v_add_u32_e32 v3, 0xffffff81, v3
	v_mov_b32_e32 v8, 0xffffff82
	v_cndmask_b32_e32 v3, v3, v8, vcc
	v_lshrrev_b32_e32 v8, 23, v22
	v_add3_u32 v8, v7, v3, v8
	v_add_u32_e32 v7, 6, v8
	v_and_b32_e32 v3, 0xfffff, v23
	v_add_u32_e32 v22, v3, v22
	v_mov_b32_e32 v23, v53
	v_cmp_ne_u32_e32 vcc, 0, v7
                                        ; implicit-def: $vgpr3
	s_and_saveexec_b64 s[20:21], vcc
	s_xor_b64 s[20:21], exec, s[20:21]
; %bb.2066:                             ;   in Loop: Header=BB6_128 Depth=2
	v_cmp_lt_u64_e32 vcc, s[60:61], v[22:23]
	v_add_u32_e32 v3, 7, v8
	v_cndmask_b32_e32 v3, v7, v3, vcc
	v_cndmask_b32_e64 v7, 0, 1, vcc
	v_lshrrev_b64 v[22:23], v7, v[22:23]
; %bb.2067:                             ;   in Loop: Header=BB6_128 Depth=2
	s_andn2_saveexec_b64 s[20:21], s[20:21]
; %bb.2068:                             ;   in Loop: Header=BB6_128 Depth=2
	v_bfe_u32 v3, v22, 23, 1
; %bb.2069:                             ;   in Loop: Header=BB6_128 Depth=2
	s_or_b64 exec, exec, s[20:21]
	v_lshrrev_b64 v[7:8], 20, v[22:23]
	v_cmp_gt_i32_e32 vcc, 16, v3
	v_cndmask_b32_e32 v8, 0, v8, vcc
	v_cndmask_b32_e32 v7, 7, v7, vcc
	v_cmp_eq_u32_e32 vcc, 0, v3
	v_min_i32_e32 v3, 15, v3
	v_cmp_eq_u64_e64 s[20:21], 0, v[7:8]
	v_lshlrev_b32_e32 v3, 3, v3
	v_and_b32_e32 v3, 0xf8, v3
	v_and_or_b32 v3, v7, 7, v3
	s_and_b64 s[20:21], vcc, s[20:21]
	v_cndmask_b32_e64 v3, v3, 0, s[20:21]
	v_or_b32_e32 v0, v3, v0
	buffer_store_dword v0, off, s[0:3], s33 offset:312 ; 4-byte Folded Spill
.LBB6_2070:                             ;   in Loop: Header=BB6_128 Depth=2
	s_or_b64 exec, exec, s[90:91]
                                        ; implicit-def: $vgpr0
.LBB6_2071:                             ;   in Loop: Header=BB6_128 Depth=2
	s_andn2_saveexec_b64 s[20:21], s[88:89]
	s_cbranch_execz .LBB6_2073
; %bb.2072:                             ;   in Loop: Header=BB6_128 Depth=2
	v_or_b32_e32 v0, 0x7e, v0
	buffer_store_dword v0, off, s[0:3], s33 offset:312 ; 4-byte Folded Spill
.LBB6_2073:                             ;   in Loop: Header=BB6_128 Depth=2
	s_or_b64 exec, exec, s[20:21]
                                        ; implicit-def: $vgpr3
.LBB6_2074:                             ;   in Loop: Header=BB6_128 Depth=2
	s_andn2_saveexec_b64 s[20:21], s[78:79]
	s_cbranch_execz .LBB6_2076
; %bb.2075:                             ;   in Loop: Header=BB6_128 Depth=2
	v_or_b32_sdwa v0, v3, s51 dst_sel:DWORD dst_unused:UNUSED_PAD src0_sel:BYTE_3 src1_sel:DWORD
	buffer_store_dword v0, off, s[0:3], s33 offset:312 ; 4-byte Folded Spill
.LBB6_2076:                             ;   in Loop: Header=BB6_128 Depth=2
	s_or_b64 exec, exec, s[20:21]
	v_cmp_lt_u32_e32 vcc, s63, v52
	v_mov_b32_e32 v0, 0
	v_mov_b32_e32 v3, 0
	s_and_saveexec_b64 s[20:21], vcc
	s_cbranch_execz .LBB6_2082
; %bb.2077:                             ;   in Loop: Header=BB6_128 Depth=2
	v_lshrrev_b32_e32 v22, 24, v52
	v_cmp_ne_u32_sdwa s[88:89], v52, s53 src0_sel:BYTE_3 src1_sel:DWORD
	v_bfrev_b32_e32 v3, 1
	s_and_saveexec_b64 s[78:79], s[88:89]
	s_cbranch_execz .LBB6_2081
; %bb.2078:                             ;   in Loop: Header=BB6_128 Depth=2
	v_bfe_u32 v7, v52, 24, 7
	v_cmp_ne_u32_e32 vcc, s51, v7
	v_mov_b32_e32 v3, 0x7f800001
	s_and_saveexec_b64 s[88:89], vcc
	s_cbranch_execz .LBB6_2080
; %bb.2079:                             ;   in Loop: Header=BB6_128 Depth=2
	v_and_b32_e32 v3, 7, v22
	v_lshrrev_b32_e32 v23, 3, v7
	v_cmp_gt_u32_e32 vcc, 8, v7
	v_ffbh_u32_e32 v7, v3
	v_min_u32_e32 v24, 32, v7
	v_subrev_u32_e32 v7, 28, v24
	v_lshlrev_b64 v[7:8], v7, v[22:23]
	v_sub_u32_e32 v8, 29, v24
	v_and_b32_e32 v7, 7, v7
	v_cndmask_b32_e32 v3, v3, v7, vcc
	v_mov_b32_e32 v7, 24
	v_cndmask_b32_e32 v8, v23, v8, vcc
	v_lshlrev_b32_sdwa v7, v7, v52 dst_sel:DWORD dst_unused:UNUSED_PAD src0_sel:DWORD src1_sel:BYTE_3
	v_bfrev_b32_e32 v1, 60
	v_lshlrev_b32_e32 v3, 20, v3
	v_and_b32_e32 v7, 0x80000000, v7
	v_lshl_add_u32 v8, v8, 23, v1
	v_or3_b32 v3, v7, v8, v3
.LBB6_2080:                             ;   in Loop: Header=BB6_128 Depth=2
	s_or_b64 exec, exec, s[88:89]
.LBB6_2081:                             ;   in Loop: Header=BB6_128 Depth=2
	s_or_b64 exec, exec, s[78:79]
.LBB6_2082:                             ;   in Loop: Header=BB6_128 Depth=2
	s_or_b64 exec, exec, s[20:21]
	v_cmp_lt_u32_e32 vcc, s63, v18
	s_and_saveexec_b64 s[20:21], vcc
	s_cbranch_execz .LBB6_2088
; %bb.2083:                             ;   in Loop: Header=BB6_128 Depth=2
	v_lshrrev_b32_e32 v22, 24, v18
	v_cmp_ne_u32_e32 vcc, s53, v22
	v_bfrev_b32_e32 v0, 1
	s_and_saveexec_b64 s[78:79], vcc
	s_cbranch_execz .LBB6_2087
; %bb.2084:                             ;   in Loop: Header=BB6_128 Depth=2
	v_bfe_u32 v7, v18, 24, 7
	v_cmp_ne_u32_e32 vcc, s51, v7
	v_mov_b32_e32 v0, 0x7f800001
	s_and_saveexec_b64 s[88:89], vcc
	s_cbranch_execz .LBB6_2086
; %bb.2085:                             ;   in Loop: Header=BB6_128 Depth=2
	v_and_b32_e32 v0, 7, v22
	v_lshrrev_b32_e32 v23, 3, v7
	v_cmp_gt_u32_e32 vcc, 8, v7
	v_ffbh_u32_e32 v7, v0
	v_min_u32_e32 v24, 32, v7
	v_subrev_u32_e32 v7, 28, v24
	v_lshlrev_b64 v[7:8], v7, v[22:23]
	v_sub_u32_e32 v8, 29, v24
	v_and_b32_e32 v7, 7, v7
	v_cndmask_b32_e32 v8, v23, v8, vcc
	v_cndmask_b32_e32 v0, v0, v7, vcc
	v_lshlrev_b32_e32 v7, 24, v22
	v_bfrev_b32_e32 v1, 60
	v_lshlrev_b32_e32 v0, 20, v0
	v_and_b32_e32 v7, 0x80000000, v7
	v_lshl_add_u32 v8, v8, 23, v1
	v_or3_b32 v0, v7, v8, v0
.LBB6_2086:                             ;   in Loop: Header=BB6_128 Depth=2
	s_or_b64 exec, exec, s[88:89]
.LBB6_2087:                             ;   in Loop: Header=BB6_128 Depth=2
	s_or_b64 exec, exec, s[78:79]
.LBB6_2088:                             ;   in Loop: Header=BB6_128 Depth=2
	s_or_b64 exec, exec, s[20:21]
	v_add_f32_e32 v3, v3, v0
	v_and_b32_e32 v52, 0x7f800000, v3
	v_cmp_ne_u64_e32 vcc, s[56:57], v[52:53]
                                        ; implicit-def: $vgpr0
                                        ; kill: killed $vgpr0
	s_and_saveexec_b64 s[20:21], vcc
	s_xor_b64 s[78:79], exec, s[20:21]
	s_cbranch_execz .LBB6_2102
; %bb.2089:                             ;   in Loop: Header=BB6_128 Depth=2
	v_and_b32_e32 v52, 0x7fffffff, v3
	v_cmp_gt_u64_e32 vcc, s[58:59], v[52:53]
	v_and_b32_sdwa v0, v3, s53 dst_sel:DWORD dst_unused:UNUSED_PAD src0_sel:BYTE_3 src1_sel:DWORD
                                        ; implicit-def: $vgpr1
                                        ; kill: killed $vgpr1
	s_and_saveexec_b64 s[20:21], vcc
	s_xor_b64 s[88:89], exec, s[20:21]
	s_cbranch_execz .LBB6_2099
; %bb.2090:                             ;   in Loop: Header=BB6_128 Depth=2
	v_mov_b32_e32 v1, 0
	v_cmp_ne_u32_e32 vcc, 0, v3
	buffer_store_dword v1, off, s[0:3], s33 offset:316 ; 4-byte Folded Spill
	s_and_saveexec_b64 s[90:91], vcc
	s_cbranch_execz .LBB6_2098
; %bb.2091:                             ;   in Loop: Header=BB6_128 Depth=2
	v_and_b32_e32 v8, 0x7fffff, v3
	v_bfe_u32 v3, v3, 23, 8
	v_cmp_gt_u32_e64 s[20:21], s54, v3
	v_sub_u32_e32 v7, 0x79, v3
	v_cmp_eq_u32_e32 vcc, 0, v3
	v_cndmask_b32_e64 v7, 0, v7, s[20:21]
	v_mov_b32_e32 v23, 0x78
	v_or_b32_e32 v22, 0x800000, v8
	v_cndmask_b32_e32 v7, v7, v23, vcc
	v_cndmask_b32_e32 v52, v22, v8, vcc
	v_add_u32_e32 v8, 20, v7
	v_lshlrev_b64 v[22:23], v8, -1
	v_add_u32_e32 v8, 19, v7
	v_lshlrev_b64 v[24:25], v8, 1
	v_bfi_b32 v23, v23, 0, 0
	v_bfi_b32 v22, v22, 0, v52
	v_cmp_eq_u64_e64 s[20:21], v[22:23], v[24:25]
	v_lshrrev_b64 v[22:23], v7, v[52:53]
	v_mov_b32_e32 v24, v23
	v_mov_b32_e32 v23, v22
	s_and_saveexec_b64 s[92:93], s[20:21]
; %bb.2092:                             ;   in Loop: Header=BB6_128 Depth=2
	v_bfe_u32 v8, v22, 20, 1
	v_add_co_u32_e64 v8, s[20:21], v22, v8
	v_add_co_u32_e64 v23, s[20:21], -1, v8
; %bb.2093:                             ;   in Loop: Header=BB6_128 Depth=2
	s_or_b64 exec, exec, s[92:93]
	v_add_u32_e32 v3, 0xffffff81, v3
	v_mov_b32_e32 v8, 0xffffff82
	v_cndmask_b32_e32 v3, v3, v8, vcc
	v_lshrrev_b32_e32 v8, 23, v22
	v_add3_u32 v8, v7, v3, v8
	v_add_u32_e32 v7, 6, v8
	v_and_b32_e32 v3, 0xfffff, v23
	v_add_u32_e32 v52, v3, v22
	v_cmp_ne_u32_e32 vcc, 0, v7
                                        ; implicit-def: $vgpr22_vgpr23
                                        ; implicit-def: $vgpr3
	s_and_saveexec_b64 s[20:21], vcc
	s_xor_b64 s[20:21], exec, s[20:21]
; %bb.2094:                             ;   in Loop: Header=BB6_128 Depth=2
	v_cmp_lt_u64_e32 vcc, s[60:61], v[52:53]
	v_add_u32_e32 v3, 7, v8
	v_cndmask_b32_e32 v3, v7, v3, vcc
	v_cndmask_b32_e64 v7, 0, 1, vcc
	v_lshrrev_b64 v[22:23], v7, v[52:53]
; %bb.2095:                             ;   in Loop: Header=BB6_128 Depth=2
	s_andn2_saveexec_b64 s[20:21], s[20:21]
; %bb.2096:                             ;   in Loop: Header=BB6_128 Depth=2
	v_mov_b32_e32 v22, v52
	v_bfe_u32 v3, v52, 23, 1
	v_mov_b32_e32 v23, v53
; %bb.2097:                             ;   in Loop: Header=BB6_128 Depth=2
	s_or_b64 exec, exec, s[20:21]
	v_lshrrev_b64 v[7:8], 20, v[22:23]
	v_cmp_gt_i32_e32 vcc, 16, v3
	v_cndmask_b32_e32 v8, 0, v8, vcc
	v_cndmask_b32_e32 v7, 7, v7, vcc
	v_cmp_eq_u32_e32 vcc, 0, v3
	v_min_i32_e32 v3, 15, v3
	v_cmp_eq_u64_e64 s[20:21], 0, v[7:8]
	v_lshlrev_b32_e32 v3, 3, v3
	v_and_b32_e32 v3, 0xf8, v3
	v_and_or_b32 v3, v7, 7, v3
	s_and_b64 s[20:21], vcc, s[20:21]
	v_cndmask_b32_e64 v3, v3, 0, s[20:21]
	v_or_b32_e32 v0, v3, v0
	buffer_store_dword v0, off, s[0:3], s33 offset:316 ; 4-byte Folded Spill
.LBB6_2098:                             ;   in Loop: Header=BB6_128 Depth=2
	s_or_b64 exec, exec, s[90:91]
                                        ; implicit-def: $vgpr0
.LBB6_2099:                             ;   in Loop: Header=BB6_128 Depth=2
	s_andn2_saveexec_b64 s[20:21], s[88:89]
	s_cbranch_execz .LBB6_2101
; %bb.2100:                             ;   in Loop: Header=BB6_128 Depth=2
	v_or_b32_e32 v0, 0x7e, v0
	buffer_store_dword v0, off, s[0:3], s33 offset:316 ; 4-byte Folded Spill
.LBB6_2101:                             ;   in Loop: Header=BB6_128 Depth=2
	s_or_b64 exec, exec, s[20:21]
                                        ; implicit-def: $vgpr3
.LBB6_2102:                             ;   in Loop: Header=BB6_128 Depth=2
	s_andn2_saveexec_b64 s[20:21], s[78:79]
	s_cbranch_execz .LBB6_2104
; %bb.2103:                             ;   in Loop: Header=BB6_128 Depth=2
	v_or_b32_sdwa v0, v3, s51 dst_sel:DWORD dst_unused:UNUSED_PAD src0_sel:BYTE_3 src1_sel:DWORD
	buffer_store_dword v0, off, s[0:3], s33 offset:316 ; 4-byte Folded Spill
.LBB6_2104:                             ;   in Loop: Header=BB6_128 Depth=2
	s_or_b64 exec, exec, s[20:21]
	buffer_load_dword v1, off, s[0:3], s33 offset:272 ; 4-byte Folded Reload
	v_lshl_or_b32 v0, v45, 8, v44
	v_cmp_ne_u32_e32 vcc, 0, v44
	s_waitcnt vmcnt(0)
	v_lshlrev_b32_e32 v3, 16, v1
	buffer_load_dword v1, off, s[0:3], s33 offset:292 ; 4-byte Folded Reload
	s_waitcnt vmcnt(0)
	v_lshlrev_b32_e32 v1, 24, v1
	v_or3_b32 v52, v3, v1, v0
	v_mov_b32_e32 v3, 0
	v_mov_b32_e32 v1, 0
	s_and_saveexec_b64 s[20:21], vcc
	s_cbranch_execz .LBB6_2110
; %bb.2105:                             ;   in Loop: Header=BB6_128 Depth=2
	v_cmp_ne_u32_e32 vcc, s53, v44
	v_bfrev_b32_e32 v1, 1
	s_and_saveexec_b64 s[78:79], vcc
	s_cbranch_execz .LBB6_2109
; %bb.2106:                             ;   in Loop: Header=BB6_128 Depth=2
	v_and_b32_e32 v7, 0x7f, v44
	v_cmp_ne_u32_e32 vcc, s51, v7
	v_mov_b32_e32 v1, 0x7f800001
	s_and_saveexec_b64 s[88:89], vcc
	s_cbranch_execz .LBB6_2108
; %bb.2107:                             ;   in Loop: Header=BB6_128 Depth=2
	v_and_b32_e32 v1, 7, v44
	v_ffbh_u32_e32 v1, v1
	v_min_u32_e32 v1, 32, v1
	v_lshrrev_b32_e32 v8, 3, v7
	v_cmp_gt_u32_e32 vcc, 8, v7
	v_subrev_u32_e32 v7, 28, v1
	v_sub_u32_e32 v1, 29, v1
	v_cndmask_b32_e32 v7, 0, v7, vcc
	v_cndmask_b32_e32 v1, v8, v1, vcc
	v_lshlrev_b64 v[7:8], v7, v[52:53]
	v_lshlrev_b32_e32 v8, 24, v52
	v_lshlrev_b32_e32 v7, 20, v7
	v_bfrev_b32_e32 v22, 60
	v_and_b32_e32 v7, 0x700000, v7
	v_and_b32_e32 v8, 0x80000000, v8
	v_lshl_add_u32 v1, v1, 23, v22
	v_or3_b32 v1, v8, v1, v7
.LBB6_2108:                             ;   in Loop: Header=BB6_128 Depth=2
	s_or_b64 exec, exec, s[88:89]
.LBB6_2109:                             ;   in Loop: Header=BB6_128 Depth=2
	s_or_b64 exec, exec, s[78:79]
.LBB6_2110:                             ;   in Loop: Header=BB6_128 Depth=2
	s_or_b64 exec, exec, s[20:21]
	v_cmp_ne_u16_sdwa s[78:79], v19, v53 src0_sel:BYTE_0 src1_sel:DWORD
	s_and_saveexec_b64 s[20:21], s[78:79]
	s_cbranch_execz .LBB6_2116
; %bb.2111:                             ;   in Loop: Header=BB6_128 Depth=2
	v_cmp_ne_u16_sdwa s[88:89], v19, s53 src0_sel:BYTE_0 src1_sel:DWORD
	v_bfrev_b32_e32 v3, 1
	s_and_saveexec_b64 s[78:79], s[88:89]
	s_cbranch_execz .LBB6_2115
; %bb.2112:                             ;   in Loop: Header=BB6_128 Depth=2
	v_and_b32_e32 v7, 0x7f, v19
	v_cmp_ne_u32_e32 vcc, s51, v7
	v_mov_b32_e32 v3, 0x7f800001
	s_and_saveexec_b64 s[88:89], vcc
	s_cbranch_execz .LBB6_2114
; %bb.2113:                             ;   in Loop: Header=BB6_128 Depth=2
	v_and_b32_e32 v3, 7, v19
	v_ffbh_u32_e32 v3, v3
	v_min_u32_e32 v3, 32, v3
	v_lshrrev_b32_e32 v8, 3, v7
	v_cmp_gt_u32_e32 vcc, 8, v7
	v_subrev_u32_e32 v7, 28, v3
	v_mov_b32_e32 v22, v19
	v_mov_b32_e32 v23, v53
	v_sub_u32_e32 v3, 29, v3
	v_cndmask_b32_e32 v7, 0, v7, vcc
	v_cndmask_b32_e32 v3, v8, v3, vcc
	v_lshlrev_b64 v[7:8], v7, v[22:23]
	v_lshlrev_b32_e32 v8, 24, v22
	v_lshlrev_b32_e32 v7, 20, v7
	v_bfrev_b32_e32 v22, 60
	v_and_b32_e32 v7, 0x700000, v7
	v_and_b32_e32 v8, 0x80000000, v8
	v_lshl_add_u32 v3, v3, 23, v22
	v_or3_b32 v3, v8, v3, v7
.LBB6_2114:                             ;   in Loop: Header=BB6_128 Depth=2
	s_or_b64 exec, exec, s[88:89]
.LBB6_2115:                             ;   in Loop: Header=BB6_128 Depth=2
	s_or_b64 exec, exec, s[78:79]
.LBB6_2116:                             ;   in Loop: Header=BB6_128 Depth=2
	s_or_b64 exec, exec, s[20:21]
	v_add_f32_e32 v7, v1, v3
	v_and_b32_e32 v22, 0x7f800000, v7
	v_mov_b32_e32 v23, v53
	v_cmp_ne_u64_e32 vcc, s[56:57], v[22:23]
                                        ; implicit-def: $vgpr1
	s_and_saveexec_b64 s[20:21], vcc
	s_xor_b64 s[78:79], exec, s[20:21]
	s_cbranch_execz .LBB6_2130
; %bb.2117:                             ;   in Loop: Header=BB6_128 Depth=2
	v_and_b32_e32 v22, 0x7fffffff, v7
	v_mov_b32_e32 v23, v53
	v_cmp_gt_u64_e32 vcc, s[58:59], v[22:23]
	v_and_b32_sdwa v3, v7, s53 dst_sel:DWORD dst_unused:UNUSED_PAD src0_sel:BYTE_3 src1_sel:DWORD
                                        ; implicit-def: $vgpr1
	s_and_saveexec_b64 s[20:21], vcc
	s_xor_b64 s[88:89], exec, s[20:21]
	s_cbranch_execz .LBB6_2127
; %bb.2118:                             ;   in Loop: Header=BB6_128 Depth=2
	v_mov_b32_e32 v1, 0
	v_cmp_ne_u32_e32 vcc, 0, v7
	s_and_saveexec_b64 s[90:91], vcc
	s_cbranch_execz .LBB6_2126
; %bb.2119:                             ;   in Loop: Header=BB6_128 Depth=2
	v_bfe_u32 v1, v7, 23, 8
	v_and_b32_e32 v8, 0x7fffff, v7
	v_cmp_gt_u32_e64 s[20:21], s54, v1
	v_sub_u32_e32 v7, 0x79, v1
	v_cmp_eq_u32_e32 vcc, 0, v1
	v_cndmask_b32_e64 v7, 0, v7, s[20:21]
	v_mov_b32_e32 v23, 0x78
	v_or_b32_e32 v22, 0x800000, v8
	v_cndmask_b32_e32 v7, v7, v23, vcc
	v_cndmask_b32_e32 v22, v22, v8, vcc
	v_add_u32_e32 v8, 20, v7
	v_lshlrev_b64 v[24:25], v8, -1
	v_mov_b32_e32 v23, v53
	v_add_u32_e32 v8, 19, v7
	v_bfi_b32 v24, v24, 0, v22
	v_lshlrev_b64 v[27:28], v8, 1
	v_lshrrev_b64 v[22:23], v7, v[22:23]
	v_bfi_b32 v25, v25, 0, 0
	v_cmp_eq_u64_e64 s[20:21], v[24:25], v[27:28]
	v_mov_b32_e32 v24, v23
	v_mov_b32_e32 v23, v22
	s_and_saveexec_b64 s[92:93], s[20:21]
; %bb.2120:                             ;   in Loop: Header=BB6_128 Depth=2
	v_bfe_u32 v8, v22, 20, 1
	v_add_co_u32_e64 v8, s[20:21], v22, v8
	v_add_co_u32_e64 v23, s[20:21], -1, v8
; %bb.2121:                             ;   in Loop: Header=BB6_128 Depth=2
	s_or_b64 exec, exec, s[92:93]
	v_add_u32_e32 v1, 0xffffff81, v1
	v_mov_b32_e32 v8, 0xffffff82
	v_cndmask_b32_e32 v1, v1, v8, vcc
	v_lshrrev_b32_e32 v8, 23, v22
	v_add3_u32 v8, v7, v1, v8
	v_add_u32_e32 v7, 6, v8
	v_and_b32_e32 v1, 0xfffff, v23
	v_add_u32_e32 v22, v1, v22
	v_mov_b32_e32 v23, v53
	v_cmp_ne_u32_e32 vcc, 0, v7
                                        ; implicit-def: $vgpr1
	s_and_saveexec_b64 s[20:21], vcc
	s_xor_b64 s[20:21], exec, s[20:21]
; %bb.2122:                             ;   in Loop: Header=BB6_128 Depth=2
	v_cmp_lt_u64_e32 vcc, s[60:61], v[22:23]
	v_add_u32_e32 v1, 7, v8
	v_cndmask_b32_e32 v1, v7, v1, vcc
	v_cndmask_b32_e64 v7, 0, 1, vcc
	v_lshrrev_b64 v[22:23], v7, v[22:23]
; %bb.2123:                             ;   in Loop: Header=BB6_128 Depth=2
	s_andn2_saveexec_b64 s[20:21], s[20:21]
; %bb.2124:                             ;   in Loop: Header=BB6_128 Depth=2
	v_bfe_u32 v1, v22, 23, 1
; %bb.2125:                             ;   in Loop: Header=BB6_128 Depth=2
	s_or_b64 exec, exec, s[20:21]
	v_lshrrev_b64 v[7:8], 20, v[22:23]
	v_cmp_gt_i32_e32 vcc, 16, v1
	v_cndmask_b32_e32 v8, 0, v8, vcc
	v_cndmask_b32_e32 v7, 7, v7, vcc
	v_cmp_eq_u32_e32 vcc, 0, v1
	v_min_i32_e32 v1, 15, v1
	v_cmp_eq_u64_e64 s[20:21], 0, v[7:8]
	v_lshlrev_b32_e32 v1, 3, v1
	v_and_b32_e32 v1, 0xf8, v1
	v_and_or_b32 v1, v7, 7, v1
	s_and_b64 s[20:21], vcc, s[20:21]
	v_cndmask_b32_e64 v1, v1, 0, s[20:21]
	v_or_b32_e32 v1, v1, v3
.LBB6_2126:                             ;   in Loop: Header=BB6_128 Depth=2
	s_or_b64 exec, exec, s[90:91]
                                        ; implicit-def: $vgpr3
.LBB6_2127:                             ;   in Loop: Header=BB6_128 Depth=2
	s_andn2_saveexec_b64 s[20:21], s[88:89]
; %bb.2128:                             ;   in Loop: Header=BB6_128 Depth=2
	v_or_b32_e32 v1, 0x7e, v3
; %bb.2129:                             ;   in Loop: Header=BB6_128 Depth=2
	s_or_b64 exec, exec, s[20:21]
                                        ; implicit-def: $vgpr7
.LBB6_2130:                             ;   in Loop: Header=BB6_128 Depth=2
	s_andn2_saveexec_b64 s[20:21], s[78:79]
; %bb.2131:                             ;   in Loop: Header=BB6_128 Depth=2
	v_or_b32_sdwa v1, v7, s51 dst_sel:DWORD dst_unused:UNUSED_PAD src0_sel:BYTE_3 src1_sel:DWORD
; %bb.2132:                             ;   in Loop: Header=BB6_128 Depth=2
	s_or_b64 exec, exec, s[20:21]
	v_lshrrev_b16_e32 v22, 8, v0
	v_cmp_ne_u16_e32 vcc, 0, v22
	v_mov_b32_e32 v3, 0
	v_mov_b32_e32 v7, 0
	s_and_saveexec_b64 s[20:21], vcc
	s_cbranch_execz .LBB6_2138
; %bb.2133:                             ;   in Loop: Header=BB6_128 Depth=2
	v_cmp_ne_u16_e32 vcc, s53, v22
	v_bfrev_b32_e32 v7, 1
	s_and_saveexec_b64 s[78:79], vcc
	s_cbranch_execz .LBB6_2137
; %bb.2134:                             ;   in Loop: Header=BB6_128 Depth=2
	v_and_b32_e32 v8, 0x7f, v22
	v_cmp_ne_u32_e32 vcc, s51, v8
	v_mov_b32_e32 v7, 0x7f800001
	s_and_saveexec_b64 s[88:89], vcc
	s_cbranch_execz .LBB6_2136
; %bb.2135:                             ;   in Loop: Header=BB6_128 Depth=2
	v_and_b32_e32 v23, 7, v22
	v_ffbh_u32_e32 v7, v23
	v_min_u32_e32 v25, 32, v7
	v_subrev_u32_e32 v7, 28, v25
	v_lshrrev_b32_e32 v24, 3, v8
	v_cmp_gt_u32_e32 vcc, 8, v8
	v_lshlrev_b64 v[7:8], v7, v[22:23]
	v_sub_u32_e32 v8, 29, v25
	v_and_b32_e32 v7, 7, v7
	v_cndmask_b32_e32 v8, v24, v8, vcc
	v_cndmask_b32_e32 v7, v23, v7, vcc
	v_lshlrev_b32_e32 v0, 16, v0
	v_bfrev_b32_e32 v22, 60
	v_lshlrev_b32_e32 v7, 20, v7
	v_and_b32_e32 v0, 0x80000000, v0
	v_lshl_add_u32 v8, v8, 23, v22
	v_or3_b32 v7, v0, v8, v7
.LBB6_2136:                             ;   in Loop: Header=BB6_128 Depth=2
	s_or_b64 exec, exec, s[88:89]
.LBB6_2137:                             ;   in Loop: Header=BB6_128 Depth=2
	s_or_b64 exec, exec, s[78:79]
.LBB6_2138:                             ;   in Loop: Header=BB6_128 Depth=2
	s_or_b64 exec, exec, s[20:21]
	v_lshrrev_b16_e32 v22, 8, v19
	v_cmp_ne_u16_e32 vcc, 0, v22
	s_and_saveexec_b64 s[20:21], vcc
	s_cbranch_execz .LBB6_2144
; %bb.2139:                             ;   in Loop: Header=BB6_128 Depth=2
	v_cmp_ne_u16_e32 vcc, s53, v22
	v_bfrev_b32_e32 v3, 1
	s_and_saveexec_b64 s[78:79], vcc
	s_cbranch_execz .LBB6_2143
; %bb.2140:                             ;   in Loop: Header=BB6_128 Depth=2
	v_and_b32_e32 v0, 0x7f, v22
	v_cmp_ne_u32_e32 vcc, s51, v0
	v_mov_b32_e32 v3, 0x7f800001
	s_and_saveexec_b64 s[88:89], vcc
	s_cbranch_execz .LBB6_2142
; %bb.2141:                             ;   in Loop: Header=BB6_128 Depth=2
	v_and_b32_e32 v3, 7, v22
	v_lshrrev_b32_e32 v8, 3, v0
	v_cmp_gt_u32_e32 vcc, 8, v0
	v_ffbh_u32_e32 v0, v3
	v_min_u32_e32 v0, 32, v0
	v_subrev_u32_e32 v23, 28, v0
	v_lshlrev_b64 v[22:23], v23, v[22:23]
	v_sub_u32_e32 v0, 29, v0
	v_and_b32_e32 v22, 7, v22
	v_cndmask_b32_e32 v0, v8, v0, vcc
	v_cndmask_b32_e32 v3, v3, v22, vcc
	v_lshlrev_b32_e32 v8, 16, v19
	v_bfrev_b32_e32 v22, 60
	v_lshlrev_b32_e32 v3, 20, v3
	v_and_b32_e32 v8, 0x80000000, v8
	v_lshl_add_u32 v0, v0, 23, v22
	v_or3_b32 v3, v8, v0, v3
.LBB6_2142:                             ;   in Loop: Header=BB6_128 Depth=2
	s_or_b64 exec, exec, s[88:89]
.LBB6_2143:                             ;   in Loop: Header=BB6_128 Depth=2
	s_or_b64 exec, exec, s[78:79]
.LBB6_2144:                             ;   in Loop: Header=BB6_128 Depth=2
	s_or_b64 exec, exec, s[20:21]
	v_add_f32_e32 v3, v7, v3
	v_and_b32_e32 v7, 0x7f800000, v3
	v_mov_b32_e32 v8, v53
	v_cmp_ne_u64_e32 vcc, s[56:57], v[7:8]
                                        ; implicit-def: $vgpr37
	s_and_saveexec_b64 s[20:21], vcc
	s_xor_b64 s[78:79], exec, s[20:21]
	s_cbranch_execz .LBB6_2158
; %bb.2145:                             ;   in Loop: Header=BB6_128 Depth=2
	v_and_b32_e32 v7, 0x7fffffff, v3
	v_mov_b32_e32 v8, v53
	v_cmp_gt_u64_e32 vcc, s[58:59], v[7:8]
	v_and_b32_sdwa v0, v3, s53 dst_sel:DWORD dst_unused:UNUSED_PAD src0_sel:BYTE_3 src1_sel:DWORD
                                        ; implicit-def: $vgpr37
	s_and_saveexec_b64 s[20:21], vcc
	s_xor_b64 s[88:89], exec, s[20:21]
	s_cbranch_execz .LBB6_2155
; %bb.2146:                             ;   in Loop: Header=BB6_128 Depth=2
	v_mov_b32_e32 v37, 0
	v_cmp_ne_u32_e32 vcc, 0, v3
	s_and_saveexec_b64 s[90:91], vcc
	s_cbranch_execz .LBB6_2154
; %bb.2147:                             ;   in Loop: Header=BB6_128 Depth=2
	v_and_b32_e32 v8, 0x7fffff, v3
	v_bfe_u32 v3, v3, 23, 8
	v_cmp_gt_u32_e64 s[20:21], s54, v3
	v_sub_u32_e32 v7, 0x79, v3
	v_cmp_eq_u32_e32 vcc, 0, v3
	v_cndmask_b32_e64 v7, 0, v7, s[20:21]
	v_mov_b32_e32 v23, 0x78
	v_or_b32_e32 v22, 0x800000, v8
	v_cndmask_b32_e32 v7, v7, v23, vcc
	v_cndmask_b32_e32 v22, v22, v8, vcc
	v_add_u32_e32 v8, 20, v7
	v_lshlrev_b64 v[24:25], v8, -1
	v_mov_b32_e32 v23, v53
	v_add_u32_e32 v8, 19, v7
	v_bfi_b32 v24, v24, 0, v22
	v_lshlrev_b64 v[27:28], v8, 1
	v_lshrrev_b64 v[22:23], v7, v[22:23]
	v_bfi_b32 v25, v25, 0, 0
	v_cmp_eq_u64_e64 s[20:21], v[24:25], v[27:28]
	v_mov_b32_e32 v24, v23
	v_mov_b32_e32 v23, v22
	s_and_saveexec_b64 s[92:93], s[20:21]
; %bb.2148:                             ;   in Loop: Header=BB6_128 Depth=2
	v_bfe_u32 v8, v22, 20, 1
	v_add_co_u32_e64 v8, s[20:21], v22, v8
	v_add_co_u32_e64 v23, s[20:21], -1, v8
; %bb.2149:                             ;   in Loop: Header=BB6_128 Depth=2
	s_or_b64 exec, exec, s[92:93]
	v_add_u32_e32 v3, 0xffffff81, v3
	v_mov_b32_e32 v8, 0xffffff82
	v_cndmask_b32_e32 v3, v3, v8, vcc
	v_lshrrev_b32_e32 v8, 23, v22
	v_add3_u32 v8, v7, v3, v8
	v_add_u32_e32 v7, 6, v8
	v_and_b32_e32 v3, 0xfffff, v23
	v_add_u32_e32 v22, v3, v22
	v_mov_b32_e32 v23, v53
	v_cmp_ne_u32_e32 vcc, 0, v7
                                        ; implicit-def: $vgpr3
	s_and_saveexec_b64 s[20:21], vcc
	s_xor_b64 s[20:21], exec, s[20:21]
; %bb.2150:                             ;   in Loop: Header=BB6_128 Depth=2
	v_cmp_lt_u64_e32 vcc, s[60:61], v[22:23]
	v_add_u32_e32 v3, 7, v8
	v_cndmask_b32_e32 v3, v7, v3, vcc
	v_cndmask_b32_e64 v7, 0, 1, vcc
	v_lshrrev_b64 v[22:23], v7, v[22:23]
; %bb.2151:                             ;   in Loop: Header=BB6_128 Depth=2
	s_andn2_saveexec_b64 s[20:21], s[20:21]
; %bb.2152:                             ;   in Loop: Header=BB6_128 Depth=2
	v_bfe_u32 v3, v22, 23, 1
; %bb.2153:                             ;   in Loop: Header=BB6_128 Depth=2
	s_or_b64 exec, exec, s[20:21]
	v_lshrrev_b64 v[7:8], 20, v[22:23]
	v_cmp_gt_i32_e32 vcc, 16, v3
	v_cndmask_b32_e32 v8, 0, v8, vcc
	v_cndmask_b32_e32 v7, 7, v7, vcc
	v_cmp_eq_u32_e32 vcc, 0, v3
	v_min_i32_e32 v3, 15, v3
	v_cmp_eq_u64_e64 s[20:21], 0, v[7:8]
	v_lshlrev_b32_e32 v3, 3, v3
	v_and_b32_e32 v3, 0xf8, v3
	v_and_or_b32 v3, v7, 7, v3
	s_and_b64 s[20:21], vcc, s[20:21]
	v_cndmask_b32_e64 v3, v3, 0, s[20:21]
	v_or_b32_e32 v37, v3, v0
.LBB6_2154:                             ;   in Loop: Header=BB6_128 Depth=2
	s_or_b64 exec, exec, s[90:91]
                                        ; implicit-def: $vgpr0
.LBB6_2155:                             ;   in Loop: Header=BB6_128 Depth=2
	s_andn2_saveexec_b64 s[20:21], s[88:89]
; %bb.2156:                             ;   in Loop: Header=BB6_128 Depth=2
	v_or_b32_e32 v37, 0x7e, v0
; %bb.2157:                             ;   in Loop: Header=BB6_128 Depth=2
	s_or_b64 exec, exec, s[20:21]
                                        ; implicit-def: $vgpr3
.LBB6_2158:                             ;   in Loop: Header=BB6_128 Depth=2
	s_andn2_saveexec_b64 s[20:21], s[78:79]
; %bb.2159:                             ;   in Loop: Header=BB6_128 Depth=2
	v_or_b32_sdwa v37, v3, s51 dst_sel:DWORD dst_unused:UNUSED_PAD src0_sel:BYTE_3 src1_sel:DWORD
; %bb.2160:                             ;   in Loop: Header=BB6_128 Depth=2
	s_or_b64 exec, exec, s[20:21]
	v_lshrrev_b32_e32 v22, 16, v52
	v_cmp_ne_u16_sdwa s[78:79], v22, v53 src0_sel:BYTE_0 src1_sel:DWORD
	v_mov_b32_e32 v0, 0
	v_mov_b32_e32 v3, 0
	s_and_saveexec_b64 s[20:21], s[78:79]
	s_cbranch_execz .LBB6_2166
; %bb.2161:                             ;   in Loop: Header=BB6_128 Depth=2
	v_cmp_ne_u16_sdwa s[88:89], v22, s53 src0_sel:BYTE_0 src1_sel:DWORD
	v_bfrev_b32_e32 v3, 1
	s_and_saveexec_b64 s[78:79], s[88:89]
	s_cbranch_execz .LBB6_2165
; %bb.2162:                             ;   in Loop: Header=BB6_128 Depth=2
	v_bfe_u32 v7, v52, 16, 7
	v_cmp_ne_u32_e32 vcc, s51, v7
	v_mov_b32_e32 v3, 0x7f800001
	s_and_saveexec_b64 s[88:89], vcc
	s_cbranch_execz .LBB6_2164
; %bb.2163:                             ;   in Loop: Header=BB6_128 Depth=2
	v_and_b32_e32 v3, 7, v22
	v_lshrrev_b32_e32 v23, 3, v7
	v_cmp_gt_u32_e32 vcc, 8, v7
	v_ffbh_u32_e32 v7, v3
	v_min_u32_e32 v24, 32, v7
	v_subrev_u32_e32 v7, 28, v24
	v_lshlrev_b64 v[7:8], v7, v[22:23]
	v_sub_u32_e32 v8, 29, v24
	v_and_b32_e32 v7, 7, v7
	v_cndmask_b32_e32 v8, v23, v8, vcc
	v_cndmask_b32_e32 v3, v3, v7, vcc
	v_lshlrev_b32_e32 v7, 24, v22
	v_bfrev_b32_e32 v22, 60
	v_lshlrev_b32_e32 v3, 20, v3
	v_and_b32_e32 v7, 0x80000000, v7
	v_lshl_add_u32 v8, v8, 23, v22
	v_or3_b32 v3, v7, v8, v3
.LBB6_2164:                             ;   in Loop: Header=BB6_128 Depth=2
	s_or_b64 exec, exec, s[88:89]
.LBB6_2165:                             ;   in Loop: Header=BB6_128 Depth=2
	s_or_b64 exec, exec, s[78:79]
.LBB6_2166:                             ;   in Loop: Header=BB6_128 Depth=2
	s_or_b64 exec, exec, s[20:21]
	v_lshrrev_b32_e32 v22, 16, v19
	v_cmp_ne_u16_sdwa s[78:79], v22, v53 src0_sel:BYTE_0 src1_sel:DWORD
	s_and_saveexec_b64 s[20:21], s[78:79]
	s_cbranch_execz .LBB6_2172
; %bb.2167:                             ;   in Loop: Header=BB6_128 Depth=2
	v_cmp_ne_u16_sdwa s[88:89], v22, s53 src0_sel:BYTE_0 src1_sel:DWORD
	v_bfrev_b32_e32 v0, 1
	s_and_saveexec_b64 s[78:79], s[88:89]
	s_cbranch_execz .LBB6_2171
; %bb.2168:                             ;   in Loop: Header=BB6_128 Depth=2
	v_bfe_u32 v7, v19, 16, 7
	v_cmp_ne_u32_e32 vcc, s51, v7
	v_mov_b32_e32 v0, 0x7f800001
	s_and_saveexec_b64 s[88:89], vcc
	s_cbranch_execz .LBB6_2170
; %bb.2169:                             ;   in Loop: Header=BB6_128 Depth=2
	v_and_b32_e32 v0, 7, v22
	v_lshrrev_b32_e32 v23, 3, v7
	v_cmp_gt_u32_e32 vcc, 8, v7
	v_ffbh_u32_e32 v7, v0
	v_min_u32_e32 v24, 32, v7
	v_subrev_u32_e32 v7, 28, v24
	v_lshlrev_b64 v[7:8], v7, v[22:23]
	v_sub_u32_e32 v8, 29, v24
	v_and_b32_e32 v7, 7, v7
	v_cndmask_b32_e32 v8, v23, v8, vcc
	v_cndmask_b32_e32 v0, v0, v7, vcc
	v_lshlrev_b32_e32 v7, 8, v19
	v_bfrev_b32_e32 v22, 60
	v_lshlrev_b32_e32 v0, 20, v0
	v_and_b32_e32 v7, 0x80000000, v7
	v_lshl_add_u32 v8, v8, 23, v22
	v_or3_b32 v0, v7, v8, v0
.LBB6_2170:                             ;   in Loop: Header=BB6_128 Depth=2
	s_or_b64 exec, exec, s[88:89]
.LBB6_2171:                             ;   in Loop: Header=BB6_128 Depth=2
	s_or_b64 exec, exec, s[78:79]
.LBB6_2172:                             ;   in Loop: Header=BB6_128 Depth=2
	s_or_b64 exec, exec, s[20:21]
	v_add_f32_e32 v3, v3, v0
	v_and_b32_e32 v7, 0x7f800000, v3
	v_mov_b32_e32 v8, v53
	v_cmp_ne_u64_e32 vcc, s[56:57], v[7:8]
                                        ; implicit-def: $vgpr24
	s_and_saveexec_b64 s[20:21], vcc
	s_xor_b64 s[78:79], exec, s[20:21]
	s_cbranch_execz .LBB6_2186
; %bb.2173:                             ;   in Loop: Header=BB6_128 Depth=2
	v_and_b32_e32 v7, 0x7fffffff, v3
	v_mov_b32_e32 v8, v53
	v_cmp_gt_u64_e32 vcc, s[58:59], v[7:8]
	v_and_b32_sdwa v0, v3, s53 dst_sel:DWORD dst_unused:UNUSED_PAD src0_sel:BYTE_3 src1_sel:DWORD
                                        ; implicit-def: $vgpr24
	s_and_saveexec_b64 s[20:21], vcc
	s_xor_b64 s[88:89], exec, s[20:21]
	s_cbranch_execz .LBB6_2183
; %bb.2174:                             ;   in Loop: Header=BB6_128 Depth=2
	v_mov_b32_e32 v24, 0
	v_cmp_ne_u32_e32 vcc, 0, v3
	s_and_saveexec_b64 s[90:91], vcc
	s_cbranch_execz .LBB6_2182
; %bb.2175:                             ;   in Loop: Header=BB6_128 Depth=2
	v_and_b32_e32 v8, 0x7fffff, v3
	v_bfe_u32 v3, v3, 23, 8
	v_cmp_gt_u32_e64 s[20:21], s54, v3
	v_sub_u32_e32 v7, 0x79, v3
	v_cmp_eq_u32_e32 vcc, 0, v3
	v_cndmask_b32_e64 v7, 0, v7, s[20:21]
	v_mov_b32_e32 v23, 0x78
	v_or_b32_e32 v22, 0x800000, v8
	v_cndmask_b32_e32 v7, v7, v23, vcc
	v_cndmask_b32_e32 v22, v22, v8, vcc
	v_add_u32_e32 v8, 20, v7
	v_lshlrev_b64 v[24:25], v8, -1
	v_mov_b32_e32 v23, v53
	v_add_u32_e32 v8, 19, v7
	v_bfi_b32 v24, v24, 0, v22
	v_lshlrev_b64 v[27:28], v8, 1
	v_lshrrev_b64 v[22:23], v7, v[22:23]
	v_bfi_b32 v25, v25, 0, 0
	v_cmp_eq_u64_e64 s[20:21], v[24:25], v[27:28]
	v_mov_b32_e32 v24, v23
	v_mov_b32_e32 v23, v22
	s_and_saveexec_b64 s[92:93], s[20:21]
; %bb.2176:                             ;   in Loop: Header=BB6_128 Depth=2
	v_bfe_u32 v8, v22, 20, 1
	v_add_co_u32_e64 v8, s[20:21], v22, v8
	v_add_co_u32_e64 v23, s[20:21], -1, v8
; %bb.2177:                             ;   in Loop: Header=BB6_128 Depth=2
	s_or_b64 exec, exec, s[92:93]
	v_add_u32_e32 v3, 0xffffff81, v3
	v_mov_b32_e32 v8, 0xffffff82
	v_cndmask_b32_e32 v3, v3, v8, vcc
	v_lshrrev_b32_e32 v8, 23, v22
	v_add3_u32 v8, v7, v3, v8
	v_add_u32_e32 v7, 6, v8
	v_and_b32_e32 v3, 0xfffff, v23
	v_add_u32_e32 v22, v3, v22
	v_mov_b32_e32 v23, v53
	v_cmp_ne_u32_e32 vcc, 0, v7
                                        ; implicit-def: $vgpr3
	s_and_saveexec_b64 s[20:21], vcc
	s_xor_b64 s[20:21], exec, s[20:21]
; %bb.2178:                             ;   in Loop: Header=BB6_128 Depth=2
	v_cmp_lt_u64_e32 vcc, s[60:61], v[22:23]
	v_add_u32_e32 v3, 7, v8
	v_cndmask_b32_e32 v3, v7, v3, vcc
	v_cndmask_b32_e64 v7, 0, 1, vcc
	v_lshrrev_b64 v[22:23], v7, v[22:23]
; %bb.2179:                             ;   in Loop: Header=BB6_128 Depth=2
	s_andn2_saveexec_b64 s[20:21], s[20:21]
; %bb.2180:                             ;   in Loop: Header=BB6_128 Depth=2
	v_bfe_u32 v3, v22, 23, 1
; %bb.2181:                             ;   in Loop: Header=BB6_128 Depth=2
	s_or_b64 exec, exec, s[20:21]
	v_lshrrev_b64 v[7:8], 20, v[22:23]
	v_cmp_gt_i32_e32 vcc, 16, v3
	v_cndmask_b32_e32 v8, 0, v8, vcc
	v_cndmask_b32_e32 v7, 7, v7, vcc
	v_cmp_eq_u32_e32 vcc, 0, v3
	v_min_i32_e32 v3, 15, v3
	v_cmp_eq_u64_e64 s[20:21], 0, v[7:8]
	v_lshlrev_b32_e32 v3, 3, v3
	v_and_b32_e32 v3, 0xf8, v3
	v_and_or_b32 v3, v7, 7, v3
	s_and_b64 s[20:21], vcc, s[20:21]
	v_cndmask_b32_e64 v3, v3, 0, s[20:21]
	v_or_b32_e32 v24, v3, v0
.LBB6_2182:                             ;   in Loop: Header=BB6_128 Depth=2
	s_or_b64 exec, exec, s[90:91]
                                        ; implicit-def: $vgpr0
.LBB6_2183:                             ;   in Loop: Header=BB6_128 Depth=2
	s_andn2_saveexec_b64 s[20:21], s[88:89]
; %bb.2184:                             ;   in Loop: Header=BB6_128 Depth=2
	v_or_b32_e32 v24, 0x7e, v0
; %bb.2185:                             ;   in Loop: Header=BB6_128 Depth=2
	s_or_b64 exec, exec, s[20:21]
                                        ; implicit-def: $vgpr3
.LBB6_2186:                             ;   in Loop: Header=BB6_128 Depth=2
	s_andn2_saveexec_b64 s[20:21], s[78:79]
; %bb.2187:                             ;   in Loop: Header=BB6_128 Depth=2
	v_or_b32_sdwa v24, v3, s51 dst_sel:DWORD dst_unused:UNUSED_PAD src0_sel:BYTE_3 src1_sel:DWORD
; %bb.2188:                             ;   in Loop: Header=BB6_128 Depth=2
	s_or_b64 exec, exec, s[20:21]
	v_cmp_lt_u32_e32 vcc, s63, v52
	v_mov_b32_e32 v0, 0
	v_mov_b32_e32 v3, 0
	s_and_saveexec_b64 s[20:21], vcc
	s_cbranch_execz .LBB6_2194
; %bb.2189:                             ;   in Loop: Header=BB6_128 Depth=2
	v_lshrrev_b32_e32 v22, 24, v52
	v_cmp_ne_u32_sdwa s[88:89], v52, s53 src0_sel:BYTE_3 src1_sel:DWORD
	v_bfrev_b32_e32 v3, 1
	s_and_saveexec_b64 s[78:79], s[88:89]
	s_cbranch_execz .LBB6_2193
; %bb.2190:                             ;   in Loop: Header=BB6_128 Depth=2
	v_bfe_u32 v7, v52, 24, 7
	v_cmp_ne_u32_e32 vcc, s51, v7
	v_mov_b32_e32 v3, 0x7f800001
	s_and_saveexec_b64 s[88:89], vcc
	s_cbranch_execz .LBB6_2192
; %bb.2191:                             ;   in Loop: Header=BB6_128 Depth=2
	v_and_b32_e32 v3, 7, v22
	v_lshrrev_b32_e32 v23, 3, v7
	v_cmp_gt_u32_e32 vcc, 8, v7
	v_ffbh_u32_e32 v7, v3
	v_min_u32_e32 v25, 32, v7
	v_subrev_u32_e32 v7, 28, v25
	v_lshlrev_b64 v[7:8], v7, v[22:23]
	v_sub_u32_e32 v8, 29, v25
	v_and_b32_e32 v7, 7, v7
	v_cndmask_b32_e32 v3, v3, v7, vcc
	v_mov_b32_e32 v7, 24
	v_cndmask_b32_e32 v8, v23, v8, vcc
	v_lshlrev_b32_sdwa v7, v7, v52 dst_sel:DWORD dst_unused:UNUSED_PAD src0_sel:DWORD src1_sel:BYTE_3
	v_bfrev_b32_e32 v22, 60
	v_lshlrev_b32_e32 v3, 20, v3
	v_and_b32_e32 v7, 0x80000000, v7
	v_lshl_add_u32 v8, v8, 23, v22
	v_or3_b32 v3, v7, v8, v3
.LBB6_2192:                             ;   in Loop: Header=BB6_128 Depth=2
	s_or_b64 exec, exec, s[88:89]
.LBB6_2193:                             ;   in Loop: Header=BB6_128 Depth=2
	s_or_b64 exec, exec, s[78:79]
.LBB6_2194:                             ;   in Loop: Header=BB6_128 Depth=2
	s_or_b64 exec, exec, s[20:21]
	v_cmp_lt_u64_e32 vcc, s[62:63], v[18:19]
	s_and_saveexec_b64 s[20:21], vcc
	s_cbranch_execz .LBB6_2200
; %bb.2195:                             ;   in Loop: Header=BB6_128 Depth=2
	v_lshrrev_b32_e32 v18, 24, v19
	v_cmp_ne_u32_e32 vcc, s53, v18
	v_bfrev_b32_e32 v0, 1
	s_and_saveexec_b64 s[78:79], vcc
	s_cbranch_execz .LBB6_2199
; %bb.2196:                             ;   in Loop: Header=BB6_128 Depth=2
	v_bfe_u32 v7, v19, 24, 7
	v_cmp_ne_u32_e32 vcc, s51, v7
	v_mov_b32_e32 v0, 0x7f800001
	s_and_saveexec_b64 s[88:89], vcc
	s_cbranch_execz .LBB6_2198
; %bb.2197:                             ;   in Loop: Header=BB6_128 Depth=2
	v_and_b32_e32 v0, 7, v18
	v_lshrrev_b32_e32 v19, 3, v7
	v_cmp_gt_u32_e32 vcc, 8, v7
	v_ffbh_u32_e32 v7, v0
	v_min_u32_e32 v22, 32, v7
	v_subrev_u32_e32 v7, 28, v22
	v_lshlrev_b64 v[7:8], v7, v[18:19]
	v_sub_u32_e32 v8, 29, v22
	v_and_b32_e32 v7, 7, v7
	v_cndmask_b32_e32 v8, v19, v8, vcc
	v_cndmask_b32_e32 v0, v0, v7, vcc
	v_lshlrev_b32_e32 v7, 24, v18
	v_bfrev_b32_e32 v18, 60
	v_lshlrev_b32_e32 v0, 20, v0
	v_and_b32_e32 v7, 0x80000000, v7
	v_lshl_add_u32 v8, v8, 23, v18
	v_or3_b32 v0, v7, v8, v0
.LBB6_2198:                             ;   in Loop: Header=BB6_128 Depth=2
	s_or_b64 exec, exec, s[88:89]
.LBB6_2199:                             ;   in Loop: Header=BB6_128 Depth=2
	s_or_b64 exec, exec, s[78:79]
.LBB6_2200:                             ;   in Loop: Header=BB6_128 Depth=2
	s_or_b64 exec, exec, s[20:21]
	v_add_f32_e32 v3, v3, v0
	v_and_b32_e32 v52, 0x7f800000, v3
	v_cmp_ne_u64_e32 vcc, s[56:57], v[52:53]
                                        ; implicit-def: $vgpr40
	s_and_saveexec_b64 s[20:21], vcc
	s_xor_b64 s[78:79], exec, s[20:21]
	s_cbranch_execz .LBB6_2214
; %bb.2201:                             ;   in Loop: Header=BB6_128 Depth=2
	v_and_b32_e32 v52, 0x7fffffff, v3
	v_cmp_gt_u64_e32 vcc, s[58:59], v[52:53]
	v_and_b32_sdwa v0, v3, s53 dst_sel:DWORD dst_unused:UNUSED_PAD src0_sel:BYTE_3 src1_sel:DWORD
                                        ; implicit-def: $vgpr40
	s_and_saveexec_b64 s[20:21], vcc
	s_xor_b64 s[88:89], exec, s[20:21]
	s_cbranch_execz .LBB6_2211
; %bb.2202:                             ;   in Loop: Header=BB6_128 Depth=2
	v_mov_b32_e32 v40, 0
	v_cmp_ne_u32_e32 vcc, 0, v3
	s_and_saveexec_b64 s[90:91], vcc
	s_cbranch_execz .LBB6_2210
; %bb.2203:                             ;   in Loop: Header=BB6_128 Depth=2
	v_and_b32_e32 v8, 0x7fffff, v3
	v_bfe_u32 v3, v3, 23, 8
	v_cmp_gt_u32_e64 s[20:21], s54, v3
	v_sub_u32_e32 v7, 0x79, v3
	v_cmp_eq_u32_e32 vcc, 0, v3
	v_cndmask_b32_e64 v7, 0, v7, s[20:21]
	v_mov_b32_e32 v19, 0x78
	v_or_b32_e32 v18, 0x800000, v8
	v_cndmask_b32_e32 v7, v7, v19, vcc
	v_cndmask_b32_e32 v52, v18, v8, vcc
	v_add_u32_e32 v8, 20, v7
	v_lshlrev_b64 v[18:19], v8, -1
	v_add_u32_e32 v8, 19, v7
	v_lshlrev_b64 v[22:23], v8, 1
	v_bfi_b32 v19, v19, 0, 0
	v_bfi_b32 v18, v18, 0, v52
	v_cmp_eq_u64_e64 s[20:21], v[18:19], v[22:23]
	v_lshrrev_b64 v[18:19], v7, v[52:53]
	v_mov_b32_e32 v23, v19
	v_mov_b32_e32 v22, v18
	s_and_saveexec_b64 s[92:93], s[20:21]
; %bb.2204:                             ;   in Loop: Header=BB6_128 Depth=2
	v_bfe_u32 v8, v18, 20, 1
	v_add_co_u32_e64 v8, s[20:21], v18, v8
	v_add_co_u32_e64 v22, s[20:21], -1, v8
; %bb.2205:                             ;   in Loop: Header=BB6_128 Depth=2
	s_or_b64 exec, exec, s[92:93]
	v_add_u32_e32 v3, 0xffffff81, v3
	v_mov_b32_e32 v8, 0xffffff82
	v_cndmask_b32_e32 v3, v3, v8, vcc
	v_lshrrev_b32_e32 v8, 23, v18
	v_add3_u32 v8, v7, v3, v8
	v_add_u32_e32 v7, 6, v8
	v_and_b32_e32 v3, 0xfffff, v22
	v_add_u32_e32 v52, v3, v18
	v_cmp_ne_u32_e32 vcc, 0, v7
                                        ; implicit-def: $vgpr18_vgpr19
                                        ; implicit-def: $vgpr3
	s_and_saveexec_b64 s[20:21], vcc
	s_xor_b64 s[20:21], exec, s[20:21]
; %bb.2206:                             ;   in Loop: Header=BB6_128 Depth=2
	v_cmp_lt_u64_e32 vcc, s[60:61], v[52:53]
	v_add_u32_e32 v3, 7, v8
	v_cndmask_b32_e32 v3, v7, v3, vcc
	v_cndmask_b32_e64 v7, 0, 1, vcc
	v_lshrrev_b64 v[18:19], v7, v[52:53]
; %bb.2207:                             ;   in Loop: Header=BB6_128 Depth=2
	s_andn2_saveexec_b64 s[20:21], s[20:21]
; %bb.2208:                             ;   in Loop: Header=BB6_128 Depth=2
	v_mov_b32_e32 v18, v52
	v_bfe_u32 v3, v52, 23, 1
	v_mov_b32_e32 v19, v53
; %bb.2209:                             ;   in Loop: Header=BB6_128 Depth=2
	s_or_b64 exec, exec, s[20:21]
	v_lshrrev_b64 v[7:8], 20, v[18:19]
	v_cmp_gt_i32_e32 vcc, 16, v3
	v_cndmask_b32_e32 v8, 0, v8, vcc
	v_cndmask_b32_e32 v7, 7, v7, vcc
	v_cmp_eq_u32_e32 vcc, 0, v3
	v_min_i32_e32 v3, 15, v3
	v_cmp_eq_u64_e64 s[20:21], 0, v[7:8]
	v_lshlrev_b32_e32 v3, 3, v3
	v_and_b32_e32 v3, 0xf8, v3
	v_and_or_b32 v3, v7, 7, v3
	s_and_b64 s[20:21], vcc, s[20:21]
	v_cndmask_b32_e64 v3, v3, 0, s[20:21]
	v_or_b32_e32 v40, v3, v0
.LBB6_2210:                             ;   in Loop: Header=BB6_128 Depth=2
	s_or_b64 exec, exec, s[90:91]
                                        ; implicit-def: $vgpr0
.LBB6_2211:                             ;   in Loop: Header=BB6_128 Depth=2
	s_andn2_saveexec_b64 s[20:21], s[88:89]
; %bb.2212:                             ;   in Loop: Header=BB6_128 Depth=2
	v_or_b32_e32 v40, 0x7e, v0
; %bb.2213:                             ;   in Loop: Header=BB6_128 Depth=2
	s_or_b64 exec, exec, s[20:21]
                                        ; implicit-def: $vgpr3
.LBB6_2214:                             ;   in Loop: Header=BB6_128 Depth=2
	s_andn2_saveexec_b64 s[20:21], s[78:79]
; %bb.2215:                             ;   in Loop: Header=BB6_128 Depth=2
	v_or_b32_sdwa v40, v3, s51 dst_sel:DWORD dst_unused:UNUSED_PAD src0_sel:BYTE_3 src1_sel:DWORD
; %bb.2216:                             ;   in Loop: Header=BB6_128 Depth=2
	s_or_b64 exec, exec, s[20:21]
	buffer_load_dword v3, off, s[0:3], s33 offset:260 ; 4-byte Folded Reload
	buffer_load_dword v7, off, s[0:3], s33 offset:276 ; 4-byte Folded Reload
	v_lshl_or_b32 v0, v43, 8, v48
	v_cmp_ne_u32_e32 vcc, 0, v48
	s_waitcnt vmcnt(1)
	v_lshlrev_b32_e32 v3, 16, v3
	s_waitcnt vmcnt(0)
	v_lshlrev_b32_e32 v7, 24, v7
	v_or3_b32 v52, v3, v7, v0
	v_mov_b32_e32 v3, 0
	v_mov_b32_e32 v7, 0
	s_and_saveexec_b64 s[20:21], vcc
	s_cbranch_execz .LBB6_2222
; %bb.2217:                             ;   in Loop: Header=BB6_128 Depth=2
	v_cmp_ne_u32_e32 vcc, s53, v48
	v_bfrev_b32_e32 v7, 1
	s_and_saveexec_b64 s[78:79], vcc
	s_cbranch_execz .LBB6_2221
; %bb.2218:                             ;   in Loop: Header=BB6_128 Depth=2
	v_and_b32_e32 v8, 0x7f, v48
	v_cmp_ne_u32_e32 vcc, s51, v8
	v_mov_b32_e32 v7, 0x7f800001
	s_and_saveexec_b64 s[88:89], vcc
	s_cbranch_execz .LBB6_2220
; %bb.2219:                             ;   in Loop: Header=BB6_128 Depth=2
	v_and_b32_e32 v7, 7, v48
	v_ffbh_u32_e32 v7, v7
	v_min_u32_e32 v7, 32, v7
	v_lshrrev_b32_e32 v18, 3, v8
	v_cmp_gt_u32_e32 vcc, 8, v8
	v_subrev_u32_e32 v8, 28, v7
	v_sub_u32_e32 v7, 29, v7
	v_cndmask_b32_e32 v18, v18, v7, vcc
	v_cndmask_b32_e32 v7, 0, v8, vcc
	v_lshlrev_b64 v[7:8], v7, v[52:53]
	v_lshlrev_b32_e32 v8, 24, v52
	v_lshlrev_b32_e32 v7, 20, v7
	v_bfrev_b32_e32 v19, 60
	v_and_b32_e32 v7, 0x700000, v7
	v_and_b32_e32 v8, 0x80000000, v8
	v_lshl_add_u32 v18, v18, 23, v19
	v_or3_b32 v7, v8, v18, v7
.LBB6_2220:                             ;   in Loop: Header=BB6_128 Depth=2
	s_or_b64 exec, exec, s[88:89]
.LBB6_2221:                             ;   in Loop: Header=BB6_128 Depth=2
	s_or_b64 exec, exec, s[78:79]
.LBB6_2222:                             ;   in Loop: Header=BB6_128 Depth=2
	s_or_b64 exec, exec, s[20:21]
	v_cmp_ne_u16_sdwa s[78:79], v20, v53 src0_sel:BYTE_0 src1_sel:DWORD
	s_and_saveexec_b64 s[20:21], s[78:79]
	s_cbranch_execz .LBB6_2228
; %bb.2223:                             ;   in Loop: Header=BB6_128 Depth=2
	v_cmp_ne_u16_sdwa s[88:89], v20, s53 src0_sel:BYTE_0 src1_sel:DWORD
	v_bfrev_b32_e32 v3, 1
	s_and_saveexec_b64 s[78:79], s[88:89]
	s_cbranch_execz .LBB6_2227
; %bb.2224:                             ;   in Loop: Header=BB6_128 Depth=2
	v_and_b32_e32 v8, 0x7f, v20
	v_cmp_ne_u32_e32 vcc, s51, v8
	v_mov_b32_e32 v3, 0x7f800001
	s_and_saveexec_b64 s[88:89], vcc
	s_cbranch_execz .LBB6_2226
; %bb.2225:                             ;   in Loop: Header=BB6_128 Depth=2
	v_and_b32_e32 v3, 7, v20
	v_ffbh_u32_e32 v3, v3
	v_min_u32_e32 v3, 32, v3
	v_lshrrev_b32_e32 v18, 3, v8
	v_cmp_gt_u32_e32 vcc, 8, v8
	v_subrev_u32_e32 v8, 28, v3
	v_sub_u32_e32 v3, 29, v3
	v_cndmask_b32_e32 v8, 0, v8, vcc
	v_cndmask_b32_e32 v3, v18, v3, vcc
	v_lshlrev_b64 v[18:19], v8, v[20:21]
	v_bfrev_b32_e32 v19, 60
	v_lshlrev_b32_e32 v8, 20, v18
	v_lshlrev_b32_e32 v18, 24, v20
	v_and_b32_e32 v8, 0x700000, v8
	v_and_b32_e32 v18, 0x80000000, v18
	v_lshl_add_u32 v3, v3, 23, v19
	v_or3_b32 v3, v18, v3, v8
.LBB6_2226:                             ;   in Loop: Header=BB6_128 Depth=2
	s_or_b64 exec, exec, s[88:89]
.LBB6_2227:                             ;   in Loop: Header=BB6_128 Depth=2
	s_or_b64 exec, exec, s[78:79]
.LBB6_2228:                             ;   in Loop: Header=BB6_128 Depth=2
	s_or_b64 exec, exec, s[20:21]
	v_add_f32_e32 v7, v7, v3
	v_and_b32_e32 v18, 0x7f800000, v7
	v_mov_b32_e32 v19, v53
	v_cmp_ne_u64_e32 vcc, s[56:57], v[18:19]
                                        ; implicit-def: $vgpr48
	s_and_saveexec_b64 s[20:21], vcc
	s_xor_b64 s[78:79], exec, s[20:21]
	s_cbranch_execz .LBB6_2242
; %bb.2229:                             ;   in Loop: Header=BB6_128 Depth=2
	v_and_b32_e32 v18, 0x7fffffff, v7
	v_mov_b32_e32 v19, v53
	v_cmp_gt_u64_e32 vcc, s[58:59], v[18:19]
	v_and_b32_sdwa v3, v7, s53 dst_sel:DWORD dst_unused:UNUSED_PAD src0_sel:BYTE_3 src1_sel:DWORD
                                        ; implicit-def: $vgpr48
	s_and_saveexec_b64 s[20:21], vcc
	s_xor_b64 s[88:89], exec, s[20:21]
	s_cbranch_execz .LBB6_2239
; %bb.2230:                             ;   in Loop: Header=BB6_128 Depth=2
	v_mov_b32_e32 v48, 0
	v_cmp_ne_u32_e32 vcc, 0, v7
	s_and_saveexec_b64 s[90:91], vcc
	s_cbranch_execz .LBB6_2238
; %bb.2231:                             ;   in Loop: Header=BB6_128 Depth=2
	v_and_b32_e32 v18, 0x7fffff, v7
	v_bfe_u32 v7, v7, 23, 8
	v_cmp_gt_u32_e64 s[20:21], s54, v7
	v_sub_u32_e32 v8, 0x79, v7
	v_cmp_eq_u32_e32 vcc, 0, v7
	v_cndmask_b32_e64 v8, 0, v8, s[20:21]
	v_mov_b32_e32 v22, 0x78
	v_cndmask_b32_e32 v8, v8, v22, vcc
	v_add_u32_e32 v22, 20, v8
	v_or_b32_e32 v19, 0x800000, v18
	v_lshlrev_b64 v[22:23], v22, -1
	v_cndmask_b32_e32 v18, v19, v18, vcc
	v_mov_b32_e32 v19, v53
	v_add_u32_e32 v25, 19, v8
	v_bfi_b32 v22, v22, 0, v18
	v_lshlrev_b64 v[27:28], v25, 1
	v_lshrrev_b64 v[18:19], v8, v[18:19]
	v_bfi_b32 v23, v23, 0, 0
	v_cmp_eq_u64_e64 s[20:21], v[22:23], v[27:28]
	v_mov_b32_e32 v23, v19
	v_mov_b32_e32 v22, v18
	s_and_saveexec_b64 s[92:93], s[20:21]
; %bb.2232:                             ;   in Loop: Header=BB6_128 Depth=2
	v_bfe_u32 v19, v18, 20, 1
	v_add_co_u32_e64 v19, s[20:21], v18, v19
	v_add_co_u32_e64 v22, s[20:21], -1, v19
; %bb.2233:                             ;   in Loop: Header=BB6_128 Depth=2
	s_or_b64 exec, exec, s[92:93]
	v_add_u32_e32 v7, 0xffffff81, v7
	v_mov_b32_e32 v19, 0xffffff82
	v_cndmask_b32_e32 v7, v7, v19, vcc
	v_lshrrev_b32_e32 v19, 23, v18
	v_add3_u32 v23, v8, v7, v19
	v_add_u32_e32 v8, 6, v23
	v_and_b32_e32 v7, 0xfffff, v22
	v_add_u32_e32 v18, v7, v18
	v_mov_b32_e32 v19, v53
	v_cmp_ne_u32_e32 vcc, 0, v8
                                        ; implicit-def: $vgpr7
	s_and_saveexec_b64 s[20:21], vcc
	s_xor_b64 s[20:21], exec, s[20:21]
; %bb.2234:                             ;   in Loop: Header=BB6_128 Depth=2
	v_cmp_lt_u64_e32 vcc, s[60:61], v[18:19]
	v_add_u32_e32 v7, 7, v23
	v_cndmask_b32_e32 v7, v8, v7, vcc
	v_cndmask_b32_e64 v8, 0, 1, vcc
	v_lshrrev_b64 v[18:19], v8, v[18:19]
; %bb.2235:                             ;   in Loop: Header=BB6_128 Depth=2
	s_andn2_saveexec_b64 s[20:21], s[20:21]
; %bb.2236:                             ;   in Loop: Header=BB6_128 Depth=2
	v_bfe_u32 v7, v18, 23, 1
; %bb.2237:                             ;   in Loop: Header=BB6_128 Depth=2
	s_or_b64 exec, exec, s[20:21]
	v_lshrrev_b64 v[18:19], 20, v[18:19]
	v_cmp_gt_i32_e32 vcc, 16, v7
	v_cndmask_b32_e32 v19, 0, v19, vcc
	v_cndmask_b32_e32 v18, 7, v18, vcc
	v_cmp_eq_u32_e32 vcc, 0, v7
	v_min_i32_e32 v7, 15, v7
	v_cmp_eq_u64_e64 s[20:21], 0, v[18:19]
	v_lshlrev_b32_e32 v7, 3, v7
	v_and_b32_e32 v7, 0xf8, v7
	v_and_or_b32 v7, v18, 7, v7
	s_and_b64 s[20:21], vcc, s[20:21]
	v_cndmask_b32_e64 v7, v7, 0, s[20:21]
	v_or_b32_e32 v48, v7, v3
.LBB6_2238:                             ;   in Loop: Header=BB6_128 Depth=2
	s_or_b64 exec, exec, s[90:91]
                                        ; implicit-def: $vgpr3
.LBB6_2239:                             ;   in Loop: Header=BB6_128 Depth=2
	s_andn2_saveexec_b64 s[20:21], s[88:89]
; %bb.2240:                             ;   in Loop: Header=BB6_128 Depth=2
	v_or_b32_e32 v48, 0x7e, v3
; %bb.2241:                             ;   in Loop: Header=BB6_128 Depth=2
	s_or_b64 exec, exec, s[20:21]
                                        ; implicit-def: $vgpr7
.LBB6_2242:                             ;   in Loop: Header=BB6_128 Depth=2
	s_andn2_saveexec_b64 s[20:21], s[78:79]
; %bb.2243:                             ;   in Loop: Header=BB6_128 Depth=2
	v_or_b32_sdwa v48, v7, s51 dst_sel:DWORD dst_unused:UNUSED_PAD src0_sel:BYTE_3 src1_sel:DWORD
; %bb.2244:                             ;   in Loop: Header=BB6_128 Depth=2
	s_or_b64 exec, exec, s[20:21]
	v_lshrrev_b16_e32 v18, 8, v0
	v_cmp_ne_u16_e32 vcc, 0, v18
	v_mov_b32_e32 v3, 0
	v_mov_b32_e32 v7, 0
	s_and_saveexec_b64 s[20:21], vcc
	s_cbranch_execz .LBB6_2250
; %bb.2245:                             ;   in Loop: Header=BB6_128 Depth=2
	v_cmp_ne_u16_e32 vcc, s53, v18
	v_bfrev_b32_e32 v7, 1
	s_and_saveexec_b64 s[78:79], vcc
	s_cbranch_execz .LBB6_2249
; %bb.2246:                             ;   in Loop: Header=BB6_128 Depth=2
	v_and_b32_e32 v8, 0x7f, v18
	v_cmp_ne_u32_e32 vcc, s51, v8
	v_mov_b32_e32 v7, 0x7f800001
	s_and_saveexec_b64 s[88:89], vcc
	s_cbranch_execz .LBB6_2248
; %bb.2247:                             ;   in Loop: Header=BB6_128 Depth=2
	v_and_b32_e32 v19, 7, v18
	v_ffbh_u32_e32 v7, v19
	v_min_u32_e32 v23, 32, v7
	v_subrev_u32_e32 v7, 28, v23
	v_lshrrev_b32_e32 v22, 3, v8
	v_cmp_gt_u32_e32 vcc, 8, v8
	v_lshlrev_b64 v[7:8], v7, v[18:19]
	v_sub_u32_e32 v8, 29, v23
	v_and_b32_e32 v7, 7, v7
	v_cndmask_b32_e32 v8, v22, v8, vcc
	v_cndmask_b32_e32 v7, v19, v7, vcc
	v_lshlrev_b32_e32 v0, 16, v0
	v_bfrev_b32_e32 v18, 60
	v_lshlrev_b32_e32 v7, 20, v7
	v_and_b32_e32 v0, 0x80000000, v0
	v_lshl_add_u32 v8, v8, 23, v18
	v_or3_b32 v7, v0, v8, v7
.LBB6_2248:                             ;   in Loop: Header=BB6_128 Depth=2
	s_or_b64 exec, exec, s[88:89]
.LBB6_2249:                             ;   in Loop: Header=BB6_128 Depth=2
	s_or_b64 exec, exec, s[78:79]
.LBB6_2250:                             ;   in Loop: Header=BB6_128 Depth=2
	s_or_b64 exec, exec, s[20:21]
	v_lshrrev_b16_e32 v18, 8, v20
	v_cmp_ne_u16_e32 vcc, 0, v18
	s_and_saveexec_b64 s[20:21], vcc
	s_cbranch_execz .LBB6_2256
; %bb.2251:                             ;   in Loop: Header=BB6_128 Depth=2
	v_cmp_ne_u16_e32 vcc, s53, v18
	v_bfrev_b32_e32 v3, 1
	s_and_saveexec_b64 s[78:79], vcc
	s_cbranch_execz .LBB6_2255
; %bb.2252:                             ;   in Loop: Header=BB6_128 Depth=2
	v_and_b32_e32 v0, 0x7f, v18
	v_cmp_ne_u32_e32 vcc, s51, v0
	v_mov_b32_e32 v3, 0x7f800001
	s_and_saveexec_b64 s[88:89], vcc
	s_cbranch_execz .LBB6_2254
; %bb.2253:                             ;   in Loop: Header=BB6_128 Depth=2
	v_and_b32_e32 v3, 7, v18
	v_lshrrev_b32_e32 v8, 3, v0
	v_cmp_gt_u32_e32 vcc, 8, v0
	v_ffbh_u32_e32 v0, v3
	v_min_u32_e32 v0, 32, v0
	v_subrev_u32_e32 v19, 28, v0
	v_lshlrev_b64 v[18:19], v19, v[18:19]
	v_sub_u32_e32 v0, 29, v0
	v_and_b32_e32 v18, 7, v18
	v_cndmask_b32_e32 v0, v8, v0, vcc
	v_cndmask_b32_e32 v3, v3, v18, vcc
	v_lshlrev_b32_e32 v8, 16, v20
	v_bfrev_b32_e32 v18, 60
	v_lshlrev_b32_e32 v3, 20, v3
	v_and_b32_e32 v8, 0x80000000, v8
	v_lshl_add_u32 v0, v0, 23, v18
	v_or3_b32 v3, v8, v0, v3
.LBB6_2254:                             ;   in Loop: Header=BB6_128 Depth=2
	s_or_b64 exec, exec, s[88:89]
.LBB6_2255:                             ;   in Loop: Header=BB6_128 Depth=2
	s_or_b64 exec, exec, s[78:79]
.LBB6_2256:                             ;   in Loop: Header=BB6_128 Depth=2
	s_or_b64 exec, exec, s[20:21]
	v_add_f32_e32 v3, v7, v3
	v_and_b32_e32 v7, 0x7f800000, v3
	v_mov_b32_e32 v8, v53
	v_cmp_ne_u64_e32 vcc, s[56:57], v[7:8]
                                        ; implicit-def: $vgpr41
	s_and_saveexec_b64 s[20:21], vcc
	s_xor_b64 s[78:79], exec, s[20:21]
	s_cbranch_execz .LBB6_2270
; %bb.2257:                             ;   in Loop: Header=BB6_128 Depth=2
	v_and_b32_e32 v7, 0x7fffffff, v3
	v_mov_b32_e32 v8, v53
	v_cmp_gt_u64_e32 vcc, s[58:59], v[7:8]
	v_and_b32_sdwa v0, v3, s53 dst_sel:DWORD dst_unused:UNUSED_PAD src0_sel:BYTE_3 src1_sel:DWORD
                                        ; implicit-def: $vgpr41
	s_and_saveexec_b64 s[20:21], vcc
	s_xor_b64 s[88:89], exec, s[20:21]
	s_cbranch_execz .LBB6_2267
; %bb.2258:                             ;   in Loop: Header=BB6_128 Depth=2
	v_mov_b32_e32 v41, 0
	v_cmp_ne_u32_e32 vcc, 0, v3
	s_and_saveexec_b64 s[90:91], vcc
	s_cbranch_execz .LBB6_2266
; %bb.2259:                             ;   in Loop: Header=BB6_128 Depth=2
	v_and_b32_e32 v8, 0x7fffff, v3
	v_bfe_u32 v3, v3, 23, 8
	v_cmp_gt_u32_e64 s[20:21], s54, v3
	v_sub_u32_e32 v7, 0x79, v3
	v_cmp_eq_u32_e32 vcc, 0, v3
	v_cndmask_b32_e64 v7, 0, v7, s[20:21]
	v_mov_b32_e32 v19, 0x78
	v_or_b32_e32 v18, 0x800000, v8
	v_cndmask_b32_e32 v7, v7, v19, vcc
	v_cndmask_b32_e32 v18, v18, v8, vcc
	v_add_u32_e32 v8, 20, v7
	v_lshlrev_b64 v[22:23], v8, -1
	v_mov_b32_e32 v19, v53
	v_add_u32_e32 v8, 19, v7
	v_bfi_b32 v22, v22, 0, v18
	v_lshlrev_b64 v[27:28], v8, 1
	v_lshrrev_b64 v[18:19], v7, v[18:19]
	v_bfi_b32 v23, v23, 0, 0
	v_cmp_eq_u64_e64 s[20:21], v[22:23], v[27:28]
	v_mov_b32_e32 v23, v19
	v_mov_b32_e32 v22, v18
	s_and_saveexec_b64 s[92:93], s[20:21]
; %bb.2260:                             ;   in Loop: Header=BB6_128 Depth=2
	v_bfe_u32 v8, v18, 20, 1
	v_add_co_u32_e64 v8, s[20:21], v18, v8
	v_add_co_u32_e64 v22, s[20:21], -1, v8
; %bb.2261:                             ;   in Loop: Header=BB6_128 Depth=2
	s_or_b64 exec, exec, s[92:93]
	v_add_u32_e32 v3, 0xffffff81, v3
	v_mov_b32_e32 v8, 0xffffff82
	v_cndmask_b32_e32 v3, v3, v8, vcc
	v_lshrrev_b32_e32 v8, 23, v18
	v_add3_u32 v8, v7, v3, v8
	v_add_u32_e32 v7, 6, v8
	v_and_b32_e32 v3, 0xfffff, v22
	v_add_u32_e32 v18, v3, v18
	v_mov_b32_e32 v19, v53
	v_cmp_ne_u32_e32 vcc, 0, v7
                                        ; implicit-def: $vgpr3
	s_and_saveexec_b64 s[20:21], vcc
	s_xor_b64 s[20:21], exec, s[20:21]
; %bb.2262:                             ;   in Loop: Header=BB6_128 Depth=2
	v_cmp_lt_u64_e32 vcc, s[60:61], v[18:19]
	v_add_u32_e32 v3, 7, v8
	v_cndmask_b32_e32 v3, v7, v3, vcc
	v_cndmask_b32_e64 v7, 0, 1, vcc
	v_lshrrev_b64 v[18:19], v7, v[18:19]
; %bb.2263:                             ;   in Loop: Header=BB6_128 Depth=2
	s_andn2_saveexec_b64 s[20:21], s[20:21]
; %bb.2264:                             ;   in Loop: Header=BB6_128 Depth=2
	v_bfe_u32 v3, v18, 23, 1
; %bb.2265:                             ;   in Loop: Header=BB6_128 Depth=2
	s_or_b64 exec, exec, s[20:21]
	v_lshrrev_b64 v[7:8], 20, v[18:19]
	v_cmp_gt_i32_e32 vcc, 16, v3
	v_cndmask_b32_e32 v8, 0, v8, vcc
	v_cndmask_b32_e32 v7, 7, v7, vcc
	v_cmp_eq_u32_e32 vcc, 0, v3
	v_min_i32_e32 v3, 15, v3
	v_cmp_eq_u64_e64 s[20:21], 0, v[7:8]
	v_lshlrev_b32_e32 v3, 3, v3
	v_and_b32_e32 v3, 0xf8, v3
	v_and_or_b32 v3, v7, 7, v3
	s_and_b64 s[20:21], vcc, s[20:21]
	v_cndmask_b32_e64 v3, v3, 0, s[20:21]
	v_or_b32_e32 v41, v3, v0
.LBB6_2266:                             ;   in Loop: Header=BB6_128 Depth=2
	s_or_b64 exec, exec, s[90:91]
                                        ; implicit-def: $vgpr0
.LBB6_2267:                             ;   in Loop: Header=BB6_128 Depth=2
	s_andn2_saveexec_b64 s[20:21], s[88:89]
; %bb.2268:                             ;   in Loop: Header=BB6_128 Depth=2
	v_or_b32_e32 v41, 0x7e, v0
; %bb.2269:                             ;   in Loop: Header=BB6_128 Depth=2
	s_or_b64 exec, exec, s[20:21]
                                        ; implicit-def: $vgpr3
.LBB6_2270:                             ;   in Loop: Header=BB6_128 Depth=2
	s_andn2_saveexec_b64 s[20:21], s[78:79]
; %bb.2271:                             ;   in Loop: Header=BB6_128 Depth=2
	v_or_b32_sdwa v41, v3, s51 dst_sel:DWORD dst_unused:UNUSED_PAD src0_sel:BYTE_3 src1_sel:DWORD
; %bb.2272:                             ;   in Loop: Header=BB6_128 Depth=2
	s_or_b64 exec, exec, s[20:21]
	v_lshrrev_b32_e32 v18, 16, v52
	v_cmp_ne_u16_sdwa s[78:79], v18, v53 src0_sel:BYTE_0 src1_sel:DWORD
	v_mov_b32_e32 v0, 0
	v_mov_b32_e32 v3, 0
	s_and_saveexec_b64 s[20:21], s[78:79]
	s_cbranch_execz .LBB6_2278
; %bb.2273:                             ;   in Loop: Header=BB6_128 Depth=2
	v_cmp_ne_u16_sdwa s[88:89], v18, s53 src0_sel:BYTE_0 src1_sel:DWORD
	v_bfrev_b32_e32 v3, 1
	s_and_saveexec_b64 s[78:79], s[88:89]
	s_cbranch_execz .LBB6_2277
; %bb.2274:                             ;   in Loop: Header=BB6_128 Depth=2
	v_bfe_u32 v7, v52, 16, 7
	v_cmp_ne_u32_e32 vcc, s51, v7
	v_mov_b32_e32 v3, 0x7f800001
	s_and_saveexec_b64 s[88:89], vcc
	s_cbranch_execz .LBB6_2276
; %bb.2275:                             ;   in Loop: Header=BB6_128 Depth=2
	v_and_b32_e32 v3, 7, v18
	v_lshrrev_b32_e32 v19, 3, v7
	v_cmp_gt_u32_e32 vcc, 8, v7
	v_ffbh_u32_e32 v7, v3
	v_min_u32_e32 v22, 32, v7
	v_subrev_u32_e32 v7, 28, v22
	v_lshlrev_b64 v[7:8], v7, v[18:19]
	v_sub_u32_e32 v8, 29, v22
	v_and_b32_e32 v7, 7, v7
	v_cndmask_b32_e32 v8, v19, v8, vcc
	v_cndmask_b32_e32 v3, v3, v7, vcc
	v_lshlrev_b32_e32 v7, 24, v18
	v_bfrev_b32_e32 v18, 60
	v_lshlrev_b32_e32 v3, 20, v3
	v_and_b32_e32 v7, 0x80000000, v7
	v_lshl_add_u32 v8, v8, 23, v18
	v_or3_b32 v3, v7, v8, v3
.LBB6_2276:                             ;   in Loop: Header=BB6_128 Depth=2
	s_or_b64 exec, exec, s[88:89]
.LBB6_2277:                             ;   in Loop: Header=BB6_128 Depth=2
	s_or_b64 exec, exec, s[78:79]
.LBB6_2278:                             ;   in Loop: Header=BB6_128 Depth=2
	s_or_b64 exec, exec, s[20:21]
	v_lshrrev_b32_e32 v18, 16, v20
	v_cmp_ne_u16_sdwa s[78:79], v18, v53 src0_sel:BYTE_0 src1_sel:DWORD
	s_and_saveexec_b64 s[20:21], s[78:79]
	s_cbranch_execz .LBB6_2284
; %bb.2279:                             ;   in Loop: Header=BB6_128 Depth=2
	v_cmp_ne_u16_sdwa s[88:89], v18, s53 src0_sel:BYTE_0 src1_sel:DWORD
	v_bfrev_b32_e32 v0, 1
	s_and_saveexec_b64 s[78:79], s[88:89]
	s_cbranch_execz .LBB6_2283
; %bb.2280:                             ;   in Loop: Header=BB6_128 Depth=2
	v_bfe_u32 v7, v20, 16, 7
	v_cmp_ne_u32_e32 vcc, s51, v7
	v_mov_b32_e32 v0, 0x7f800001
	s_and_saveexec_b64 s[88:89], vcc
	s_cbranch_execz .LBB6_2282
; %bb.2281:                             ;   in Loop: Header=BB6_128 Depth=2
	v_and_b32_e32 v0, 7, v18
	v_lshrrev_b32_e32 v19, 3, v7
	v_cmp_gt_u32_e32 vcc, 8, v7
	v_ffbh_u32_e32 v7, v0
	v_min_u32_e32 v22, 32, v7
	v_subrev_u32_e32 v7, 28, v22
	v_lshlrev_b64 v[7:8], v7, v[18:19]
	v_sub_u32_e32 v8, 29, v22
	v_and_b32_e32 v7, 7, v7
	v_cndmask_b32_e32 v8, v19, v8, vcc
	v_cndmask_b32_e32 v0, v0, v7, vcc
	v_lshlrev_b32_e32 v7, 8, v20
	v_bfrev_b32_e32 v18, 60
	v_lshlrev_b32_e32 v0, 20, v0
	v_and_b32_e32 v7, 0x80000000, v7
	v_lshl_add_u32 v8, v8, 23, v18
	v_or3_b32 v0, v7, v8, v0
.LBB6_2282:                             ;   in Loop: Header=BB6_128 Depth=2
	s_or_b64 exec, exec, s[88:89]
.LBB6_2283:                             ;   in Loop: Header=BB6_128 Depth=2
	s_or_b64 exec, exec, s[78:79]
.LBB6_2284:                             ;   in Loop: Header=BB6_128 Depth=2
	s_or_b64 exec, exec, s[20:21]
	v_add_f32_e32 v3, v3, v0
	v_and_b32_e32 v7, 0x7f800000, v3
	v_mov_b32_e32 v8, v53
	v_cmp_ne_u64_e32 vcc, s[56:57], v[7:8]
                                        ; implicit-def: $vgpr42
	s_and_saveexec_b64 s[20:21], vcc
	s_xor_b64 s[78:79], exec, s[20:21]
	s_cbranch_execz .LBB6_2298
; %bb.2285:                             ;   in Loop: Header=BB6_128 Depth=2
	v_and_b32_e32 v7, 0x7fffffff, v3
	v_mov_b32_e32 v8, v53
	v_cmp_gt_u64_e32 vcc, s[58:59], v[7:8]
	v_and_b32_sdwa v0, v3, s53 dst_sel:DWORD dst_unused:UNUSED_PAD src0_sel:BYTE_3 src1_sel:DWORD
                                        ; implicit-def: $vgpr42
	s_and_saveexec_b64 s[20:21], vcc
	s_xor_b64 s[88:89], exec, s[20:21]
	s_cbranch_execz .LBB6_2295
; %bb.2286:                             ;   in Loop: Header=BB6_128 Depth=2
	v_mov_b32_e32 v42, 0
	v_cmp_ne_u32_e32 vcc, 0, v3
	s_and_saveexec_b64 s[90:91], vcc
	s_cbranch_execz .LBB6_2294
; %bb.2287:                             ;   in Loop: Header=BB6_128 Depth=2
	v_and_b32_e32 v8, 0x7fffff, v3
	v_bfe_u32 v3, v3, 23, 8
	v_cmp_gt_u32_e64 s[20:21], s54, v3
	v_sub_u32_e32 v7, 0x79, v3
	v_cmp_eq_u32_e32 vcc, 0, v3
	v_cndmask_b32_e64 v7, 0, v7, s[20:21]
	v_mov_b32_e32 v19, 0x78
	v_or_b32_e32 v18, 0x800000, v8
	v_cndmask_b32_e32 v7, v7, v19, vcc
	v_cndmask_b32_e32 v18, v18, v8, vcc
	v_add_u32_e32 v8, 20, v7
	v_lshlrev_b64 v[22:23], v8, -1
	v_mov_b32_e32 v19, v53
	v_add_u32_e32 v8, 19, v7
	v_bfi_b32 v22, v22, 0, v18
	v_lshlrev_b64 v[27:28], v8, 1
	v_lshrrev_b64 v[18:19], v7, v[18:19]
	v_bfi_b32 v23, v23, 0, 0
	v_cmp_eq_u64_e64 s[20:21], v[22:23], v[27:28]
	v_mov_b32_e32 v23, v19
	v_mov_b32_e32 v22, v18
	s_and_saveexec_b64 s[92:93], s[20:21]
; %bb.2288:                             ;   in Loop: Header=BB6_128 Depth=2
	v_bfe_u32 v8, v18, 20, 1
	v_add_co_u32_e64 v8, s[20:21], v18, v8
	v_add_co_u32_e64 v22, s[20:21], -1, v8
; %bb.2289:                             ;   in Loop: Header=BB6_128 Depth=2
	s_or_b64 exec, exec, s[92:93]
	v_add_u32_e32 v3, 0xffffff81, v3
	v_mov_b32_e32 v8, 0xffffff82
	v_cndmask_b32_e32 v3, v3, v8, vcc
	v_lshrrev_b32_e32 v8, 23, v18
	v_add3_u32 v8, v7, v3, v8
	v_add_u32_e32 v7, 6, v8
	v_and_b32_e32 v3, 0xfffff, v22
	v_add_u32_e32 v18, v3, v18
	v_mov_b32_e32 v19, v53
	v_cmp_ne_u32_e32 vcc, 0, v7
                                        ; implicit-def: $vgpr3
	s_and_saveexec_b64 s[20:21], vcc
	s_xor_b64 s[20:21], exec, s[20:21]
; %bb.2290:                             ;   in Loop: Header=BB6_128 Depth=2
	v_cmp_lt_u64_e32 vcc, s[60:61], v[18:19]
	v_add_u32_e32 v3, 7, v8
	v_cndmask_b32_e32 v3, v7, v3, vcc
	v_cndmask_b32_e64 v7, 0, 1, vcc
	v_lshrrev_b64 v[18:19], v7, v[18:19]
; %bb.2291:                             ;   in Loop: Header=BB6_128 Depth=2
	s_andn2_saveexec_b64 s[20:21], s[20:21]
; %bb.2292:                             ;   in Loop: Header=BB6_128 Depth=2
	v_bfe_u32 v3, v18, 23, 1
; %bb.2293:                             ;   in Loop: Header=BB6_128 Depth=2
	s_or_b64 exec, exec, s[20:21]
	v_lshrrev_b64 v[7:8], 20, v[18:19]
	v_cmp_gt_i32_e32 vcc, 16, v3
	v_cndmask_b32_e32 v8, 0, v8, vcc
	v_cndmask_b32_e32 v7, 7, v7, vcc
	v_cmp_eq_u32_e32 vcc, 0, v3
	v_min_i32_e32 v3, 15, v3
	v_cmp_eq_u64_e64 s[20:21], 0, v[7:8]
	v_lshlrev_b32_e32 v3, 3, v3
	v_and_b32_e32 v3, 0xf8, v3
	v_and_or_b32 v3, v7, 7, v3
	s_and_b64 s[20:21], vcc, s[20:21]
	v_cndmask_b32_e64 v3, v3, 0, s[20:21]
	v_or_b32_e32 v42, v3, v0
.LBB6_2294:                             ;   in Loop: Header=BB6_128 Depth=2
	s_or_b64 exec, exec, s[90:91]
                                        ; implicit-def: $vgpr0
.LBB6_2295:                             ;   in Loop: Header=BB6_128 Depth=2
	s_andn2_saveexec_b64 s[20:21], s[88:89]
; %bb.2296:                             ;   in Loop: Header=BB6_128 Depth=2
	v_or_b32_e32 v42, 0x7e, v0
; %bb.2297:                             ;   in Loop: Header=BB6_128 Depth=2
	s_or_b64 exec, exec, s[20:21]
                                        ; implicit-def: $vgpr3
.LBB6_2298:                             ;   in Loop: Header=BB6_128 Depth=2
	s_andn2_saveexec_b64 s[20:21], s[78:79]
; %bb.2299:                             ;   in Loop: Header=BB6_128 Depth=2
	v_or_b32_sdwa v42, v3, s51 dst_sel:DWORD dst_unused:UNUSED_PAD src0_sel:BYTE_3 src1_sel:DWORD
; %bb.2300:                             ;   in Loop: Header=BB6_128 Depth=2
	s_or_b64 exec, exec, s[20:21]
	v_cmp_lt_u32_e32 vcc, s63, v52
	v_mov_b32_e32 v0, 0
	v_mov_b32_e32 v3, 0
	s_and_saveexec_b64 s[20:21], vcc
	s_cbranch_execz .LBB6_2306
; %bb.2301:                             ;   in Loop: Header=BB6_128 Depth=2
	v_lshrrev_b32_e32 v18, 24, v52
	v_cmp_ne_u32_sdwa s[88:89], v52, s53 src0_sel:BYTE_3 src1_sel:DWORD
	v_bfrev_b32_e32 v3, 1
	s_and_saveexec_b64 s[78:79], s[88:89]
	s_cbranch_execz .LBB6_2305
; %bb.2302:                             ;   in Loop: Header=BB6_128 Depth=2
	v_bfe_u32 v7, v52, 24, 7
	v_cmp_ne_u32_e32 vcc, s51, v7
	v_mov_b32_e32 v3, 0x7f800001
	s_and_saveexec_b64 s[88:89], vcc
	s_cbranch_execz .LBB6_2304
; %bb.2303:                             ;   in Loop: Header=BB6_128 Depth=2
	v_and_b32_e32 v3, 7, v18
	v_lshrrev_b32_e32 v19, 3, v7
	v_cmp_gt_u32_e32 vcc, 8, v7
	v_ffbh_u32_e32 v7, v3
	v_min_u32_e32 v22, 32, v7
	v_subrev_u32_e32 v7, 28, v22
	v_lshlrev_b64 v[7:8], v7, v[18:19]
	v_sub_u32_e32 v8, 29, v22
	v_and_b32_e32 v7, 7, v7
	v_cndmask_b32_e32 v3, v3, v7, vcc
	v_mov_b32_e32 v7, 24
	v_cndmask_b32_e32 v8, v19, v8, vcc
	v_lshlrev_b32_sdwa v7, v7, v52 dst_sel:DWORD dst_unused:UNUSED_PAD src0_sel:DWORD src1_sel:BYTE_3
	v_bfrev_b32_e32 v18, 60
	v_lshlrev_b32_e32 v3, 20, v3
	v_and_b32_e32 v7, 0x80000000, v7
	v_lshl_add_u32 v8, v8, 23, v18
	v_or3_b32 v3, v7, v8, v3
.LBB6_2304:                             ;   in Loop: Header=BB6_128 Depth=2
	s_or_b64 exec, exec, s[88:89]
.LBB6_2305:                             ;   in Loop: Header=BB6_128 Depth=2
	s_or_b64 exec, exec, s[78:79]
.LBB6_2306:                             ;   in Loop: Header=BB6_128 Depth=2
	s_or_b64 exec, exec, s[20:21]
	v_cmp_lt_u32_e32 vcc, s63, v20
	s_and_saveexec_b64 s[20:21], vcc
	s_cbranch_execz .LBB6_2312
; %bb.2307:                             ;   in Loop: Header=BB6_128 Depth=2
	v_lshrrev_b32_e32 v18, 24, v20
	v_cmp_ne_u32_e32 vcc, s53, v18
	v_bfrev_b32_e32 v0, 1
	s_and_saveexec_b64 s[78:79], vcc
	s_cbranch_execz .LBB6_2311
; %bb.2308:                             ;   in Loop: Header=BB6_128 Depth=2
	v_bfe_u32 v7, v20, 24, 7
	v_cmp_ne_u32_e32 vcc, s51, v7
	v_mov_b32_e32 v0, 0x7f800001
	s_and_saveexec_b64 s[88:89], vcc
	s_cbranch_execz .LBB6_2310
; %bb.2309:                             ;   in Loop: Header=BB6_128 Depth=2
	v_and_b32_e32 v0, 7, v18
	v_lshrrev_b32_e32 v19, 3, v7
	v_cmp_gt_u32_e32 vcc, 8, v7
	v_ffbh_u32_e32 v7, v0
	v_min_u32_e32 v22, 32, v7
	v_subrev_u32_e32 v7, 28, v22
	v_lshlrev_b64 v[7:8], v7, v[18:19]
	v_sub_u32_e32 v8, 29, v22
	v_and_b32_e32 v7, 7, v7
	v_cndmask_b32_e32 v8, v19, v8, vcc
	v_cndmask_b32_e32 v0, v0, v7, vcc
	v_lshlrev_b32_e32 v7, 24, v18
	v_bfrev_b32_e32 v18, 60
	v_lshlrev_b32_e32 v0, 20, v0
	v_and_b32_e32 v7, 0x80000000, v7
	v_lshl_add_u32 v8, v8, 23, v18
	v_or3_b32 v0, v7, v8, v0
.LBB6_2310:                             ;   in Loop: Header=BB6_128 Depth=2
	s_or_b64 exec, exec, s[88:89]
.LBB6_2311:                             ;   in Loop: Header=BB6_128 Depth=2
	s_or_b64 exec, exec, s[78:79]
.LBB6_2312:                             ;   in Loop: Header=BB6_128 Depth=2
	s_or_b64 exec, exec, s[20:21]
	v_add_f32_e32 v3, v3, v0
	v_and_b32_e32 v52, 0x7f800000, v3
	v_cmp_ne_u64_e32 vcc, s[56:57], v[52:53]
                                        ; implicit-def: $vgpr43
	s_and_saveexec_b64 s[20:21], vcc
	s_xor_b64 s[78:79], exec, s[20:21]
	s_cbranch_execz .LBB6_2326
; %bb.2313:                             ;   in Loop: Header=BB6_128 Depth=2
	v_and_b32_e32 v52, 0x7fffffff, v3
	v_cmp_gt_u64_e32 vcc, s[58:59], v[52:53]
	v_and_b32_sdwa v0, v3, s53 dst_sel:DWORD dst_unused:UNUSED_PAD src0_sel:BYTE_3 src1_sel:DWORD
                                        ; implicit-def: $vgpr43
	s_and_saveexec_b64 s[20:21], vcc
	s_xor_b64 s[88:89], exec, s[20:21]
	s_cbranch_execz .LBB6_2323
; %bb.2314:                             ;   in Loop: Header=BB6_128 Depth=2
	v_mov_b32_e32 v43, 0
	v_cmp_ne_u32_e32 vcc, 0, v3
	s_and_saveexec_b64 s[90:91], vcc
	s_cbranch_execz .LBB6_2322
; %bb.2315:                             ;   in Loop: Header=BB6_128 Depth=2
	v_and_b32_e32 v8, 0x7fffff, v3
	v_bfe_u32 v3, v3, 23, 8
	v_cmp_gt_u32_e64 s[20:21], s54, v3
	v_sub_u32_e32 v7, 0x79, v3
	v_cmp_eq_u32_e32 vcc, 0, v3
	v_cndmask_b32_e64 v7, 0, v7, s[20:21]
	v_mov_b32_e32 v19, 0x78
	v_or_b32_e32 v18, 0x800000, v8
	v_cndmask_b32_e32 v7, v7, v19, vcc
	v_cndmask_b32_e32 v52, v18, v8, vcc
	v_add_u32_e32 v8, 20, v7
	v_lshlrev_b64 v[18:19], v8, -1
	v_add_u32_e32 v8, 19, v7
	v_lshlrev_b64 v[22:23], v8, 1
	v_bfi_b32 v19, v19, 0, 0
	v_bfi_b32 v18, v18, 0, v52
	v_cmp_eq_u64_e64 s[20:21], v[18:19], v[22:23]
	v_lshrrev_b64 v[18:19], v7, v[52:53]
	v_mov_b32_e32 v23, v19
	v_mov_b32_e32 v22, v18
	s_and_saveexec_b64 s[92:93], s[20:21]
; %bb.2316:                             ;   in Loop: Header=BB6_128 Depth=2
	v_bfe_u32 v8, v18, 20, 1
	v_add_co_u32_e64 v8, s[20:21], v18, v8
	v_add_co_u32_e64 v22, s[20:21], -1, v8
; %bb.2317:                             ;   in Loop: Header=BB6_128 Depth=2
	s_or_b64 exec, exec, s[92:93]
	v_add_u32_e32 v3, 0xffffff81, v3
	v_mov_b32_e32 v8, 0xffffff82
	v_cndmask_b32_e32 v3, v3, v8, vcc
	v_lshrrev_b32_e32 v8, 23, v18
	v_add3_u32 v8, v7, v3, v8
	v_add_u32_e32 v7, 6, v8
	v_and_b32_e32 v3, 0xfffff, v22
	v_add_u32_e32 v52, v3, v18
	v_cmp_ne_u32_e32 vcc, 0, v7
                                        ; implicit-def: $vgpr18_vgpr19
                                        ; implicit-def: $vgpr3
	s_and_saveexec_b64 s[20:21], vcc
	s_xor_b64 s[20:21], exec, s[20:21]
; %bb.2318:                             ;   in Loop: Header=BB6_128 Depth=2
	v_cmp_lt_u64_e32 vcc, s[60:61], v[52:53]
	v_add_u32_e32 v3, 7, v8
	v_cndmask_b32_e32 v3, v7, v3, vcc
	v_cndmask_b32_e64 v7, 0, 1, vcc
	v_lshrrev_b64 v[18:19], v7, v[52:53]
; %bb.2319:                             ;   in Loop: Header=BB6_128 Depth=2
	s_andn2_saveexec_b64 s[20:21], s[20:21]
; %bb.2320:                             ;   in Loop: Header=BB6_128 Depth=2
	v_mov_b32_e32 v18, v52
	v_bfe_u32 v3, v52, 23, 1
	v_mov_b32_e32 v19, v53
; %bb.2321:                             ;   in Loop: Header=BB6_128 Depth=2
	s_or_b64 exec, exec, s[20:21]
	v_lshrrev_b64 v[7:8], 20, v[18:19]
	v_cmp_gt_i32_e32 vcc, 16, v3
	v_cndmask_b32_e32 v8, 0, v8, vcc
	v_cndmask_b32_e32 v7, 7, v7, vcc
	v_cmp_eq_u32_e32 vcc, 0, v3
	v_min_i32_e32 v3, 15, v3
	v_cmp_eq_u64_e64 s[20:21], 0, v[7:8]
	v_lshlrev_b32_e32 v3, 3, v3
	v_and_b32_e32 v3, 0xf8, v3
	v_and_or_b32 v3, v7, 7, v3
	s_and_b64 s[20:21], vcc, s[20:21]
	v_cndmask_b32_e64 v3, v3, 0, s[20:21]
	v_or_b32_e32 v43, v3, v0
.LBB6_2322:                             ;   in Loop: Header=BB6_128 Depth=2
	s_or_b64 exec, exec, s[90:91]
                                        ; implicit-def: $vgpr0
.LBB6_2323:                             ;   in Loop: Header=BB6_128 Depth=2
	s_andn2_saveexec_b64 s[20:21], s[88:89]
; %bb.2324:                             ;   in Loop: Header=BB6_128 Depth=2
	v_or_b32_e32 v43, 0x7e, v0
; %bb.2325:                             ;   in Loop: Header=BB6_128 Depth=2
	s_or_b64 exec, exec, s[20:21]
                                        ; implicit-def: $vgpr3
.LBB6_2326:                             ;   in Loop: Header=BB6_128 Depth=2
	s_andn2_saveexec_b64 s[20:21], s[78:79]
; %bb.2327:                             ;   in Loop: Header=BB6_128 Depth=2
	v_or_b32_sdwa v43, v3, s51 dst_sel:DWORD dst_unused:UNUSED_PAD src0_sel:BYTE_3 src1_sel:DWORD
; %bb.2328:                             ;   in Loop: Header=BB6_128 Depth=2
	s_or_b64 exec, exec, s[20:21]
	buffer_load_dword v0, off, s[0:3], s33 offset:264 ; 4-byte Folded Reload
	v_cmp_ne_u32_e32 vcc, 0, v35
	s_waitcnt vmcnt(0)
	v_lshlrev_b32_e32 v3, 24, v0
	buffer_load_dword v0, off, s[0:3], s33 offset:248 ; 4-byte Folded Reload
	s_waitcnt vmcnt(0)
	v_lshlrev_b32_e32 v7, 16, v0
	buffer_load_dword v0, off, s[0:3], s33 offset:232 ; 4-byte Folded Reload
	s_waitcnt vmcnt(0)
	v_lshl_or_b32 v0, v0, 8, v35
	v_or3_b32 v52, v7, v3, v0
	v_mov_b32_e32 v7, 0
	v_mov_b32_e32 v3, 0
	s_and_saveexec_b64 s[20:21], vcc
	s_cbranch_execz .LBB6_2334
; %bb.2329:                             ;   in Loop: Header=BB6_128 Depth=2
	v_cmp_ne_u32_e32 vcc, s53, v35
	v_bfrev_b32_e32 v3, 1
	s_and_saveexec_b64 s[78:79], vcc
	s_cbranch_execz .LBB6_2333
; %bb.2330:                             ;   in Loop: Header=BB6_128 Depth=2
	v_and_b32_e32 v8, 0x7f, v35
	v_cmp_ne_u32_e32 vcc, s51, v8
	v_mov_b32_e32 v3, 0x7f800001
	s_and_saveexec_b64 s[88:89], vcc
	s_cbranch_execz .LBB6_2332
; %bb.2331:                             ;   in Loop: Header=BB6_128 Depth=2
	v_and_b32_e32 v3, 7, v35
	v_ffbh_u32_e32 v3, v3
	v_min_u32_e32 v3, 32, v3
	v_lshrrev_b32_e32 v18, 3, v8
	v_cmp_gt_u32_e32 vcc, 8, v8
	v_subrev_u32_e32 v8, 28, v3
	v_sub_u32_e32 v3, 29, v3
	v_cndmask_b32_e32 v8, 0, v8, vcc
	v_cndmask_b32_e32 v3, v18, v3, vcc
	v_lshlrev_b64 v[18:19], v8, v[52:53]
	v_bfrev_b32_e32 v19, 60
	v_lshlrev_b32_e32 v8, 20, v18
	v_lshlrev_b32_e32 v18, 24, v52
	v_and_b32_e32 v8, 0x700000, v8
	v_and_b32_e32 v18, 0x80000000, v18
	v_lshl_add_u32 v3, v3, 23, v19
	v_or3_b32 v3, v18, v3, v8
.LBB6_2332:                             ;   in Loop: Header=BB6_128 Depth=2
	s_or_b64 exec, exec, s[88:89]
.LBB6_2333:                             ;   in Loop: Header=BB6_128 Depth=2
	s_or_b64 exec, exec, s[78:79]
.LBB6_2334:                             ;   in Loop: Header=BB6_128 Depth=2
	s_or_b64 exec, exec, s[20:21]
	v_cmp_ne_u16_sdwa s[78:79], v21, v53 src0_sel:BYTE_0 src1_sel:DWORD
	s_and_saveexec_b64 s[20:21], s[78:79]
	s_cbranch_execz .LBB6_2340
; %bb.2335:                             ;   in Loop: Header=BB6_128 Depth=2
	v_cmp_ne_u16_sdwa s[88:89], v21, s53 src0_sel:BYTE_0 src1_sel:DWORD
	v_bfrev_b32_e32 v7, 1
	s_and_saveexec_b64 s[78:79], s[88:89]
	s_cbranch_execz .LBB6_2339
; %bb.2336:                             ;   in Loop: Header=BB6_128 Depth=2
	v_and_b32_e32 v8, 0x7f, v21
	v_cmp_ne_u32_e32 vcc, s51, v8
	v_mov_b32_e32 v7, 0x7f800001
	s_and_saveexec_b64 s[88:89], vcc
	s_cbranch_execz .LBB6_2338
; %bb.2337:                             ;   in Loop: Header=BB6_128 Depth=2
	v_and_b32_e32 v7, 7, v21
	v_ffbh_u32_e32 v7, v7
	v_min_u32_e32 v7, 32, v7
	v_lshrrev_b32_e32 v22, 3, v8
	v_cmp_gt_u32_e32 vcc, 8, v8
	v_subrev_u32_e32 v8, 28, v7
	v_sub_u32_e32 v7, 29, v7
	v_mov_b32_e32 v18, v21
	v_mov_b32_e32 v19, v53
	v_cndmask_b32_e32 v22, v22, v7, vcc
	v_cndmask_b32_e32 v7, 0, v8, vcc
	v_lshlrev_b64 v[7:8], v7, v[18:19]
	v_lshlrev_b32_e32 v8, 24, v18
	v_lshlrev_b32_e32 v7, 20, v7
	v_bfrev_b32_e32 v18, 60
	v_and_b32_e32 v7, 0x700000, v7
	v_and_b32_e32 v8, 0x80000000, v8
	v_lshl_add_u32 v18, v22, 23, v18
	v_or3_b32 v7, v8, v18, v7
.LBB6_2338:                             ;   in Loop: Header=BB6_128 Depth=2
	s_or_b64 exec, exec, s[88:89]
.LBB6_2339:                             ;   in Loop: Header=BB6_128 Depth=2
	s_or_b64 exec, exec, s[78:79]
.LBB6_2340:                             ;   in Loop: Header=BB6_128 Depth=2
	s_or_b64 exec, exec, s[20:21]
	v_add_f32_e32 v7, v3, v7
	v_and_b32_e32 v18, 0x7f800000, v7
	v_mov_b32_e32 v19, v53
	v_cmp_ne_u64_e32 vcc, s[56:57], v[18:19]
                                        ; implicit-def: $vgpr35
	s_and_saveexec_b64 s[20:21], vcc
	s_xor_b64 s[78:79], exec, s[20:21]
	s_cbranch_execz .LBB6_2354
; %bb.2341:                             ;   in Loop: Header=BB6_128 Depth=2
	v_and_b32_e32 v18, 0x7fffffff, v7
	v_mov_b32_e32 v19, v53
	v_cmp_gt_u64_e32 vcc, s[58:59], v[18:19]
	v_and_b32_sdwa v3, v7, s53 dst_sel:DWORD dst_unused:UNUSED_PAD src0_sel:BYTE_3 src1_sel:DWORD
                                        ; implicit-def: $vgpr35
	s_and_saveexec_b64 s[20:21], vcc
	s_xor_b64 s[88:89], exec, s[20:21]
	s_cbranch_execz .LBB6_2351
; %bb.2342:                             ;   in Loop: Header=BB6_128 Depth=2
	v_mov_b32_e32 v35, 0
	v_cmp_ne_u32_e32 vcc, 0, v7
	s_and_saveexec_b64 s[90:91], vcc
	s_cbranch_execz .LBB6_2350
; %bb.2343:                             ;   in Loop: Header=BB6_128 Depth=2
	v_and_b32_e32 v18, 0x7fffff, v7
	v_bfe_u32 v7, v7, 23, 8
	v_cmp_gt_u32_e64 s[20:21], s54, v7
	v_sub_u32_e32 v8, 0x79, v7
	v_cmp_eq_u32_e32 vcc, 0, v7
	v_cndmask_b32_e64 v8, 0, v8, s[20:21]
	v_mov_b32_e32 v22, 0x78
	v_cndmask_b32_e32 v8, v8, v22, vcc
	v_add_u32_e32 v22, 20, v8
	v_or_b32_e32 v19, 0x800000, v18
	v_lshlrev_b64 v[22:23], v22, -1
	v_cndmask_b32_e32 v18, v19, v18, vcc
	v_mov_b32_e32 v19, v53
	v_add_u32_e32 v25, 19, v8
	v_bfi_b32 v22, v22, 0, v18
	v_lshlrev_b64 v[27:28], v25, 1
	v_lshrrev_b64 v[18:19], v8, v[18:19]
	v_bfi_b32 v23, v23, 0, 0
	v_cmp_eq_u64_e64 s[20:21], v[22:23], v[27:28]
	v_mov_b32_e32 v23, v19
	v_mov_b32_e32 v22, v18
	s_and_saveexec_b64 s[92:93], s[20:21]
; %bb.2344:                             ;   in Loop: Header=BB6_128 Depth=2
	v_bfe_u32 v19, v18, 20, 1
	v_add_co_u32_e64 v19, s[20:21], v18, v19
	v_add_co_u32_e64 v22, s[20:21], -1, v19
; %bb.2345:                             ;   in Loop: Header=BB6_128 Depth=2
	s_or_b64 exec, exec, s[92:93]
	v_add_u32_e32 v7, 0xffffff81, v7
	v_mov_b32_e32 v19, 0xffffff82
	v_cndmask_b32_e32 v7, v7, v19, vcc
	v_lshrrev_b32_e32 v19, 23, v18
	v_add3_u32 v23, v8, v7, v19
	v_add_u32_e32 v8, 6, v23
	v_and_b32_e32 v7, 0xfffff, v22
	v_add_u32_e32 v18, v7, v18
	v_mov_b32_e32 v19, v53
	v_cmp_ne_u32_e32 vcc, 0, v8
                                        ; implicit-def: $vgpr7
	s_and_saveexec_b64 s[20:21], vcc
	s_xor_b64 s[20:21], exec, s[20:21]
; %bb.2346:                             ;   in Loop: Header=BB6_128 Depth=2
	v_cmp_lt_u64_e32 vcc, s[60:61], v[18:19]
	v_add_u32_e32 v7, 7, v23
	v_cndmask_b32_e32 v7, v8, v7, vcc
	v_cndmask_b32_e64 v8, 0, 1, vcc
	v_lshrrev_b64 v[18:19], v8, v[18:19]
; %bb.2347:                             ;   in Loop: Header=BB6_128 Depth=2
	s_andn2_saveexec_b64 s[20:21], s[20:21]
; %bb.2348:                             ;   in Loop: Header=BB6_128 Depth=2
	v_bfe_u32 v7, v18, 23, 1
; %bb.2349:                             ;   in Loop: Header=BB6_128 Depth=2
	s_or_b64 exec, exec, s[20:21]
	v_lshrrev_b64 v[18:19], 20, v[18:19]
	v_cmp_gt_i32_e32 vcc, 16, v7
	v_cndmask_b32_e32 v19, 0, v19, vcc
	v_cndmask_b32_e32 v18, 7, v18, vcc
	v_cmp_eq_u32_e32 vcc, 0, v7
	v_min_i32_e32 v7, 15, v7
	v_cmp_eq_u64_e64 s[20:21], 0, v[18:19]
	v_lshlrev_b32_e32 v7, 3, v7
	v_and_b32_e32 v7, 0xf8, v7
	v_and_or_b32 v7, v18, 7, v7
	s_and_b64 s[20:21], vcc, s[20:21]
	v_cndmask_b32_e64 v7, v7, 0, s[20:21]
	v_or_b32_e32 v35, v7, v3
.LBB6_2350:                             ;   in Loop: Header=BB6_128 Depth=2
	s_or_b64 exec, exec, s[90:91]
                                        ; implicit-def: $vgpr3
.LBB6_2351:                             ;   in Loop: Header=BB6_128 Depth=2
	s_andn2_saveexec_b64 s[20:21], s[88:89]
; %bb.2352:                             ;   in Loop: Header=BB6_128 Depth=2
	v_or_b32_e32 v35, 0x7e, v3
; %bb.2353:                             ;   in Loop: Header=BB6_128 Depth=2
	s_or_b64 exec, exec, s[20:21]
                                        ; implicit-def: $vgpr7
.LBB6_2354:                             ;   in Loop: Header=BB6_128 Depth=2
	s_andn2_saveexec_b64 s[20:21], s[78:79]
; %bb.2355:                             ;   in Loop: Header=BB6_128 Depth=2
	v_or_b32_sdwa v35, v7, s51 dst_sel:DWORD dst_unused:UNUSED_PAD src0_sel:BYTE_3 src1_sel:DWORD
; %bb.2356:                             ;   in Loop: Header=BB6_128 Depth=2
	s_or_b64 exec, exec, s[20:21]
	v_lshrrev_b16_e32 v18, 8, v0
	v_cmp_ne_u16_e32 vcc, 0, v18
	v_mov_b32_e32 v3, 0
	v_mov_b32_e32 v7, 0
	s_and_saveexec_b64 s[20:21], vcc
	s_cbranch_execz .LBB6_2362
; %bb.2357:                             ;   in Loop: Header=BB6_128 Depth=2
	v_cmp_ne_u16_e32 vcc, s53, v18
	v_bfrev_b32_e32 v7, 1
	s_and_saveexec_b64 s[78:79], vcc
	s_cbranch_execz .LBB6_2361
; %bb.2358:                             ;   in Loop: Header=BB6_128 Depth=2
	v_and_b32_e32 v8, 0x7f, v18
	v_cmp_ne_u32_e32 vcc, s51, v8
	v_mov_b32_e32 v7, 0x7f800001
	s_and_saveexec_b64 s[88:89], vcc
	s_cbranch_execz .LBB6_2360
; %bb.2359:                             ;   in Loop: Header=BB6_128 Depth=2
	v_and_b32_e32 v19, 7, v18
	v_ffbh_u32_e32 v7, v19
	v_min_u32_e32 v23, 32, v7
	v_subrev_u32_e32 v7, 28, v23
	v_lshrrev_b32_e32 v22, 3, v8
	v_cmp_gt_u32_e32 vcc, 8, v8
	v_lshlrev_b64 v[7:8], v7, v[18:19]
	v_sub_u32_e32 v8, 29, v23
	v_and_b32_e32 v7, 7, v7
	v_cndmask_b32_e32 v8, v22, v8, vcc
	v_cndmask_b32_e32 v7, v19, v7, vcc
	v_lshlrev_b32_e32 v0, 16, v0
	v_bfrev_b32_e32 v18, 60
	v_lshlrev_b32_e32 v7, 20, v7
	v_and_b32_e32 v0, 0x80000000, v0
	v_lshl_add_u32 v8, v8, 23, v18
	v_or3_b32 v7, v0, v8, v7
.LBB6_2360:                             ;   in Loop: Header=BB6_128 Depth=2
	s_or_b64 exec, exec, s[88:89]
.LBB6_2361:                             ;   in Loop: Header=BB6_128 Depth=2
	s_or_b64 exec, exec, s[78:79]
.LBB6_2362:                             ;   in Loop: Header=BB6_128 Depth=2
	s_or_b64 exec, exec, s[20:21]
	v_lshrrev_b16_e32 v18, 8, v21
	v_cmp_ne_u16_e32 vcc, 0, v18
	s_and_saveexec_b64 s[20:21], vcc
	s_cbranch_execz .LBB6_2368
; %bb.2363:                             ;   in Loop: Header=BB6_128 Depth=2
	v_cmp_ne_u16_e32 vcc, s53, v18
	v_bfrev_b32_e32 v3, 1
	s_and_saveexec_b64 s[78:79], vcc
	s_cbranch_execz .LBB6_2367
; %bb.2364:                             ;   in Loop: Header=BB6_128 Depth=2
	v_and_b32_e32 v0, 0x7f, v18
	v_cmp_ne_u32_e32 vcc, s51, v0
	v_mov_b32_e32 v3, 0x7f800001
	s_and_saveexec_b64 s[88:89], vcc
	s_cbranch_execz .LBB6_2366
; %bb.2365:                             ;   in Loop: Header=BB6_128 Depth=2
	v_and_b32_e32 v3, 7, v18
	v_lshrrev_b32_e32 v8, 3, v0
	v_cmp_gt_u32_e32 vcc, 8, v0
	v_ffbh_u32_e32 v0, v3
	v_min_u32_e32 v0, 32, v0
	v_subrev_u32_e32 v19, 28, v0
	v_lshlrev_b64 v[18:19], v19, v[18:19]
	v_sub_u32_e32 v0, 29, v0
	v_and_b32_e32 v18, 7, v18
	v_cndmask_b32_e32 v0, v8, v0, vcc
	v_cndmask_b32_e32 v3, v3, v18, vcc
	v_lshlrev_b32_e32 v8, 16, v21
	v_bfrev_b32_e32 v18, 60
	v_lshlrev_b32_e32 v3, 20, v3
	v_and_b32_e32 v8, 0x80000000, v8
	v_lshl_add_u32 v0, v0, 23, v18
	v_or3_b32 v3, v8, v0, v3
.LBB6_2366:                             ;   in Loop: Header=BB6_128 Depth=2
	s_or_b64 exec, exec, s[88:89]
.LBB6_2367:                             ;   in Loop: Header=BB6_128 Depth=2
	s_or_b64 exec, exec, s[78:79]
.LBB6_2368:                             ;   in Loop: Header=BB6_128 Depth=2
	s_or_b64 exec, exec, s[20:21]
	v_add_f32_e32 v3, v7, v3
	v_and_b32_e32 v7, 0x7f800000, v3
	v_mov_b32_e32 v8, v53
	v_cmp_ne_u64_e32 vcc, s[56:57], v[7:8]
                                        ; implicit-def: $vgpr44
	s_and_saveexec_b64 s[20:21], vcc
	s_xor_b64 s[78:79], exec, s[20:21]
	s_cbranch_execz .LBB6_2382
; %bb.2369:                             ;   in Loop: Header=BB6_128 Depth=2
	v_and_b32_e32 v7, 0x7fffffff, v3
	v_mov_b32_e32 v8, v53
	v_cmp_gt_u64_e32 vcc, s[58:59], v[7:8]
	v_and_b32_sdwa v0, v3, s53 dst_sel:DWORD dst_unused:UNUSED_PAD src0_sel:BYTE_3 src1_sel:DWORD
                                        ; implicit-def: $vgpr44
	s_and_saveexec_b64 s[20:21], vcc
	s_xor_b64 s[88:89], exec, s[20:21]
	s_cbranch_execz .LBB6_2379
; %bb.2370:                             ;   in Loop: Header=BB6_128 Depth=2
	v_mov_b32_e32 v44, 0
	v_cmp_ne_u32_e32 vcc, 0, v3
	s_and_saveexec_b64 s[90:91], vcc
	s_cbranch_execz .LBB6_2378
; %bb.2371:                             ;   in Loop: Header=BB6_128 Depth=2
	v_and_b32_e32 v8, 0x7fffff, v3
	v_bfe_u32 v3, v3, 23, 8
	v_cmp_gt_u32_e64 s[20:21], s54, v3
	v_sub_u32_e32 v7, 0x79, v3
	v_cmp_eq_u32_e32 vcc, 0, v3
	v_cndmask_b32_e64 v7, 0, v7, s[20:21]
	v_mov_b32_e32 v19, 0x78
	v_or_b32_e32 v18, 0x800000, v8
	v_cndmask_b32_e32 v7, v7, v19, vcc
	v_cndmask_b32_e32 v18, v18, v8, vcc
	v_add_u32_e32 v8, 20, v7
	v_lshlrev_b64 v[22:23], v8, -1
	v_mov_b32_e32 v19, v53
	v_add_u32_e32 v8, 19, v7
	v_bfi_b32 v22, v22, 0, v18
	v_lshlrev_b64 v[27:28], v8, 1
	v_lshrrev_b64 v[18:19], v7, v[18:19]
	v_bfi_b32 v23, v23, 0, 0
	v_cmp_eq_u64_e64 s[20:21], v[22:23], v[27:28]
	v_mov_b32_e32 v23, v19
	v_mov_b32_e32 v22, v18
	s_and_saveexec_b64 s[92:93], s[20:21]
; %bb.2372:                             ;   in Loop: Header=BB6_128 Depth=2
	v_bfe_u32 v8, v18, 20, 1
	v_add_co_u32_e64 v8, s[20:21], v18, v8
	v_add_co_u32_e64 v22, s[20:21], -1, v8
; %bb.2373:                             ;   in Loop: Header=BB6_128 Depth=2
	s_or_b64 exec, exec, s[92:93]
	v_add_u32_e32 v3, 0xffffff81, v3
	v_mov_b32_e32 v8, 0xffffff82
	v_cndmask_b32_e32 v3, v3, v8, vcc
	v_lshrrev_b32_e32 v8, 23, v18
	v_add3_u32 v8, v7, v3, v8
	v_add_u32_e32 v7, 6, v8
	v_and_b32_e32 v3, 0xfffff, v22
	v_add_u32_e32 v18, v3, v18
	v_mov_b32_e32 v19, v53
	v_cmp_ne_u32_e32 vcc, 0, v7
                                        ; implicit-def: $vgpr3
	s_and_saveexec_b64 s[20:21], vcc
	s_xor_b64 s[20:21], exec, s[20:21]
; %bb.2374:                             ;   in Loop: Header=BB6_128 Depth=2
	v_cmp_lt_u64_e32 vcc, s[60:61], v[18:19]
	v_add_u32_e32 v3, 7, v8
	v_cndmask_b32_e32 v3, v7, v3, vcc
	v_cndmask_b32_e64 v7, 0, 1, vcc
	v_lshrrev_b64 v[18:19], v7, v[18:19]
; %bb.2375:                             ;   in Loop: Header=BB6_128 Depth=2
	s_andn2_saveexec_b64 s[20:21], s[20:21]
; %bb.2376:                             ;   in Loop: Header=BB6_128 Depth=2
	v_bfe_u32 v3, v18, 23, 1
; %bb.2377:                             ;   in Loop: Header=BB6_128 Depth=2
	s_or_b64 exec, exec, s[20:21]
	v_lshrrev_b64 v[7:8], 20, v[18:19]
	v_cmp_gt_i32_e32 vcc, 16, v3
	v_cndmask_b32_e32 v8, 0, v8, vcc
	v_cndmask_b32_e32 v7, 7, v7, vcc
	v_cmp_eq_u32_e32 vcc, 0, v3
	v_min_i32_e32 v3, 15, v3
	v_cmp_eq_u64_e64 s[20:21], 0, v[7:8]
	v_lshlrev_b32_e32 v3, 3, v3
	v_and_b32_e32 v3, 0xf8, v3
	v_and_or_b32 v3, v7, 7, v3
	s_and_b64 s[20:21], vcc, s[20:21]
	v_cndmask_b32_e64 v3, v3, 0, s[20:21]
	v_or_b32_e32 v44, v3, v0
.LBB6_2378:                             ;   in Loop: Header=BB6_128 Depth=2
	s_or_b64 exec, exec, s[90:91]
                                        ; implicit-def: $vgpr0
.LBB6_2379:                             ;   in Loop: Header=BB6_128 Depth=2
	s_andn2_saveexec_b64 s[20:21], s[88:89]
; %bb.2380:                             ;   in Loop: Header=BB6_128 Depth=2
	v_or_b32_e32 v44, 0x7e, v0
; %bb.2381:                             ;   in Loop: Header=BB6_128 Depth=2
	s_or_b64 exec, exec, s[20:21]
                                        ; implicit-def: $vgpr3
.LBB6_2382:                             ;   in Loop: Header=BB6_128 Depth=2
	s_andn2_saveexec_b64 s[20:21], s[78:79]
; %bb.2383:                             ;   in Loop: Header=BB6_128 Depth=2
	v_or_b32_sdwa v44, v3, s51 dst_sel:DWORD dst_unused:UNUSED_PAD src0_sel:BYTE_3 src1_sel:DWORD
; %bb.2384:                             ;   in Loop: Header=BB6_128 Depth=2
	s_or_b64 exec, exec, s[20:21]
	v_lshrrev_b32_e32 v18, 16, v52
	v_cmp_ne_u16_sdwa s[78:79], v18, v53 src0_sel:BYTE_0 src1_sel:DWORD
	v_mov_b32_e32 v0, 0
	v_mov_b32_e32 v3, 0
	s_and_saveexec_b64 s[20:21], s[78:79]
	s_cbranch_execz .LBB6_2390
; %bb.2385:                             ;   in Loop: Header=BB6_128 Depth=2
	v_cmp_ne_u16_sdwa s[88:89], v18, s53 src0_sel:BYTE_0 src1_sel:DWORD
	v_bfrev_b32_e32 v3, 1
	s_and_saveexec_b64 s[78:79], s[88:89]
	s_cbranch_execz .LBB6_2389
; %bb.2386:                             ;   in Loop: Header=BB6_128 Depth=2
	v_bfe_u32 v7, v52, 16, 7
	v_cmp_ne_u32_e32 vcc, s51, v7
	v_mov_b32_e32 v3, 0x7f800001
	s_and_saveexec_b64 s[88:89], vcc
	s_cbranch_execz .LBB6_2388
; %bb.2387:                             ;   in Loop: Header=BB6_128 Depth=2
	v_and_b32_e32 v3, 7, v18
	v_lshrrev_b32_e32 v19, 3, v7
	v_cmp_gt_u32_e32 vcc, 8, v7
	v_ffbh_u32_e32 v7, v3
	v_min_u32_e32 v22, 32, v7
	v_subrev_u32_e32 v7, 28, v22
	v_lshlrev_b64 v[7:8], v7, v[18:19]
	v_sub_u32_e32 v8, 29, v22
	v_and_b32_e32 v7, 7, v7
	v_cndmask_b32_e32 v8, v19, v8, vcc
	v_cndmask_b32_e32 v3, v3, v7, vcc
	v_lshlrev_b32_e32 v7, 24, v18
	v_bfrev_b32_e32 v18, 60
	v_lshlrev_b32_e32 v3, 20, v3
	v_and_b32_e32 v7, 0x80000000, v7
	v_lshl_add_u32 v8, v8, 23, v18
	v_or3_b32 v3, v7, v8, v3
.LBB6_2388:                             ;   in Loop: Header=BB6_128 Depth=2
	s_or_b64 exec, exec, s[88:89]
.LBB6_2389:                             ;   in Loop: Header=BB6_128 Depth=2
	s_or_b64 exec, exec, s[78:79]
.LBB6_2390:                             ;   in Loop: Header=BB6_128 Depth=2
	s_or_b64 exec, exec, s[20:21]
	v_lshrrev_b32_e32 v18, 16, v21
	v_cmp_ne_u16_sdwa s[78:79], v18, v53 src0_sel:BYTE_0 src1_sel:DWORD
	s_and_saveexec_b64 s[20:21], s[78:79]
	s_cbranch_execz .LBB6_2396
; %bb.2391:                             ;   in Loop: Header=BB6_128 Depth=2
	v_cmp_ne_u16_sdwa s[88:89], v18, s53 src0_sel:BYTE_0 src1_sel:DWORD
	v_bfrev_b32_e32 v0, 1
	s_and_saveexec_b64 s[78:79], s[88:89]
	s_cbranch_execz .LBB6_2395
; %bb.2392:                             ;   in Loop: Header=BB6_128 Depth=2
	v_bfe_u32 v7, v21, 16, 7
	v_cmp_ne_u32_e32 vcc, s51, v7
	v_mov_b32_e32 v0, 0x7f800001
	s_and_saveexec_b64 s[88:89], vcc
	s_cbranch_execz .LBB6_2394
; %bb.2393:                             ;   in Loop: Header=BB6_128 Depth=2
	v_and_b32_e32 v0, 7, v18
	v_lshrrev_b32_e32 v19, 3, v7
	v_cmp_gt_u32_e32 vcc, 8, v7
	v_ffbh_u32_e32 v7, v0
	v_min_u32_e32 v22, 32, v7
	v_subrev_u32_e32 v7, 28, v22
	v_lshlrev_b64 v[7:8], v7, v[18:19]
	v_sub_u32_e32 v8, 29, v22
	v_and_b32_e32 v7, 7, v7
	v_cndmask_b32_e32 v8, v19, v8, vcc
	v_cndmask_b32_e32 v0, v0, v7, vcc
	v_lshlrev_b32_e32 v7, 8, v21
	v_bfrev_b32_e32 v18, 60
	v_lshlrev_b32_e32 v0, 20, v0
	v_and_b32_e32 v7, 0x80000000, v7
	v_lshl_add_u32 v8, v8, 23, v18
	v_or3_b32 v0, v7, v8, v0
.LBB6_2394:                             ;   in Loop: Header=BB6_128 Depth=2
	s_or_b64 exec, exec, s[88:89]
.LBB6_2395:                             ;   in Loop: Header=BB6_128 Depth=2
	s_or_b64 exec, exec, s[78:79]
.LBB6_2396:                             ;   in Loop: Header=BB6_128 Depth=2
	s_or_b64 exec, exec, s[20:21]
	v_add_f32_e32 v3, v3, v0
	v_and_b32_e32 v7, 0x7f800000, v3
	v_mov_b32_e32 v8, v53
	v_cmp_ne_u64_e32 vcc, s[56:57], v[7:8]
                                        ; implicit-def: $vgpr22
	s_and_saveexec_b64 s[20:21], vcc
	s_xor_b64 s[78:79], exec, s[20:21]
	s_cbranch_execz .LBB6_2410
; %bb.2397:                             ;   in Loop: Header=BB6_128 Depth=2
	v_and_b32_e32 v7, 0x7fffffff, v3
	v_mov_b32_e32 v8, v53
	v_cmp_gt_u64_e32 vcc, s[58:59], v[7:8]
	v_and_b32_sdwa v0, v3, s53 dst_sel:DWORD dst_unused:UNUSED_PAD src0_sel:BYTE_3 src1_sel:DWORD
                                        ; implicit-def: $vgpr22
	s_and_saveexec_b64 s[20:21], vcc
	s_xor_b64 s[88:89], exec, s[20:21]
	s_cbranch_execz .LBB6_2407
; %bb.2398:                             ;   in Loop: Header=BB6_128 Depth=2
	v_mov_b32_e32 v22, 0
	v_cmp_ne_u32_e32 vcc, 0, v3
	s_and_saveexec_b64 s[90:91], vcc
	s_cbranch_execz .LBB6_2406
; %bb.2399:                             ;   in Loop: Header=BB6_128 Depth=2
	v_and_b32_e32 v8, 0x7fffff, v3
	v_bfe_u32 v3, v3, 23, 8
	v_cmp_gt_u32_e64 s[20:21], s54, v3
	v_sub_u32_e32 v7, 0x79, v3
	v_cmp_eq_u32_e32 vcc, 0, v3
	v_cndmask_b32_e64 v7, 0, v7, s[20:21]
	v_mov_b32_e32 v19, 0x78
	v_or_b32_e32 v18, 0x800000, v8
	v_cndmask_b32_e32 v7, v7, v19, vcc
	v_cndmask_b32_e32 v18, v18, v8, vcc
	v_add_u32_e32 v8, 20, v7
	v_lshlrev_b64 v[22:23], v8, -1
	v_mov_b32_e32 v19, v53
	v_add_u32_e32 v8, 19, v7
	v_bfi_b32 v22, v22, 0, v18
	v_lshlrev_b64 v[27:28], v8, 1
	v_lshrrev_b64 v[18:19], v7, v[18:19]
	v_bfi_b32 v23, v23, 0, 0
	v_cmp_eq_u64_e64 s[20:21], v[22:23], v[27:28]
	v_mov_b32_e32 v23, v19
	v_mov_b32_e32 v22, v18
	s_and_saveexec_b64 s[92:93], s[20:21]
; %bb.2400:                             ;   in Loop: Header=BB6_128 Depth=2
	v_bfe_u32 v8, v18, 20, 1
	v_add_co_u32_e64 v8, s[20:21], v18, v8
	v_add_co_u32_e64 v22, s[20:21], -1, v8
; %bb.2401:                             ;   in Loop: Header=BB6_128 Depth=2
	s_or_b64 exec, exec, s[92:93]
	v_add_u32_e32 v3, 0xffffff81, v3
	v_mov_b32_e32 v8, 0xffffff82
	v_cndmask_b32_e32 v3, v3, v8, vcc
	v_lshrrev_b32_e32 v8, 23, v18
	v_add3_u32 v8, v7, v3, v8
	v_add_u32_e32 v7, 6, v8
	v_and_b32_e32 v3, 0xfffff, v22
	v_add_u32_e32 v18, v3, v18
	v_mov_b32_e32 v19, v53
	v_cmp_ne_u32_e32 vcc, 0, v7
                                        ; implicit-def: $vgpr3
	s_and_saveexec_b64 s[20:21], vcc
	s_xor_b64 s[20:21], exec, s[20:21]
; %bb.2402:                             ;   in Loop: Header=BB6_128 Depth=2
	v_cmp_lt_u64_e32 vcc, s[60:61], v[18:19]
	v_add_u32_e32 v3, 7, v8
	v_cndmask_b32_e32 v3, v7, v3, vcc
	v_cndmask_b32_e64 v7, 0, 1, vcc
	v_lshrrev_b64 v[18:19], v7, v[18:19]
; %bb.2403:                             ;   in Loop: Header=BB6_128 Depth=2
	s_andn2_saveexec_b64 s[20:21], s[20:21]
; %bb.2404:                             ;   in Loop: Header=BB6_128 Depth=2
	v_bfe_u32 v3, v18, 23, 1
; %bb.2405:                             ;   in Loop: Header=BB6_128 Depth=2
	s_or_b64 exec, exec, s[20:21]
	v_lshrrev_b64 v[7:8], 20, v[18:19]
	v_cmp_gt_i32_e32 vcc, 16, v3
	v_cndmask_b32_e32 v8, 0, v8, vcc
	v_cndmask_b32_e32 v7, 7, v7, vcc
	v_cmp_eq_u32_e32 vcc, 0, v3
	v_min_i32_e32 v3, 15, v3
	v_cmp_eq_u64_e64 s[20:21], 0, v[7:8]
	v_lshlrev_b32_e32 v3, 3, v3
	v_and_b32_e32 v3, 0xf8, v3
	v_and_or_b32 v3, v7, 7, v3
	s_and_b64 s[20:21], vcc, s[20:21]
	v_cndmask_b32_e64 v3, v3, 0, s[20:21]
	v_or_b32_e32 v22, v3, v0
.LBB6_2406:                             ;   in Loop: Header=BB6_128 Depth=2
	s_or_b64 exec, exec, s[90:91]
                                        ; implicit-def: $vgpr0
.LBB6_2407:                             ;   in Loop: Header=BB6_128 Depth=2
	s_andn2_saveexec_b64 s[20:21], s[88:89]
; %bb.2408:                             ;   in Loop: Header=BB6_128 Depth=2
	v_or_b32_e32 v22, 0x7e, v0
; %bb.2409:                             ;   in Loop: Header=BB6_128 Depth=2
	s_or_b64 exec, exec, s[20:21]
                                        ; implicit-def: $vgpr3
.LBB6_2410:                             ;   in Loop: Header=BB6_128 Depth=2
	s_andn2_saveexec_b64 s[20:21], s[78:79]
; %bb.2411:                             ;   in Loop: Header=BB6_128 Depth=2
	v_or_b32_sdwa v22, v3, s51 dst_sel:DWORD dst_unused:UNUSED_PAD src0_sel:BYTE_3 src1_sel:DWORD
; %bb.2412:                             ;   in Loop: Header=BB6_128 Depth=2
	s_or_b64 exec, exec, s[20:21]
	v_cmp_lt_u32_e32 vcc, s63, v52
	v_mov_b32_e32 v0, 0
	v_mov_b32_e32 v3, 0
	s_and_saveexec_b64 s[20:21], vcc
	s_cbranch_execz .LBB6_2418
; %bb.2413:                             ;   in Loop: Header=BB6_128 Depth=2
	v_lshrrev_b32_e32 v18, 24, v52
	v_cmp_ne_u32_sdwa s[88:89], v52, s53 src0_sel:BYTE_3 src1_sel:DWORD
	v_bfrev_b32_e32 v3, 1
	s_and_saveexec_b64 s[78:79], s[88:89]
	s_cbranch_execz .LBB6_2417
; %bb.2414:                             ;   in Loop: Header=BB6_128 Depth=2
	v_bfe_u32 v7, v52, 24, 7
	v_cmp_ne_u32_e32 vcc, s51, v7
	v_mov_b32_e32 v3, 0x7f800001
	s_and_saveexec_b64 s[88:89], vcc
	s_cbranch_execz .LBB6_2416
; %bb.2415:                             ;   in Loop: Header=BB6_128 Depth=2
	v_and_b32_e32 v3, 7, v18
	v_lshrrev_b32_e32 v19, 3, v7
	v_cmp_gt_u32_e32 vcc, 8, v7
	v_ffbh_u32_e32 v7, v3
	v_min_u32_e32 v23, 32, v7
	v_subrev_u32_e32 v7, 28, v23
	v_lshlrev_b64 v[7:8], v7, v[18:19]
	v_sub_u32_e32 v8, 29, v23
	v_and_b32_e32 v7, 7, v7
	v_cndmask_b32_e32 v3, v3, v7, vcc
	v_mov_b32_e32 v7, 24
	v_cndmask_b32_e32 v8, v19, v8, vcc
	v_lshlrev_b32_sdwa v7, v7, v52 dst_sel:DWORD dst_unused:UNUSED_PAD src0_sel:DWORD src1_sel:BYTE_3
	v_bfrev_b32_e32 v18, 60
	v_lshlrev_b32_e32 v3, 20, v3
	v_and_b32_e32 v7, 0x80000000, v7
	v_lshl_add_u32 v8, v8, 23, v18
	v_or3_b32 v3, v7, v8, v3
.LBB6_2416:                             ;   in Loop: Header=BB6_128 Depth=2
	s_or_b64 exec, exec, s[88:89]
.LBB6_2417:                             ;   in Loop: Header=BB6_128 Depth=2
	s_or_b64 exec, exec, s[78:79]
.LBB6_2418:                             ;   in Loop: Header=BB6_128 Depth=2
	s_or_b64 exec, exec, s[20:21]
	v_cmp_lt_u64_e32 vcc, s[62:63], v[20:21]
	s_and_saveexec_b64 s[20:21], vcc
	s_cbranch_execz .LBB6_2424
; %bb.2419:                             ;   in Loop: Header=BB6_128 Depth=2
	v_lshrrev_b32_e32 v18, 24, v21
	v_cmp_ne_u32_e32 vcc, s53, v18
	v_bfrev_b32_e32 v0, 1
	s_and_saveexec_b64 s[78:79], vcc
	s_cbranch_execz .LBB6_2423
; %bb.2420:                             ;   in Loop: Header=BB6_128 Depth=2
	v_bfe_u32 v7, v21, 24, 7
	v_cmp_ne_u32_e32 vcc, s51, v7
	v_mov_b32_e32 v0, 0x7f800001
	s_and_saveexec_b64 s[88:89], vcc
	s_cbranch_execz .LBB6_2422
; %bb.2421:                             ;   in Loop: Header=BB6_128 Depth=2
	v_and_b32_e32 v0, 7, v18
	v_lshrrev_b32_e32 v19, 3, v7
	v_cmp_gt_u32_e32 vcc, 8, v7
	v_ffbh_u32_e32 v7, v0
	v_min_u32_e32 v20, 32, v7
	v_subrev_u32_e32 v7, 28, v20
	v_lshlrev_b64 v[7:8], v7, v[18:19]
	v_sub_u32_e32 v8, 29, v20
	v_and_b32_e32 v7, 7, v7
	v_cndmask_b32_e32 v8, v19, v8, vcc
	v_cndmask_b32_e32 v0, v0, v7, vcc
	v_lshlrev_b32_e32 v7, 24, v18
	v_bfrev_b32_e32 v18, 60
	v_lshlrev_b32_e32 v0, 20, v0
	v_and_b32_e32 v7, 0x80000000, v7
	v_lshl_add_u32 v8, v8, 23, v18
	v_or3_b32 v0, v7, v8, v0
.LBB6_2422:                             ;   in Loop: Header=BB6_128 Depth=2
	s_or_b64 exec, exec, s[88:89]
.LBB6_2423:                             ;   in Loop: Header=BB6_128 Depth=2
	s_or_b64 exec, exec, s[78:79]
.LBB6_2424:                             ;   in Loop: Header=BB6_128 Depth=2
	s_or_b64 exec, exec, s[20:21]
	v_add_f32_e32 v3, v3, v0
	v_and_b32_e32 v52, 0x7f800000, v3
	v_cmp_ne_u64_e32 vcc, s[56:57], v[52:53]
                                        ; implicit-def: $vgpr21
	s_and_saveexec_b64 s[20:21], vcc
	s_xor_b64 s[78:79], exec, s[20:21]
	s_cbranch_execz .LBB6_2438
; %bb.2425:                             ;   in Loop: Header=BB6_128 Depth=2
	v_and_b32_e32 v52, 0x7fffffff, v3
	v_cmp_gt_u64_e32 vcc, s[58:59], v[52:53]
	v_and_b32_sdwa v0, v3, s53 dst_sel:DWORD dst_unused:UNUSED_PAD src0_sel:BYTE_3 src1_sel:DWORD
                                        ; implicit-def: $vgpr21
	s_and_saveexec_b64 s[20:21], vcc
	s_xor_b64 s[88:89], exec, s[20:21]
	s_cbranch_execz .LBB6_2435
; %bb.2426:                             ;   in Loop: Header=BB6_128 Depth=2
	v_mov_b32_e32 v21, 0
	v_cmp_ne_u32_e32 vcc, 0, v3
	s_and_saveexec_b64 s[90:91], vcc
	s_cbranch_execz .LBB6_2434
; %bb.2427:                             ;   in Loop: Header=BB6_128 Depth=2
	v_and_b32_e32 v8, 0x7fffff, v3
	v_bfe_u32 v3, v3, 23, 8
	v_cmp_gt_u32_e64 s[20:21], s54, v3
	v_sub_u32_e32 v7, 0x79, v3
	v_cmp_eq_u32_e32 vcc, 0, v3
	v_cndmask_b32_e64 v7, 0, v7, s[20:21]
	v_mov_b32_e32 v19, 0x78
	v_or_b32_e32 v18, 0x800000, v8
	v_cndmask_b32_e32 v7, v7, v19, vcc
	v_cndmask_b32_e32 v52, v18, v8, vcc
	v_add_u32_e32 v8, 20, v7
	v_lshlrev_b64 v[18:19], v8, -1
	v_add_u32_e32 v8, 19, v7
	v_lshlrev_b64 v[20:21], v8, 1
	v_bfi_b32 v19, v19, 0, 0
	v_bfi_b32 v18, v18, 0, v52
	v_cmp_eq_u64_e64 s[20:21], v[18:19], v[20:21]
	v_lshrrev_b64 v[18:19], v7, v[52:53]
	v_mov_b32_e32 v20, v19
	v_mov_b32_e32 v19, v18
	s_and_saveexec_b64 s[92:93], s[20:21]
; %bb.2428:                             ;   in Loop: Header=BB6_128 Depth=2
	v_bfe_u32 v8, v18, 20, 1
	v_add_co_u32_e64 v8, s[20:21], v18, v8
	v_add_co_u32_e64 v19, s[20:21], -1, v8
; %bb.2429:                             ;   in Loop: Header=BB6_128 Depth=2
	s_or_b64 exec, exec, s[92:93]
	v_add_u32_e32 v3, 0xffffff81, v3
	v_mov_b32_e32 v8, 0xffffff82
	v_cndmask_b32_e32 v3, v3, v8, vcc
	v_lshrrev_b32_e32 v8, 23, v18
	v_add3_u32 v8, v7, v3, v8
	v_add_u32_e32 v7, 6, v8
	v_and_b32_e32 v3, 0xfffff, v19
	v_add_u32_e32 v52, v3, v18
	v_cmp_ne_u32_e32 vcc, 0, v7
                                        ; implicit-def: $vgpr18_vgpr19
                                        ; implicit-def: $vgpr3
	s_and_saveexec_b64 s[20:21], vcc
	s_xor_b64 s[20:21], exec, s[20:21]
; %bb.2430:                             ;   in Loop: Header=BB6_128 Depth=2
	v_cmp_lt_u64_e32 vcc, s[60:61], v[52:53]
	v_add_u32_e32 v3, 7, v8
	v_cndmask_b32_e32 v3, v7, v3, vcc
	v_cndmask_b32_e64 v7, 0, 1, vcc
	v_lshrrev_b64 v[18:19], v7, v[52:53]
; %bb.2431:                             ;   in Loop: Header=BB6_128 Depth=2
	s_andn2_saveexec_b64 s[20:21], s[20:21]
; %bb.2432:                             ;   in Loop: Header=BB6_128 Depth=2
	v_mov_b32_e32 v18, v52
	v_bfe_u32 v3, v52, 23, 1
	v_mov_b32_e32 v19, v53
; %bb.2433:                             ;   in Loop: Header=BB6_128 Depth=2
	s_or_b64 exec, exec, s[20:21]
	v_lshrrev_b64 v[7:8], 20, v[18:19]
	v_cmp_gt_i32_e32 vcc, 16, v3
	v_cndmask_b32_e32 v8, 0, v8, vcc
	v_cndmask_b32_e32 v7, 7, v7, vcc
	v_cmp_eq_u32_e32 vcc, 0, v3
	v_min_i32_e32 v3, 15, v3
	v_cmp_eq_u64_e64 s[20:21], 0, v[7:8]
	v_lshlrev_b32_e32 v3, 3, v3
	v_and_b32_e32 v3, 0xf8, v3
	v_and_or_b32 v3, v7, 7, v3
	s_and_b64 s[20:21], vcc, s[20:21]
	v_cndmask_b32_e64 v3, v3, 0, s[20:21]
	v_or_b32_e32 v21, v3, v0
.LBB6_2434:                             ;   in Loop: Header=BB6_128 Depth=2
	s_or_b64 exec, exec, s[90:91]
                                        ; implicit-def: $vgpr0
.LBB6_2435:                             ;   in Loop: Header=BB6_128 Depth=2
	s_andn2_saveexec_b64 s[20:21], s[88:89]
; %bb.2436:                             ;   in Loop: Header=BB6_128 Depth=2
	v_or_b32_e32 v21, 0x7e, v0
; %bb.2437:                             ;   in Loop: Header=BB6_128 Depth=2
	s_or_b64 exec, exec, s[20:21]
                                        ; implicit-def: $vgpr3
.LBB6_2438:                             ;   in Loop: Header=BB6_128 Depth=2
	s_andn2_saveexec_b64 s[20:21], s[78:79]
; %bb.2439:                             ;   in Loop: Header=BB6_128 Depth=2
	v_or_b32_sdwa v21, v3, s51 dst_sel:DWORD dst_unused:UNUSED_PAD src0_sel:BYTE_3 src1_sel:DWORD
; %bb.2440:                             ;   in Loop: Header=BB6_128 Depth=2
	s_or_b64 exec, exec, s[20:21]
	buffer_load_dword v0, off, s[0:3], s33 offset:216 ; 4-byte Folded Reload
	buffer_load_dword v3, off, s[0:3], s33 offset:236 ; 4-byte Folded Reload
	;; [unrolled: 1-line block ×3, first 2 shown]
	v_cmp_ne_u32_e32 vcc, 0, v5
	s_waitcnt vmcnt(2)
	v_lshl_or_b32 v0, v0, 8, v5
	s_waitcnt vmcnt(1)
	v_lshlrev_b32_e32 v3, 16, v3
	s_waitcnt vmcnt(0)
	v_lshlrev_b32_e32 v7, 24, v7
	v_or3_b32 v52, v3, v7, v0
	v_mov_b32_e32 v3, 0
	v_mov_b32_e32 v7, 0
	s_and_saveexec_b64 s[20:21], vcc
	s_cbranch_execz .LBB6_2446
; %bb.2441:                             ;   in Loop: Header=BB6_128 Depth=2
	v_cmp_ne_u32_e32 vcc, s53, v5
	v_bfrev_b32_e32 v7, 1
	s_and_saveexec_b64 s[78:79], vcc
	s_cbranch_execz .LBB6_2445
; %bb.2442:                             ;   in Loop: Header=BB6_128 Depth=2
	v_and_b32_e32 v8, 0x7f, v5
	v_cmp_ne_u32_e32 vcc, s51, v8
	v_mov_b32_e32 v7, 0x7f800001
	s_and_saveexec_b64 s[88:89], vcc
	s_cbranch_execz .LBB6_2444
; %bb.2443:                             ;   in Loop: Header=BB6_128 Depth=2
	v_and_b32_e32 v5, 7, v5
	v_ffbh_u32_e32 v5, v5
	v_min_u32_e32 v5, 32, v5
	v_lshrrev_b32_e32 v7, 3, v8
	v_cmp_gt_u32_e32 vcc, 8, v8
	v_subrev_u32_e32 v8, 28, v5
	v_sub_u32_e32 v5, 29, v5
	v_cndmask_b32_e32 v5, v7, v5, vcc
	v_cndmask_b32_e32 v7, 0, v8, vcc
	v_lshlrev_b64 v[7:8], v7, v[52:53]
	v_lshlrev_b32_e32 v8, 24, v52
	v_lshlrev_b32_e32 v7, 20, v7
	v_bfrev_b32_e32 v18, 60
	v_and_b32_e32 v7, 0x700000, v7
	v_and_b32_e32 v8, 0x80000000, v8
	v_lshl_add_u32 v5, v5, 23, v18
	v_or3_b32 v7, v8, v5, v7
.LBB6_2444:                             ;   in Loop: Header=BB6_128 Depth=2
	s_or_b64 exec, exec, s[88:89]
.LBB6_2445:                             ;   in Loop: Header=BB6_128 Depth=2
	s_or_b64 exec, exec, s[78:79]
.LBB6_2446:                             ;   in Loop: Header=BB6_128 Depth=2
	s_or_b64 exec, exec, s[20:21]
	v_cmp_ne_u16_sdwa s[78:79], v14, v53 src0_sel:BYTE_0 src1_sel:DWORD
	s_and_saveexec_b64 s[20:21], s[78:79]
	s_cbranch_execz .LBB6_2452
; %bb.2447:                             ;   in Loop: Header=BB6_128 Depth=2
	v_cmp_ne_u16_sdwa s[88:89], v14, s53 src0_sel:BYTE_0 src1_sel:DWORD
	v_bfrev_b32_e32 v3, 1
	s_and_saveexec_b64 s[78:79], s[88:89]
	s_cbranch_execz .LBB6_2451
; %bb.2448:                             ;   in Loop: Header=BB6_128 Depth=2
	v_and_b32_e32 v5, 0x7f, v14
	v_cmp_ne_u32_e32 vcc, s51, v5
	v_mov_b32_e32 v3, 0x7f800001
	s_and_saveexec_b64 s[88:89], vcc
	s_cbranch_execz .LBB6_2450
; %bb.2449:                             ;   in Loop: Header=BB6_128 Depth=2
	v_and_b32_e32 v3, 7, v14
	v_ffbh_u32_e32 v3, v3
	v_min_u32_e32 v3, 32, v3
	v_lshrrev_b32_e32 v8, 3, v5
	v_cmp_gt_u32_e32 vcc, 8, v5
	v_subrev_u32_e32 v5, 28, v3
	v_cndmask_b32_e32 v5, 0, v5, vcc
	v_lshlrev_b64 v[18:19], v5, v[14:15]
	v_sub_u32_e32 v3, 29, v3
	v_cndmask_b32_e32 v3, v8, v3, vcc
	v_lshlrev_b32_e32 v5, 20, v18
	v_lshlrev_b32_e32 v8, 24, v14
	v_bfrev_b32_e32 v18, 60
	v_and_b32_e32 v5, 0x700000, v5
	v_and_b32_e32 v8, 0x80000000, v8
	v_lshl_add_u32 v3, v3, 23, v18
	v_or3_b32 v3, v8, v3, v5
.LBB6_2450:                             ;   in Loop: Header=BB6_128 Depth=2
	s_or_b64 exec, exec, s[88:89]
.LBB6_2451:                             ;   in Loop: Header=BB6_128 Depth=2
	s_or_b64 exec, exec, s[78:79]
.LBB6_2452:                             ;   in Loop: Header=BB6_128 Depth=2
	s_or_b64 exec, exec, s[20:21]
	v_add_f32_e32 v7, v7, v3
	v_and_b32_e32 v18, 0x7f800000, v7
	v_mov_b32_e32 v19, v53
	v_cmp_ne_u64_e32 vcc, s[56:57], v[18:19]
                                        ; implicit-def: $vgpr5
	s_and_saveexec_b64 s[20:21], vcc
	s_xor_b64 s[78:79], exec, s[20:21]
	s_cbranch_execz .LBB6_2466
; %bb.2453:                             ;   in Loop: Header=BB6_128 Depth=2
	v_and_b32_e32 v18, 0x7fffffff, v7
	v_mov_b32_e32 v19, v53
	v_cmp_gt_u64_e32 vcc, s[58:59], v[18:19]
	v_and_b32_sdwa v3, v7, s53 dst_sel:DWORD dst_unused:UNUSED_PAD src0_sel:BYTE_3 src1_sel:DWORD
                                        ; implicit-def: $vgpr5
	s_and_saveexec_b64 s[20:21], vcc
	s_xor_b64 s[88:89], exec, s[20:21]
	s_cbranch_execz .LBB6_2463
; %bb.2454:                             ;   in Loop: Header=BB6_128 Depth=2
	v_mov_b32_e32 v5, 0
	v_cmp_ne_u32_e32 vcc, 0, v7
	s_and_saveexec_b64 s[90:91], vcc
	s_cbranch_execz .LBB6_2462
; %bb.2455:                             ;   in Loop: Header=BB6_128 Depth=2
	v_bfe_u32 v5, v7, 23, 8
	v_and_b32_e32 v8, 0x7fffff, v7
	v_cmp_gt_u32_e64 s[20:21], s54, v5
	v_sub_u32_e32 v7, 0x79, v5
	v_cmp_eq_u32_e32 vcc, 0, v5
	v_cndmask_b32_e64 v7, 0, v7, s[20:21]
	v_mov_b32_e32 v19, 0x78
	v_or_b32_e32 v18, 0x800000, v8
	v_cndmask_b32_e32 v7, v7, v19, vcc
	v_cndmask_b32_e32 v18, v18, v8, vcc
	v_add_u32_e32 v8, 20, v7
	v_lshlrev_b64 v[27:28], v8, -1
	v_mov_b32_e32 v19, v53
	v_add_u32_e32 v8, 19, v7
	v_bfi_b32 v27, v27, 0, v18
	v_lshlrev_b64 v[30:31], v8, 1
	v_lshrrev_b64 v[18:19], v7, v[18:19]
	v_bfi_b32 v28, v28, 0, 0
	v_cmp_eq_u64_e64 s[20:21], v[27:28], v[30:31]
	v_mov_b32_e32 v20, v19
	v_mov_b32_e32 v19, v18
	s_and_saveexec_b64 s[92:93], s[20:21]
; %bb.2456:                             ;   in Loop: Header=BB6_128 Depth=2
	v_bfe_u32 v8, v18, 20, 1
	v_add_co_u32_e64 v8, s[20:21], v18, v8
	v_add_co_u32_e64 v19, s[20:21], -1, v8
; %bb.2457:                             ;   in Loop: Header=BB6_128 Depth=2
	s_or_b64 exec, exec, s[92:93]
	v_add_u32_e32 v5, 0xffffff81, v5
	v_mov_b32_e32 v8, 0xffffff82
	v_cndmask_b32_e32 v5, v5, v8, vcc
	v_lshrrev_b32_e32 v8, 23, v18
	v_add3_u32 v8, v7, v5, v8
	v_add_u32_e32 v7, 6, v8
	v_and_b32_e32 v5, 0xfffff, v19
	v_add_u32_e32 v18, v5, v18
	v_mov_b32_e32 v19, v53
	v_cmp_ne_u32_e32 vcc, 0, v7
                                        ; implicit-def: $vgpr5
	s_and_saveexec_b64 s[20:21], vcc
	s_xor_b64 s[20:21], exec, s[20:21]
; %bb.2458:                             ;   in Loop: Header=BB6_128 Depth=2
	v_cmp_lt_u64_e32 vcc, s[60:61], v[18:19]
	v_add_u32_e32 v5, 7, v8
	v_cndmask_b32_e32 v5, v7, v5, vcc
	v_cndmask_b32_e64 v7, 0, 1, vcc
	v_lshrrev_b64 v[18:19], v7, v[18:19]
; %bb.2459:                             ;   in Loop: Header=BB6_128 Depth=2
	s_andn2_saveexec_b64 s[20:21], s[20:21]
; %bb.2460:                             ;   in Loop: Header=BB6_128 Depth=2
	v_bfe_u32 v5, v18, 23, 1
; %bb.2461:                             ;   in Loop: Header=BB6_128 Depth=2
	s_or_b64 exec, exec, s[20:21]
	v_lshrrev_b64 v[7:8], 20, v[18:19]
	v_cmp_gt_i32_e32 vcc, 16, v5
	v_cndmask_b32_e32 v8, 0, v8, vcc
	v_cndmask_b32_e32 v7, 7, v7, vcc
	v_cmp_eq_u32_e32 vcc, 0, v5
	v_min_i32_e32 v5, 15, v5
	v_cmp_eq_u64_e64 s[20:21], 0, v[7:8]
	v_lshlrev_b32_e32 v5, 3, v5
	v_and_b32_e32 v5, 0xf8, v5
	v_and_or_b32 v5, v7, 7, v5
	s_and_b64 s[20:21], vcc, s[20:21]
	v_cndmask_b32_e64 v5, v5, 0, s[20:21]
	v_or_b32_e32 v5, v5, v3
.LBB6_2462:                             ;   in Loop: Header=BB6_128 Depth=2
	s_or_b64 exec, exec, s[90:91]
                                        ; implicit-def: $vgpr3
.LBB6_2463:                             ;   in Loop: Header=BB6_128 Depth=2
	s_andn2_saveexec_b64 s[20:21], s[88:89]
; %bb.2464:                             ;   in Loop: Header=BB6_128 Depth=2
	v_or_b32_e32 v5, 0x7e, v3
; %bb.2465:                             ;   in Loop: Header=BB6_128 Depth=2
	s_or_b64 exec, exec, s[20:21]
                                        ; implicit-def: $vgpr7
.LBB6_2466:                             ;   in Loop: Header=BB6_128 Depth=2
	s_andn2_saveexec_b64 s[20:21], s[78:79]
; %bb.2467:                             ;   in Loop: Header=BB6_128 Depth=2
	v_or_b32_sdwa v5, v7, s51 dst_sel:DWORD dst_unused:UNUSED_PAD src0_sel:BYTE_3 src1_sel:DWORD
; %bb.2468:                             ;   in Loop: Header=BB6_128 Depth=2
	s_or_b64 exec, exec, s[20:21]
	v_lshrrev_b16_e32 v18, 8, v0
	v_cmp_ne_u16_e32 vcc, 0, v18
	v_mov_b32_e32 v3, 0
	v_mov_b32_e32 v7, 0
	s_and_saveexec_b64 s[20:21], vcc
	s_cbranch_execz .LBB6_2474
; %bb.2469:                             ;   in Loop: Header=BB6_128 Depth=2
	v_cmp_ne_u16_e32 vcc, s53, v18
	v_bfrev_b32_e32 v7, 1
	s_and_saveexec_b64 s[78:79], vcc
	s_cbranch_execz .LBB6_2473
; %bb.2470:                             ;   in Loop: Header=BB6_128 Depth=2
	v_and_b32_e32 v8, 0x7f, v18
	v_cmp_ne_u32_e32 vcc, s51, v8
	v_mov_b32_e32 v7, 0x7f800001
	s_and_saveexec_b64 s[88:89], vcc
	s_cbranch_execz .LBB6_2472
; %bb.2471:                             ;   in Loop: Header=BB6_128 Depth=2
	v_and_b32_e32 v19, 7, v18
	v_ffbh_u32_e32 v7, v19
	v_min_u32_e32 v23, 32, v7
	v_subrev_u32_e32 v7, 28, v23
	v_lshrrev_b32_e32 v20, 3, v8
	v_cmp_gt_u32_e32 vcc, 8, v8
	v_lshlrev_b64 v[7:8], v7, v[18:19]
	v_sub_u32_e32 v8, 29, v23
	v_and_b32_e32 v7, 7, v7
	v_cndmask_b32_e32 v8, v20, v8, vcc
	v_cndmask_b32_e32 v7, v19, v7, vcc
	v_lshlrev_b32_e32 v0, 16, v0
	v_bfrev_b32_e32 v18, 60
	v_lshlrev_b32_e32 v7, 20, v7
	v_and_b32_e32 v0, 0x80000000, v0
	v_lshl_add_u32 v8, v8, 23, v18
	v_or3_b32 v7, v0, v8, v7
.LBB6_2472:                             ;   in Loop: Header=BB6_128 Depth=2
	s_or_b64 exec, exec, s[88:89]
.LBB6_2473:                             ;   in Loop: Header=BB6_128 Depth=2
	s_or_b64 exec, exec, s[78:79]
.LBB6_2474:                             ;   in Loop: Header=BB6_128 Depth=2
	s_or_b64 exec, exec, s[20:21]
	v_lshrrev_b16_e32 v18, 8, v14
	v_cmp_ne_u16_e32 vcc, 0, v18
	s_and_saveexec_b64 s[20:21], vcc
	s_cbranch_execz .LBB6_2480
; %bb.2475:                             ;   in Loop: Header=BB6_128 Depth=2
	v_cmp_ne_u16_e32 vcc, s53, v18
	v_bfrev_b32_e32 v3, 1
	s_and_saveexec_b64 s[78:79], vcc
	s_cbranch_execz .LBB6_2479
; %bb.2476:                             ;   in Loop: Header=BB6_128 Depth=2
	v_and_b32_e32 v0, 0x7f, v18
	v_cmp_ne_u32_e32 vcc, s51, v0
	v_mov_b32_e32 v3, 0x7f800001
	s_and_saveexec_b64 s[88:89], vcc
	s_cbranch_execz .LBB6_2478
; %bb.2477:                             ;   in Loop: Header=BB6_128 Depth=2
	v_and_b32_e32 v3, 7, v18
	v_lshrrev_b32_e32 v8, 3, v0
	v_cmp_gt_u32_e32 vcc, 8, v0
	v_ffbh_u32_e32 v0, v3
	v_min_u32_e32 v0, 32, v0
	v_subrev_u32_e32 v19, 28, v0
	v_lshlrev_b64 v[18:19], v19, v[18:19]
	v_sub_u32_e32 v0, 29, v0
	v_and_b32_e32 v18, 7, v18
	v_cndmask_b32_e32 v0, v8, v0, vcc
	v_cndmask_b32_e32 v3, v3, v18, vcc
	v_lshlrev_b32_e32 v8, 16, v14
	v_bfrev_b32_e32 v18, 60
	v_lshlrev_b32_e32 v3, 20, v3
	v_and_b32_e32 v8, 0x80000000, v8
	v_lshl_add_u32 v0, v0, 23, v18
	v_or3_b32 v3, v8, v0, v3
.LBB6_2478:                             ;   in Loop: Header=BB6_128 Depth=2
	s_or_b64 exec, exec, s[88:89]
.LBB6_2479:                             ;   in Loop: Header=BB6_128 Depth=2
	s_or_b64 exec, exec, s[78:79]
.LBB6_2480:                             ;   in Loop: Header=BB6_128 Depth=2
	s_or_b64 exec, exec, s[20:21]
	v_add_f32_e32 v3, v7, v3
	v_and_b32_e32 v7, 0x7f800000, v3
	v_mov_b32_e32 v8, v53
	v_cmp_ne_u64_e32 vcc, s[56:57], v[7:8]
                                        ; implicit-def: $vgpr23
	s_and_saveexec_b64 s[20:21], vcc
	s_xor_b64 s[78:79], exec, s[20:21]
	s_cbranch_execz .LBB6_2494
; %bb.2481:                             ;   in Loop: Header=BB6_128 Depth=2
	v_and_b32_e32 v7, 0x7fffffff, v3
	v_mov_b32_e32 v8, v53
	v_cmp_gt_u64_e32 vcc, s[58:59], v[7:8]
	v_and_b32_sdwa v0, v3, s53 dst_sel:DWORD dst_unused:UNUSED_PAD src0_sel:BYTE_3 src1_sel:DWORD
                                        ; implicit-def: $vgpr23
	s_and_saveexec_b64 s[20:21], vcc
	s_xor_b64 s[88:89], exec, s[20:21]
	s_cbranch_execz .LBB6_2491
; %bb.2482:                             ;   in Loop: Header=BB6_128 Depth=2
	v_mov_b32_e32 v23, 0
	v_cmp_ne_u32_e32 vcc, 0, v3
	s_and_saveexec_b64 s[90:91], vcc
	s_cbranch_execz .LBB6_2490
; %bb.2483:                             ;   in Loop: Header=BB6_128 Depth=2
	v_and_b32_e32 v8, 0x7fffff, v3
	v_bfe_u32 v3, v3, 23, 8
	v_cmp_gt_u32_e64 s[20:21], s54, v3
	v_sub_u32_e32 v7, 0x79, v3
	v_cmp_eq_u32_e32 vcc, 0, v3
	v_cndmask_b32_e64 v7, 0, v7, s[20:21]
	v_mov_b32_e32 v19, 0x78
	v_or_b32_e32 v18, 0x800000, v8
	v_cndmask_b32_e32 v7, v7, v19, vcc
	v_cndmask_b32_e32 v18, v18, v8, vcc
	v_add_u32_e32 v8, 20, v7
	v_lshlrev_b64 v[27:28], v8, -1
	v_mov_b32_e32 v19, v53
	v_add_u32_e32 v8, 19, v7
	v_bfi_b32 v27, v27, 0, v18
	v_lshlrev_b64 v[30:31], v8, 1
	v_lshrrev_b64 v[18:19], v7, v[18:19]
	v_bfi_b32 v28, v28, 0, 0
	v_cmp_eq_u64_e64 s[20:21], v[27:28], v[30:31]
	v_mov_b32_e32 v20, v19
	v_mov_b32_e32 v19, v18
	s_and_saveexec_b64 s[92:93], s[20:21]
; %bb.2484:                             ;   in Loop: Header=BB6_128 Depth=2
	v_bfe_u32 v8, v18, 20, 1
	v_add_co_u32_e64 v8, s[20:21], v18, v8
	v_add_co_u32_e64 v19, s[20:21], -1, v8
; %bb.2485:                             ;   in Loop: Header=BB6_128 Depth=2
	s_or_b64 exec, exec, s[92:93]
	v_add_u32_e32 v3, 0xffffff81, v3
	v_mov_b32_e32 v8, 0xffffff82
	v_cndmask_b32_e32 v3, v3, v8, vcc
	v_lshrrev_b32_e32 v8, 23, v18
	v_add3_u32 v8, v7, v3, v8
	v_add_u32_e32 v7, 6, v8
	v_and_b32_e32 v3, 0xfffff, v19
	v_add_u32_e32 v18, v3, v18
	v_mov_b32_e32 v19, v53
	v_cmp_ne_u32_e32 vcc, 0, v7
                                        ; implicit-def: $vgpr3
	s_and_saveexec_b64 s[20:21], vcc
	s_xor_b64 s[20:21], exec, s[20:21]
; %bb.2486:                             ;   in Loop: Header=BB6_128 Depth=2
	v_cmp_lt_u64_e32 vcc, s[60:61], v[18:19]
	v_add_u32_e32 v3, 7, v8
	v_cndmask_b32_e32 v3, v7, v3, vcc
	v_cndmask_b32_e64 v7, 0, 1, vcc
	v_lshrrev_b64 v[18:19], v7, v[18:19]
; %bb.2487:                             ;   in Loop: Header=BB6_128 Depth=2
	s_andn2_saveexec_b64 s[20:21], s[20:21]
; %bb.2488:                             ;   in Loop: Header=BB6_128 Depth=2
	v_bfe_u32 v3, v18, 23, 1
; %bb.2489:                             ;   in Loop: Header=BB6_128 Depth=2
	s_or_b64 exec, exec, s[20:21]
	v_lshrrev_b64 v[7:8], 20, v[18:19]
	v_cmp_gt_i32_e32 vcc, 16, v3
	v_cndmask_b32_e32 v8, 0, v8, vcc
	v_cndmask_b32_e32 v7, 7, v7, vcc
	v_cmp_eq_u32_e32 vcc, 0, v3
	v_min_i32_e32 v3, 15, v3
	v_cmp_eq_u64_e64 s[20:21], 0, v[7:8]
	v_lshlrev_b32_e32 v3, 3, v3
	v_and_b32_e32 v3, 0xf8, v3
	v_and_or_b32 v3, v7, 7, v3
	s_and_b64 s[20:21], vcc, s[20:21]
	v_cndmask_b32_e64 v3, v3, 0, s[20:21]
	v_or_b32_e32 v23, v3, v0
.LBB6_2490:                             ;   in Loop: Header=BB6_128 Depth=2
	s_or_b64 exec, exec, s[90:91]
                                        ; implicit-def: $vgpr0
.LBB6_2491:                             ;   in Loop: Header=BB6_128 Depth=2
	s_andn2_saveexec_b64 s[20:21], s[88:89]
; %bb.2492:                             ;   in Loop: Header=BB6_128 Depth=2
	v_or_b32_e32 v23, 0x7e, v0
; %bb.2493:                             ;   in Loop: Header=BB6_128 Depth=2
	s_or_b64 exec, exec, s[20:21]
                                        ; implicit-def: $vgpr3
.LBB6_2494:                             ;   in Loop: Header=BB6_128 Depth=2
	s_andn2_saveexec_b64 s[20:21], s[78:79]
; %bb.2495:                             ;   in Loop: Header=BB6_128 Depth=2
	v_or_b32_sdwa v23, v3, s51 dst_sel:DWORD dst_unused:UNUSED_PAD src0_sel:BYTE_3 src1_sel:DWORD
; %bb.2496:                             ;   in Loop: Header=BB6_128 Depth=2
	s_or_b64 exec, exec, s[20:21]
	v_lshrrev_b32_e32 v18, 16, v52
	v_cmp_ne_u16_sdwa s[78:79], v18, v53 src0_sel:BYTE_0 src1_sel:DWORD
	v_mov_b32_e32 v0, 0
	v_mov_b32_e32 v3, 0
	s_and_saveexec_b64 s[20:21], s[78:79]
	s_cbranch_execz .LBB6_2502
; %bb.2497:                             ;   in Loop: Header=BB6_128 Depth=2
	v_cmp_ne_u16_sdwa s[88:89], v18, s53 src0_sel:BYTE_0 src1_sel:DWORD
	v_bfrev_b32_e32 v3, 1
	s_and_saveexec_b64 s[78:79], s[88:89]
	s_cbranch_execz .LBB6_2501
; %bb.2498:                             ;   in Loop: Header=BB6_128 Depth=2
	v_bfe_u32 v7, v52, 16, 7
	v_cmp_ne_u32_e32 vcc, s51, v7
	v_mov_b32_e32 v3, 0x7f800001
	s_and_saveexec_b64 s[88:89], vcc
	s_cbranch_execz .LBB6_2500
; %bb.2499:                             ;   in Loop: Header=BB6_128 Depth=2
	v_and_b32_e32 v3, 7, v18
	v_lshrrev_b32_e32 v19, 3, v7
	v_cmp_gt_u32_e32 vcc, 8, v7
	v_ffbh_u32_e32 v7, v3
	v_min_u32_e32 v20, 32, v7
	v_subrev_u32_e32 v7, 28, v20
	v_lshlrev_b64 v[7:8], v7, v[18:19]
	v_sub_u32_e32 v8, 29, v20
	v_and_b32_e32 v7, 7, v7
	v_cndmask_b32_e32 v8, v19, v8, vcc
	v_cndmask_b32_e32 v3, v3, v7, vcc
	v_lshlrev_b32_e32 v7, 24, v18
	v_bfrev_b32_e32 v18, 60
	v_lshlrev_b32_e32 v3, 20, v3
	v_and_b32_e32 v7, 0x80000000, v7
	v_lshl_add_u32 v8, v8, 23, v18
	v_or3_b32 v3, v7, v8, v3
.LBB6_2500:                             ;   in Loop: Header=BB6_128 Depth=2
	s_or_b64 exec, exec, s[88:89]
.LBB6_2501:                             ;   in Loop: Header=BB6_128 Depth=2
	s_or_b64 exec, exec, s[78:79]
.LBB6_2502:                             ;   in Loop: Header=BB6_128 Depth=2
	s_or_b64 exec, exec, s[20:21]
	v_lshrrev_b32_e32 v18, 16, v14
	v_cmp_ne_u16_sdwa s[78:79], v18, v53 src0_sel:BYTE_0 src1_sel:DWORD
	s_and_saveexec_b64 s[20:21], s[78:79]
	s_cbranch_execz .LBB6_2508
; %bb.2503:                             ;   in Loop: Header=BB6_128 Depth=2
	v_cmp_ne_u16_sdwa s[88:89], v18, s53 src0_sel:BYTE_0 src1_sel:DWORD
	v_bfrev_b32_e32 v0, 1
	s_and_saveexec_b64 s[78:79], s[88:89]
	s_cbranch_execz .LBB6_2507
; %bb.2504:                             ;   in Loop: Header=BB6_128 Depth=2
	v_bfe_u32 v7, v14, 16, 7
	v_cmp_ne_u32_e32 vcc, s51, v7
	v_mov_b32_e32 v0, 0x7f800001
	s_and_saveexec_b64 s[88:89], vcc
	s_cbranch_execz .LBB6_2506
; %bb.2505:                             ;   in Loop: Header=BB6_128 Depth=2
	v_and_b32_e32 v0, 7, v18
	v_lshrrev_b32_e32 v19, 3, v7
	v_cmp_gt_u32_e32 vcc, 8, v7
	v_ffbh_u32_e32 v7, v0
	v_min_u32_e32 v20, 32, v7
	v_subrev_u32_e32 v7, 28, v20
	v_lshlrev_b64 v[7:8], v7, v[18:19]
	v_sub_u32_e32 v8, 29, v20
	v_and_b32_e32 v7, 7, v7
	v_cndmask_b32_e32 v8, v19, v8, vcc
	v_cndmask_b32_e32 v0, v0, v7, vcc
	v_lshlrev_b32_e32 v7, 8, v14
	v_bfrev_b32_e32 v18, 60
	v_lshlrev_b32_e32 v0, 20, v0
	v_and_b32_e32 v7, 0x80000000, v7
	v_lshl_add_u32 v8, v8, 23, v18
	v_or3_b32 v0, v7, v8, v0
.LBB6_2506:                             ;   in Loop: Header=BB6_128 Depth=2
	s_or_b64 exec, exec, s[88:89]
.LBB6_2507:                             ;   in Loop: Header=BB6_128 Depth=2
	s_or_b64 exec, exec, s[78:79]
.LBB6_2508:                             ;   in Loop: Header=BB6_128 Depth=2
	s_or_b64 exec, exec, s[20:21]
	v_add_f32_e32 v3, v3, v0
	v_and_b32_e32 v7, 0x7f800000, v3
	v_mov_b32_e32 v8, v53
	v_cmp_ne_u64_e32 vcc, s[56:57], v[7:8]
                                        ; implicit-def: $vgpr38
	s_and_saveexec_b64 s[20:21], vcc
	s_xor_b64 s[78:79], exec, s[20:21]
	s_cbranch_execz .LBB6_2522
; %bb.2509:                             ;   in Loop: Header=BB6_128 Depth=2
	v_and_b32_e32 v7, 0x7fffffff, v3
	v_mov_b32_e32 v8, v53
	v_cmp_gt_u64_e32 vcc, s[58:59], v[7:8]
	v_and_b32_sdwa v0, v3, s53 dst_sel:DWORD dst_unused:UNUSED_PAD src0_sel:BYTE_3 src1_sel:DWORD
                                        ; implicit-def: $vgpr38
	s_and_saveexec_b64 s[20:21], vcc
	s_xor_b64 s[88:89], exec, s[20:21]
	s_cbranch_execz .LBB6_2519
; %bb.2510:                             ;   in Loop: Header=BB6_128 Depth=2
	v_mov_b32_e32 v38, 0
	v_cmp_ne_u32_e32 vcc, 0, v3
	s_and_saveexec_b64 s[90:91], vcc
	s_cbranch_execz .LBB6_2518
; %bb.2511:                             ;   in Loop: Header=BB6_128 Depth=2
	v_and_b32_e32 v8, 0x7fffff, v3
	v_bfe_u32 v3, v3, 23, 8
	v_cmp_gt_u32_e64 s[20:21], s54, v3
	v_sub_u32_e32 v7, 0x79, v3
	v_cmp_eq_u32_e32 vcc, 0, v3
	v_cndmask_b32_e64 v7, 0, v7, s[20:21]
	v_mov_b32_e32 v19, 0x78
	v_or_b32_e32 v18, 0x800000, v8
	v_cndmask_b32_e32 v7, v7, v19, vcc
	v_cndmask_b32_e32 v18, v18, v8, vcc
	v_add_u32_e32 v8, 20, v7
	v_lshlrev_b64 v[27:28], v8, -1
	v_mov_b32_e32 v19, v53
	v_add_u32_e32 v8, 19, v7
	v_bfi_b32 v27, v27, 0, v18
	v_lshlrev_b64 v[30:31], v8, 1
	v_lshrrev_b64 v[18:19], v7, v[18:19]
	v_bfi_b32 v28, v28, 0, 0
	v_cmp_eq_u64_e64 s[20:21], v[27:28], v[30:31]
	v_mov_b32_e32 v20, v19
	v_mov_b32_e32 v19, v18
	s_and_saveexec_b64 s[92:93], s[20:21]
; %bb.2512:                             ;   in Loop: Header=BB6_128 Depth=2
	v_bfe_u32 v8, v18, 20, 1
	v_add_co_u32_e64 v8, s[20:21], v18, v8
	v_add_co_u32_e64 v19, s[20:21], -1, v8
; %bb.2513:                             ;   in Loop: Header=BB6_128 Depth=2
	s_or_b64 exec, exec, s[92:93]
	v_add_u32_e32 v3, 0xffffff81, v3
	v_mov_b32_e32 v8, 0xffffff82
	v_cndmask_b32_e32 v3, v3, v8, vcc
	v_lshrrev_b32_e32 v8, 23, v18
	v_add3_u32 v8, v7, v3, v8
	v_add_u32_e32 v7, 6, v8
	v_and_b32_e32 v3, 0xfffff, v19
	v_add_u32_e32 v18, v3, v18
	v_mov_b32_e32 v19, v53
	v_cmp_ne_u32_e32 vcc, 0, v7
                                        ; implicit-def: $vgpr3
	s_and_saveexec_b64 s[20:21], vcc
	s_xor_b64 s[20:21], exec, s[20:21]
; %bb.2514:                             ;   in Loop: Header=BB6_128 Depth=2
	v_cmp_lt_u64_e32 vcc, s[60:61], v[18:19]
	v_add_u32_e32 v3, 7, v8
	v_cndmask_b32_e32 v3, v7, v3, vcc
	v_cndmask_b32_e64 v7, 0, 1, vcc
	v_lshrrev_b64 v[18:19], v7, v[18:19]
; %bb.2515:                             ;   in Loop: Header=BB6_128 Depth=2
	s_andn2_saveexec_b64 s[20:21], s[20:21]
; %bb.2516:                             ;   in Loop: Header=BB6_128 Depth=2
	v_bfe_u32 v3, v18, 23, 1
; %bb.2517:                             ;   in Loop: Header=BB6_128 Depth=2
	s_or_b64 exec, exec, s[20:21]
	v_lshrrev_b64 v[7:8], 20, v[18:19]
	v_cmp_gt_i32_e32 vcc, 16, v3
	v_cndmask_b32_e32 v8, 0, v8, vcc
	v_cndmask_b32_e32 v7, 7, v7, vcc
	v_cmp_eq_u32_e32 vcc, 0, v3
	v_min_i32_e32 v3, 15, v3
	v_cmp_eq_u64_e64 s[20:21], 0, v[7:8]
	v_lshlrev_b32_e32 v3, 3, v3
	v_and_b32_e32 v3, 0xf8, v3
	v_and_or_b32 v3, v7, 7, v3
	s_and_b64 s[20:21], vcc, s[20:21]
	v_cndmask_b32_e64 v3, v3, 0, s[20:21]
	v_or_b32_e32 v38, v3, v0
.LBB6_2518:                             ;   in Loop: Header=BB6_128 Depth=2
	s_or_b64 exec, exec, s[90:91]
                                        ; implicit-def: $vgpr0
.LBB6_2519:                             ;   in Loop: Header=BB6_128 Depth=2
	s_andn2_saveexec_b64 s[20:21], s[88:89]
; %bb.2520:                             ;   in Loop: Header=BB6_128 Depth=2
	v_or_b32_e32 v38, 0x7e, v0
; %bb.2521:                             ;   in Loop: Header=BB6_128 Depth=2
	s_or_b64 exec, exec, s[20:21]
                                        ; implicit-def: $vgpr3
.LBB6_2522:                             ;   in Loop: Header=BB6_128 Depth=2
	s_andn2_saveexec_b64 s[20:21], s[78:79]
; %bb.2523:                             ;   in Loop: Header=BB6_128 Depth=2
	v_or_b32_sdwa v38, v3, s51 dst_sel:DWORD dst_unused:UNUSED_PAD src0_sel:BYTE_3 src1_sel:DWORD
; %bb.2524:                             ;   in Loop: Header=BB6_128 Depth=2
	s_or_b64 exec, exec, s[20:21]
	v_cmp_lt_u32_e32 vcc, s63, v52
	v_mov_b32_e32 v0, 0
	v_mov_b32_e32 v3, 0
	s_and_saveexec_b64 s[20:21], vcc
	s_cbranch_execz .LBB6_2530
; %bb.2525:                             ;   in Loop: Header=BB6_128 Depth=2
	v_lshrrev_b32_e32 v18, 24, v52
	v_cmp_ne_u32_sdwa s[88:89], v52, s53 src0_sel:BYTE_3 src1_sel:DWORD
	v_bfrev_b32_e32 v3, 1
	s_and_saveexec_b64 s[78:79], s[88:89]
	s_cbranch_execz .LBB6_2529
; %bb.2526:                             ;   in Loop: Header=BB6_128 Depth=2
	v_bfe_u32 v7, v52, 24, 7
	v_cmp_ne_u32_e32 vcc, s51, v7
	v_mov_b32_e32 v3, 0x7f800001
	s_and_saveexec_b64 s[88:89], vcc
	s_cbranch_execz .LBB6_2528
; %bb.2527:                             ;   in Loop: Header=BB6_128 Depth=2
	v_and_b32_e32 v3, 7, v18
	v_lshrrev_b32_e32 v19, 3, v7
	v_cmp_gt_u32_e32 vcc, 8, v7
	v_ffbh_u32_e32 v7, v3
	v_min_u32_e32 v20, 32, v7
	v_subrev_u32_e32 v7, 28, v20
	v_lshlrev_b64 v[7:8], v7, v[18:19]
	v_sub_u32_e32 v8, 29, v20
	v_and_b32_e32 v7, 7, v7
	v_cndmask_b32_e32 v3, v3, v7, vcc
	v_mov_b32_e32 v7, 24
	v_cndmask_b32_e32 v8, v19, v8, vcc
	v_lshlrev_b32_sdwa v7, v7, v52 dst_sel:DWORD dst_unused:UNUSED_PAD src0_sel:DWORD src1_sel:BYTE_3
	v_bfrev_b32_e32 v18, 60
	v_lshlrev_b32_e32 v3, 20, v3
	v_and_b32_e32 v7, 0x80000000, v7
	v_lshl_add_u32 v8, v8, 23, v18
	v_or3_b32 v3, v7, v8, v3
.LBB6_2528:                             ;   in Loop: Header=BB6_128 Depth=2
	s_or_b64 exec, exec, s[88:89]
.LBB6_2529:                             ;   in Loop: Header=BB6_128 Depth=2
	s_or_b64 exec, exec, s[78:79]
.LBB6_2530:                             ;   in Loop: Header=BB6_128 Depth=2
	s_or_b64 exec, exec, s[20:21]
	v_cmp_lt_u32_e32 vcc, s63, v14
	s_and_saveexec_b64 s[20:21], vcc
	s_cbranch_execz .LBB6_2536
; %bb.2531:                             ;   in Loop: Header=BB6_128 Depth=2
	v_lshrrev_b32_e32 v18, 24, v14
	v_cmp_ne_u32_e32 vcc, s53, v18
	v_bfrev_b32_e32 v0, 1
	s_and_saveexec_b64 s[78:79], vcc
	s_cbranch_execz .LBB6_2535
; %bb.2532:                             ;   in Loop: Header=BB6_128 Depth=2
	v_bfe_u32 v7, v14, 24, 7
	v_cmp_ne_u32_e32 vcc, s51, v7
	v_mov_b32_e32 v0, 0x7f800001
	s_and_saveexec_b64 s[88:89], vcc
	s_cbranch_execz .LBB6_2534
; %bb.2533:                             ;   in Loop: Header=BB6_128 Depth=2
	v_and_b32_e32 v0, 7, v18
	v_lshrrev_b32_e32 v19, 3, v7
	v_cmp_gt_u32_e32 vcc, 8, v7
	v_ffbh_u32_e32 v7, v0
	v_min_u32_e32 v20, 32, v7
	v_subrev_u32_e32 v7, 28, v20
	v_lshlrev_b64 v[7:8], v7, v[18:19]
	v_sub_u32_e32 v8, 29, v20
	v_and_b32_e32 v7, 7, v7
	v_cndmask_b32_e32 v8, v19, v8, vcc
	v_cndmask_b32_e32 v0, v0, v7, vcc
	v_lshlrev_b32_e32 v7, 24, v18
	v_bfrev_b32_e32 v18, 60
	v_lshlrev_b32_e32 v0, 20, v0
	v_and_b32_e32 v7, 0x80000000, v7
	v_lshl_add_u32 v8, v8, 23, v18
	v_or3_b32 v0, v7, v8, v0
.LBB6_2534:                             ;   in Loop: Header=BB6_128 Depth=2
	s_or_b64 exec, exec, s[88:89]
.LBB6_2535:                             ;   in Loop: Header=BB6_128 Depth=2
	s_or_b64 exec, exec, s[78:79]
.LBB6_2536:                             ;   in Loop: Header=BB6_128 Depth=2
	s_or_b64 exec, exec, s[20:21]
	v_add_f32_e32 v3, v3, v0
	v_and_b32_e32 v52, 0x7f800000, v3
	v_cmp_ne_u64_e32 vcc, s[56:57], v[52:53]
                                        ; implicit-def: $vgpr39
	s_and_saveexec_b64 s[20:21], vcc
	s_xor_b64 s[78:79], exec, s[20:21]
	s_cbranch_execz .LBB6_2550
; %bb.2537:                             ;   in Loop: Header=BB6_128 Depth=2
	v_and_b32_e32 v52, 0x7fffffff, v3
	v_cmp_gt_u64_e32 vcc, s[58:59], v[52:53]
	v_and_b32_sdwa v0, v3, s53 dst_sel:DWORD dst_unused:UNUSED_PAD src0_sel:BYTE_3 src1_sel:DWORD
                                        ; implicit-def: $vgpr39
	s_and_saveexec_b64 s[20:21], vcc
	s_xor_b64 s[88:89], exec, s[20:21]
	s_cbranch_execz .LBB6_2547
; %bb.2538:                             ;   in Loop: Header=BB6_128 Depth=2
	v_mov_b32_e32 v39, 0
	v_cmp_ne_u32_e32 vcc, 0, v3
	s_and_saveexec_b64 s[90:91], vcc
	s_cbranch_execz .LBB6_2546
; %bb.2539:                             ;   in Loop: Header=BB6_128 Depth=2
	v_and_b32_e32 v8, 0x7fffff, v3
	v_bfe_u32 v3, v3, 23, 8
	v_cmp_gt_u32_e64 s[20:21], s54, v3
	v_sub_u32_e32 v7, 0x79, v3
	v_cmp_eq_u32_e32 vcc, 0, v3
	v_cndmask_b32_e64 v7, 0, v7, s[20:21]
	v_mov_b32_e32 v19, 0x78
	v_or_b32_e32 v18, 0x800000, v8
	v_cndmask_b32_e32 v7, v7, v19, vcc
	v_cndmask_b32_e32 v52, v18, v8, vcc
	v_add_u32_e32 v8, 20, v7
	v_lshlrev_b64 v[18:19], v8, -1
	v_add_u32_e32 v8, 19, v7
	v_lshlrev_b64 v[27:28], v8, 1
	v_bfi_b32 v19, v19, 0, 0
	v_bfi_b32 v18, v18, 0, v52
	v_cmp_eq_u64_e64 s[20:21], v[18:19], v[27:28]
	v_lshrrev_b64 v[18:19], v7, v[52:53]
	v_mov_b32_e32 v20, v19
	v_mov_b32_e32 v19, v18
	s_and_saveexec_b64 s[92:93], s[20:21]
; %bb.2540:                             ;   in Loop: Header=BB6_128 Depth=2
	v_bfe_u32 v8, v18, 20, 1
	v_add_co_u32_e64 v8, s[20:21], v18, v8
	v_add_co_u32_e64 v19, s[20:21], -1, v8
; %bb.2541:                             ;   in Loop: Header=BB6_128 Depth=2
	s_or_b64 exec, exec, s[92:93]
	v_add_u32_e32 v3, 0xffffff81, v3
	v_mov_b32_e32 v8, 0xffffff82
	v_cndmask_b32_e32 v3, v3, v8, vcc
	v_lshrrev_b32_e32 v8, 23, v18
	v_add3_u32 v8, v7, v3, v8
	v_add_u32_e32 v7, 6, v8
	v_and_b32_e32 v3, 0xfffff, v19
	v_add_u32_e32 v52, v3, v18
	v_cmp_ne_u32_e32 vcc, 0, v7
                                        ; implicit-def: $vgpr18_vgpr19
                                        ; implicit-def: $vgpr3
	s_and_saveexec_b64 s[20:21], vcc
	s_xor_b64 s[20:21], exec, s[20:21]
; %bb.2542:                             ;   in Loop: Header=BB6_128 Depth=2
	v_cmp_lt_u64_e32 vcc, s[60:61], v[52:53]
	v_add_u32_e32 v3, 7, v8
	v_cndmask_b32_e32 v3, v7, v3, vcc
	v_cndmask_b32_e64 v7, 0, 1, vcc
	v_lshrrev_b64 v[18:19], v7, v[52:53]
; %bb.2543:                             ;   in Loop: Header=BB6_128 Depth=2
	s_andn2_saveexec_b64 s[20:21], s[20:21]
; %bb.2544:                             ;   in Loop: Header=BB6_128 Depth=2
	v_mov_b32_e32 v18, v52
	v_bfe_u32 v3, v52, 23, 1
	v_mov_b32_e32 v19, v53
; %bb.2545:                             ;   in Loop: Header=BB6_128 Depth=2
	s_or_b64 exec, exec, s[20:21]
	v_lshrrev_b64 v[7:8], 20, v[18:19]
	v_cmp_gt_i32_e32 vcc, 16, v3
	v_cndmask_b32_e32 v8, 0, v8, vcc
	v_cndmask_b32_e32 v7, 7, v7, vcc
	v_cmp_eq_u32_e32 vcc, 0, v3
	v_min_i32_e32 v3, 15, v3
	v_cmp_eq_u64_e64 s[20:21], 0, v[7:8]
	v_lshlrev_b32_e32 v3, 3, v3
	v_and_b32_e32 v3, 0xf8, v3
	v_and_or_b32 v3, v7, 7, v3
	s_and_b64 s[20:21], vcc, s[20:21]
	v_cndmask_b32_e64 v3, v3, 0, s[20:21]
	v_or_b32_e32 v39, v3, v0
.LBB6_2546:                             ;   in Loop: Header=BB6_128 Depth=2
	s_or_b64 exec, exec, s[90:91]
                                        ; implicit-def: $vgpr0
.LBB6_2547:                             ;   in Loop: Header=BB6_128 Depth=2
	s_andn2_saveexec_b64 s[20:21], s[88:89]
; %bb.2548:                             ;   in Loop: Header=BB6_128 Depth=2
	v_or_b32_e32 v39, 0x7e, v0
; %bb.2549:                             ;   in Loop: Header=BB6_128 Depth=2
	s_or_b64 exec, exec, s[20:21]
                                        ; implicit-def: $vgpr3
.LBB6_2550:                             ;   in Loop: Header=BB6_128 Depth=2
	s_andn2_saveexec_b64 s[20:21], s[78:79]
; %bb.2551:                             ;   in Loop: Header=BB6_128 Depth=2
	v_or_b32_sdwa v39, v3, s51 dst_sel:DWORD dst_unused:UNUSED_PAD src0_sel:BYTE_3 src1_sel:DWORD
; %bb.2552:                             ;   in Loop: Header=BB6_128 Depth=2
	s_or_b64 exec, exec, s[20:21]
	buffer_load_dword v0, off, s[0:3], s33 offset:200 ; 4-byte Folded Reload
	buffer_load_dword v3, off, s[0:3], s33 offset:220 ; 4-byte Folded Reload
	;; [unrolled: 1-line block ×3, first 2 shown]
	v_cmp_ne_u32_e32 vcc, 0, v51
	s_waitcnt vmcnt(2)
	v_lshl_or_b32 v0, v0, 8, v51
	s_waitcnt vmcnt(1)
	v_lshlrev_b32_e32 v3, 16, v3
	s_waitcnt vmcnt(0)
	v_lshlrev_b32_e32 v7, 24, v7
	v_or3_b32 v52, v3, v7, v0
	v_mov_b32_e32 v7, 0
	v_mov_b32_e32 v3, 0
	s_and_saveexec_b64 s[20:21], vcc
	s_cbranch_execz .LBB6_2558
; %bb.2553:                             ;   in Loop: Header=BB6_128 Depth=2
	v_cmp_ne_u32_e32 vcc, s53, v51
	v_bfrev_b32_e32 v3, 1
	s_and_saveexec_b64 s[78:79], vcc
	s_cbranch_execz .LBB6_2557
; %bb.2554:                             ;   in Loop: Header=BB6_128 Depth=2
	v_and_b32_e32 v8, 0x7f, v51
	v_cmp_ne_u32_e32 vcc, s51, v8
	v_mov_b32_e32 v3, 0x7f800001
	s_and_saveexec_b64 s[88:89], vcc
	s_cbranch_execz .LBB6_2556
; %bb.2555:                             ;   in Loop: Header=BB6_128 Depth=2
	v_and_b32_e32 v3, 7, v51
	v_ffbh_u32_e32 v3, v3
	v_min_u32_e32 v3, 32, v3
	v_lshrrev_b32_e32 v18, 3, v8
	v_cmp_gt_u32_e32 vcc, 8, v8
	v_subrev_u32_e32 v8, 28, v3
	v_sub_u32_e32 v3, 29, v3
	v_cndmask_b32_e32 v8, 0, v8, vcc
	v_cndmask_b32_e32 v3, v18, v3, vcc
	v_lshlrev_b64 v[18:19], v8, v[52:53]
	v_bfrev_b32_e32 v19, 60
	v_lshlrev_b32_e32 v8, 20, v18
	v_lshlrev_b32_e32 v18, 24, v52
	v_and_b32_e32 v8, 0x700000, v8
	v_and_b32_e32 v18, 0x80000000, v18
	v_lshl_add_u32 v3, v3, 23, v19
	v_or3_b32 v3, v18, v3, v8
.LBB6_2556:                             ;   in Loop: Header=BB6_128 Depth=2
	s_or_b64 exec, exec, s[88:89]
.LBB6_2557:                             ;   in Loop: Header=BB6_128 Depth=2
	s_or_b64 exec, exec, s[78:79]
.LBB6_2558:                             ;   in Loop: Header=BB6_128 Depth=2
	s_or_b64 exec, exec, s[20:21]
	v_cmp_ne_u16_sdwa s[78:79], v15, v53 src0_sel:BYTE_0 src1_sel:DWORD
	s_and_saveexec_b64 s[20:21], s[78:79]
	s_cbranch_execz .LBB6_2564
; %bb.2559:                             ;   in Loop: Header=BB6_128 Depth=2
	v_cmp_ne_u16_sdwa s[88:89], v15, s53 src0_sel:BYTE_0 src1_sel:DWORD
	v_bfrev_b32_e32 v7, 1
	s_and_saveexec_b64 s[78:79], s[88:89]
	s_cbranch_execz .LBB6_2563
; %bb.2560:                             ;   in Loop: Header=BB6_128 Depth=2
	v_and_b32_e32 v8, 0x7f, v15
	v_cmp_ne_u32_e32 vcc, s51, v8
	v_mov_b32_e32 v7, 0x7f800001
	s_and_saveexec_b64 s[88:89], vcc
	s_cbranch_execz .LBB6_2562
; %bb.2561:                             ;   in Loop: Header=BB6_128 Depth=2
	v_and_b32_e32 v7, 7, v15
	v_ffbh_u32_e32 v7, v7
	v_min_u32_e32 v7, 32, v7
	v_lshrrev_b32_e32 v20, 3, v8
	v_cmp_gt_u32_e32 vcc, 8, v8
	v_subrev_u32_e32 v8, 28, v7
	v_sub_u32_e32 v7, 29, v7
	v_mov_b32_e32 v18, v15
	v_mov_b32_e32 v19, v53
	v_cndmask_b32_e32 v20, v20, v7, vcc
	v_cndmask_b32_e32 v7, 0, v8, vcc
	v_lshlrev_b64 v[7:8], v7, v[18:19]
	v_lshlrev_b32_e32 v8, 24, v18
	v_lshlrev_b32_e32 v7, 20, v7
	v_bfrev_b32_e32 v18, 60
	v_and_b32_e32 v7, 0x700000, v7
	v_and_b32_e32 v8, 0x80000000, v8
	v_lshl_add_u32 v18, v20, 23, v18
	v_or3_b32 v7, v8, v18, v7
.LBB6_2562:                             ;   in Loop: Header=BB6_128 Depth=2
	s_or_b64 exec, exec, s[88:89]
.LBB6_2563:                             ;   in Loop: Header=BB6_128 Depth=2
	s_or_b64 exec, exec, s[78:79]
.LBB6_2564:                             ;   in Loop: Header=BB6_128 Depth=2
	s_or_b64 exec, exec, s[20:21]
	v_add_f32_e32 v7, v3, v7
	v_and_b32_e32 v18, 0x7f800000, v7
	v_mov_b32_e32 v19, v53
	v_cmp_ne_u64_e32 vcc, s[56:57], v[18:19]
                                        ; implicit-def: $vgpr51
	s_and_saveexec_b64 s[20:21], vcc
	s_xor_b64 s[78:79], exec, s[20:21]
	s_cbranch_execz .LBB6_2578
; %bb.2565:                             ;   in Loop: Header=BB6_128 Depth=2
	v_and_b32_e32 v18, 0x7fffffff, v7
	v_mov_b32_e32 v19, v53
	v_cmp_gt_u64_e32 vcc, s[58:59], v[18:19]
	v_and_b32_sdwa v3, v7, s53 dst_sel:DWORD dst_unused:UNUSED_PAD src0_sel:BYTE_3 src1_sel:DWORD
                                        ; implicit-def: $vgpr51
	s_and_saveexec_b64 s[20:21], vcc
	s_xor_b64 s[88:89], exec, s[20:21]
	s_cbranch_execz .LBB6_2575
; %bb.2566:                             ;   in Loop: Header=BB6_128 Depth=2
	v_mov_b32_e32 v51, 0
	v_cmp_ne_u32_e32 vcc, 0, v7
	s_and_saveexec_b64 s[90:91], vcc
	s_cbranch_execz .LBB6_2574
; %bb.2567:                             ;   in Loop: Header=BB6_128 Depth=2
	v_and_b32_e32 v18, 0x7fffff, v7
	v_bfe_u32 v7, v7, 23, 8
	v_cmp_gt_u32_e64 s[20:21], s54, v7
	v_sub_u32_e32 v8, 0x79, v7
	v_cmp_eq_u32_e32 vcc, 0, v7
	v_cndmask_b32_e64 v8, 0, v8, s[20:21]
	v_mov_b32_e32 v20, 0x78
	v_cndmask_b32_e32 v8, v8, v20, vcc
	v_add_u32_e32 v20, 20, v8
	v_or_b32_e32 v19, 0x800000, v18
	v_lshlrev_b64 v[27:28], v20, -1
	v_cndmask_b32_e32 v18, v19, v18, vcc
	v_mov_b32_e32 v19, v53
	v_add_u32_e32 v20, 19, v8
	v_bfi_b32 v27, v27, 0, v18
	v_lshlrev_b64 v[30:31], v20, 1
	v_lshrrev_b64 v[18:19], v8, v[18:19]
	v_bfi_b32 v28, v28, 0, 0
	v_cmp_eq_u64_e64 s[20:21], v[27:28], v[30:31]
	v_mov_b32_e32 v20, v19
	v_mov_b32_e32 v19, v18
	s_and_saveexec_b64 s[92:93], s[20:21]
; %bb.2568:                             ;   in Loop: Header=BB6_128 Depth=2
	v_bfe_u32 v19, v18, 20, 1
	v_add_co_u32_e64 v19, s[20:21], v18, v19
	v_add_co_u32_e64 v19, s[20:21], -1, v19
; %bb.2569:                             ;   in Loop: Header=BB6_128 Depth=2
	s_or_b64 exec, exec, s[92:93]
	v_add_u32_e32 v7, 0xffffff81, v7
	v_mov_b32_e32 v20, 0xffffff82
	v_cndmask_b32_e32 v7, v7, v20, vcc
	v_lshrrev_b32_e32 v20, 23, v18
	v_add3_u32 v20, v8, v7, v20
	v_add_u32_e32 v8, 6, v20
	v_and_b32_e32 v7, 0xfffff, v19
	v_add_u32_e32 v18, v7, v18
	v_mov_b32_e32 v19, v53
	v_cmp_ne_u32_e32 vcc, 0, v8
                                        ; implicit-def: $vgpr7
	s_and_saveexec_b64 s[20:21], vcc
	s_xor_b64 s[20:21], exec, s[20:21]
; %bb.2570:                             ;   in Loop: Header=BB6_128 Depth=2
	v_cmp_lt_u64_e32 vcc, s[60:61], v[18:19]
	v_add_u32_e32 v7, 7, v20
	v_cndmask_b32_e32 v7, v8, v7, vcc
	v_cndmask_b32_e64 v8, 0, 1, vcc
	v_lshrrev_b64 v[18:19], v8, v[18:19]
; %bb.2571:                             ;   in Loop: Header=BB6_128 Depth=2
	s_andn2_saveexec_b64 s[20:21], s[20:21]
; %bb.2572:                             ;   in Loop: Header=BB6_128 Depth=2
	v_bfe_u32 v7, v18, 23, 1
; %bb.2573:                             ;   in Loop: Header=BB6_128 Depth=2
	s_or_b64 exec, exec, s[20:21]
	v_lshrrev_b64 v[18:19], 20, v[18:19]
	v_cmp_gt_i32_e32 vcc, 16, v7
	v_cndmask_b32_e32 v19, 0, v19, vcc
	v_cndmask_b32_e32 v18, 7, v18, vcc
	v_cmp_eq_u32_e32 vcc, 0, v7
	v_min_i32_e32 v7, 15, v7
	v_cmp_eq_u64_e64 s[20:21], 0, v[18:19]
	v_lshlrev_b32_e32 v7, 3, v7
	v_and_b32_e32 v7, 0xf8, v7
	v_and_or_b32 v7, v18, 7, v7
	s_and_b64 s[20:21], vcc, s[20:21]
	v_cndmask_b32_e64 v7, v7, 0, s[20:21]
	v_or_b32_e32 v51, v7, v3
.LBB6_2574:                             ;   in Loop: Header=BB6_128 Depth=2
	s_or_b64 exec, exec, s[90:91]
                                        ; implicit-def: $vgpr3
.LBB6_2575:                             ;   in Loop: Header=BB6_128 Depth=2
	s_andn2_saveexec_b64 s[20:21], s[88:89]
; %bb.2576:                             ;   in Loop: Header=BB6_128 Depth=2
	v_or_b32_e32 v51, 0x7e, v3
; %bb.2577:                             ;   in Loop: Header=BB6_128 Depth=2
	s_or_b64 exec, exec, s[20:21]
                                        ; implicit-def: $vgpr7
.LBB6_2578:                             ;   in Loop: Header=BB6_128 Depth=2
	s_andn2_saveexec_b64 s[20:21], s[78:79]
; %bb.2579:                             ;   in Loop: Header=BB6_128 Depth=2
	v_or_b32_sdwa v51, v7, s51 dst_sel:DWORD dst_unused:UNUSED_PAD src0_sel:BYTE_3 src1_sel:DWORD
; %bb.2580:                             ;   in Loop: Header=BB6_128 Depth=2
	s_or_b64 exec, exec, s[20:21]
	v_lshrrev_b16_e32 v18, 8, v0
	v_cmp_ne_u16_e32 vcc, 0, v18
	v_mov_b32_e32 v3, 0
	v_mov_b32_e32 v7, 0
	s_and_saveexec_b64 s[20:21], vcc
	s_cbranch_execz .LBB6_2586
; %bb.2581:                             ;   in Loop: Header=BB6_128 Depth=2
	v_cmp_ne_u16_e32 vcc, s53, v18
	v_bfrev_b32_e32 v7, 1
	s_and_saveexec_b64 s[78:79], vcc
	s_cbranch_execz .LBB6_2585
; %bb.2582:                             ;   in Loop: Header=BB6_128 Depth=2
	v_and_b32_e32 v8, 0x7f, v18
	v_cmp_ne_u32_e32 vcc, s51, v8
	v_mov_b32_e32 v7, 0x7f800001
	s_and_saveexec_b64 s[88:89], vcc
	s_cbranch_execz .LBB6_2584
; %bb.2583:                             ;   in Loop: Header=BB6_128 Depth=2
	v_and_b32_e32 v19, 7, v18
	v_ffbh_u32_e32 v7, v19
	v_min_u32_e32 v25, 32, v7
	v_subrev_u32_e32 v7, 28, v25
	v_lshrrev_b32_e32 v20, 3, v8
	v_cmp_gt_u32_e32 vcc, 8, v8
	v_lshlrev_b64 v[7:8], v7, v[18:19]
	v_sub_u32_e32 v8, 29, v25
	v_and_b32_e32 v7, 7, v7
	v_cndmask_b32_e32 v8, v20, v8, vcc
	v_cndmask_b32_e32 v7, v19, v7, vcc
	v_lshlrev_b32_e32 v0, 16, v0
	v_bfrev_b32_e32 v18, 60
	v_lshlrev_b32_e32 v7, 20, v7
	v_and_b32_e32 v0, 0x80000000, v0
	v_lshl_add_u32 v8, v8, 23, v18
	v_or3_b32 v7, v0, v8, v7
.LBB6_2584:                             ;   in Loop: Header=BB6_128 Depth=2
	s_or_b64 exec, exec, s[88:89]
.LBB6_2585:                             ;   in Loop: Header=BB6_128 Depth=2
	s_or_b64 exec, exec, s[78:79]
.LBB6_2586:                             ;   in Loop: Header=BB6_128 Depth=2
	s_or_b64 exec, exec, s[20:21]
	v_lshrrev_b16_e32 v18, 8, v15
	v_cmp_ne_u16_e32 vcc, 0, v18
	s_and_saveexec_b64 s[20:21], vcc
	s_cbranch_execz .LBB6_2592
; %bb.2587:                             ;   in Loop: Header=BB6_128 Depth=2
	v_cmp_ne_u16_e32 vcc, s53, v18
	v_bfrev_b32_e32 v3, 1
	s_and_saveexec_b64 s[78:79], vcc
	s_cbranch_execz .LBB6_2591
; %bb.2588:                             ;   in Loop: Header=BB6_128 Depth=2
	v_and_b32_e32 v0, 0x7f, v18
	v_cmp_ne_u32_e32 vcc, s51, v0
	v_mov_b32_e32 v3, 0x7f800001
	s_and_saveexec_b64 s[88:89], vcc
	s_cbranch_execz .LBB6_2590
; %bb.2589:                             ;   in Loop: Header=BB6_128 Depth=2
	v_and_b32_e32 v3, 7, v18
	v_lshrrev_b32_e32 v8, 3, v0
	v_cmp_gt_u32_e32 vcc, 8, v0
	v_ffbh_u32_e32 v0, v3
	v_min_u32_e32 v0, 32, v0
	v_subrev_u32_e32 v19, 28, v0
	v_lshlrev_b64 v[18:19], v19, v[18:19]
	v_sub_u32_e32 v0, 29, v0
	v_and_b32_e32 v18, 7, v18
	v_cndmask_b32_e32 v0, v8, v0, vcc
	v_cndmask_b32_e32 v3, v3, v18, vcc
	v_lshlrev_b32_e32 v8, 16, v15
	v_bfrev_b32_e32 v18, 60
	v_lshlrev_b32_e32 v3, 20, v3
	v_and_b32_e32 v8, 0x80000000, v8
	v_lshl_add_u32 v0, v0, 23, v18
	v_or3_b32 v3, v8, v0, v3
.LBB6_2590:                             ;   in Loop: Header=BB6_128 Depth=2
	s_or_b64 exec, exec, s[88:89]
.LBB6_2591:                             ;   in Loop: Header=BB6_128 Depth=2
	s_or_b64 exec, exec, s[78:79]
.LBB6_2592:                             ;   in Loop: Header=BB6_128 Depth=2
	s_or_b64 exec, exec, s[20:21]
	v_add_f32_e32 v3, v7, v3
	v_and_b32_e32 v7, 0x7f800000, v3
	v_mov_b32_e32 v8, v53
	v_cmp_ne_u64_e32 vcc, s[56:57], v[7:8]
                                        ; implicit-def: $vgpr45
	s_and_saveexec_b64 s[20:21], vcc
	s_xor_b64 s[78:79], exec, s[20:21]
	s_cbranch_execz .LBB6_2606
; %bb.2593:                             ;   in Loop: Header=BB6_128 Depth=2
	v_and_b32_e32 v7, 0x7fffffff, v3
	v_mov_b32_e32 v8, v53
	v_cmp_gt_u64_e32 vcc, s[58:59], v[7:8]
	v_and_b32_sdwa v0, v3, s53 dst_sel:DWORD dst_unused:UNUSED_PAD src0_sel:BYTE_3 src1_sel:DWORD
                                        ; implicit-def: $vgpr45
	s_and_saveexec_b64 s[20:21], vcc
	s_xor_b64 s[88:89], exec, s[20:21]
	s_cbranch_execz .LBB6_2603
; %bb.2594:                             ;   in Loop: Header=BB6_128 Depth=2
	v_mov_b32_e32 v45, 0
	v_cmp_ne_u32_e32 vcc, 0, v3
	s_and_saveexec_b64 s[90:91], vcc
	s_cbranch_execz .LBB6_2602
; %bb.2595:                             ;   in Loop: Header=BB6_128 Depth=2
	v_and_b32_e32 v8, 0x7fffff, v3
	v_bfe_u32 v3, v3, 23, 8
	v_cmp_gt_u32_e64 s[20:21], s54, v3
	v_sub_u32_e32 v7, 0x79, v3
	v_cmp_eq_u32_e32 vcc, 0, v3
	v_cndmask_b32_e64 v7, 0, v7, s[20:21]
	v_mov_b32_e32 v19, 0x78
	v_or_b32_e32 v18, 0x800000, v8
	v_cndmask_b32_e32 v7, v7, v19, vcc
	v_cndmask_b32_e32 v18, v18, v8, vcc
	v_add_u32_e32 v8, 20, v7
	v_lshlrev_b64 v[27:28], v8, -1
	v_mov_b32_e32 v19, v53
	v_add_u32_e32 v8, 19, v7
	v_bfi_b32 v27, v27, 0, v18
	v_lshlrev_b64 v[30:31], v8, 1
	v_lshrrev_b64 v[18:19], v7, v[18:19]
	v_bfi_b32 v28, v28, 0, 0
	v_cmp_eq_u64_e64 s[20:21], v[27:28], v[30:31]
	v_mov_b32_e32 v20, v19
	v_mov_b32_e32 v19, v18
	s_and_saveexec_b64 s[92:93], s[20:21]
; %bb.2596:                             ;   in Loop: Header=BB6_128 Depth=2
	v_bfe_u32 v8, v18, 20, 1
	v_add_co_u32_e64 v8, s[20:21], v18, v8
	v_add_co_u32_e64 v19, s[20:21], -1, v8
; %bb.2597:                             ;   in Loop: Header=BB6_128 Depth=2
	s_or_b64 exec, exec, s[92:93]
	v_add_u32_e32 v3, 0xffffff81, v3
	v_mov_b32_e32 v8, 0xffffff82
	v_cndmask_b32_e32 v3, v3, v8, vcc
	v_lshrrev_b32_e32 v8, 23, v18
	v_add3_u32 v8, v7, v3, v8
	v_add_u32_e32 v7, 6, v8
	v_and_b32_e32 v3, 0xfffff, v19
	v_add_u32_e32 v18, v3, v18
	v_mov_b32_e32 v19, v53
	v_cmp_ne_u32_e32 vcc, 0, v7
                                        ; implicit-def: $vgpr3
	s_and_saveexec_b64 s[20:21], vcc
	s_xor_b64 s[20:21], exec, s[20:21]
; %bb.2598:                             ;   in Loop: Header=BB6_128 Depth=2
	v_cmp_lt_u64_e32 vcc, s[60:61], v[18:19]
	v_add_u32_e32 v3, 7, v8
	v_cndmask_b32_e32 v3, v7, v3, vcc
	v_cndmask_b32_e64 v7, 0, 1, vcc
	v_lshrrev_b64 v[18:19], v7, v[18:19]
; %bb.2599:                             ;   in Loop: Header=BB6_128 Depth=2
	s_andn2_saveexec_b64 s[20:21], s[20:21]
; %bb.2600:                             ;   in Loop: Header=BB6_128 Depth=2
	v_bfe_u32 v3, v18, 23, 1
; %bb.2601:                             ;   in Loop: Header=BB6_128 Depth=2
	s_or_b64 exec, exec, s[20:21]
	v_lshrrev_b64 v[7:8], 20, v[18:19]
	v_cmp_gt_i32_e32 vcc, 16, v3
	v_cndmask_b32_e32 v8, 0, v8, vcc
	v_cndmask_b32_e32 v7, 7, v7, vcc
	v_cmp_eq_u32_e32 vcc, 0, v3
	v_min_i32_e32 v3, 15, v3
	v_cmp_eq_u64_e64 s[20:21], 0, v[7:8]
	v_lshlrev_b32_e32 v3, 3, v3
	v_and_b32_e32 v3, 0xf8, v3
	v_and_or_b32 v3, v7, 7, v3
	s_and_b64 s[20:21], vcc, s[20:21]
	v_cndmask_b32_e64 v3, v3, 0, s[20:21]
	v_or_b32_e32 v45, v3, v0
.LBB6_2602:                             ;   in Loop: Header=BB6_128 Depth=2
	s_or_b64 exec, exec, s[90:91]
                                        ; implicit-def: $vgpr0
.LBB6_2603:                             ;   in Loop: Header=BB6_128 Depth=2
	s_andn2_saveexec_b64 s[20:21], s[88:89]
; %bb.2604:                             ;   in Loop: Header=BB6_128 Depth=2
	v_or_b32_e32 v45, 0x7e, v0
; %bb.2605:                             ;   in Loop: Header=BB6_128 Depth=2
	s_or_b64 exec, exec, s[20:21]
                                        ; implicit-def: $vgpr3
.LBB6_2606:                             ;   in Loop: Header=BB6_128 Depth=2
	s_andn2_saveexec_b64 s[20:21], s[78:79]
; %bb.2607:                             ;   in Loop: Header=BB6_128 Depth=2
	v_or_b32_sdwa v45, v3, s51 dst_sel:DWORD dst_unused:UNUSED_PAD src0_sel:BYTE_3 src1_sel:DWORD
; %bb.2608:                             ;   in Loop: Header=BB6_128 Depth=2
	s_or_b64 exec, exec, s[20:21]
	v_lshrrev_b32_e32 v18, 16, v52
	v_cmp_ne_u16_sdwa s[78:79], v18, v53 src0_sel:BYTE_0 src1_sel:DWORD
	v_mov_b32_e32 v0, 0
	v_mov_b32_e32 v3, 0
	s_and_saveexec_b64 s[20:21], s[78:79]
	s_cbranch_execz .LBB6_2614
; %bb.2609:                             ;   in Loop: Header=BB6_128 Depth=2
	v_cmp_ne_u16_sdwa s[88:89], v18, s53 src0_sel:BYTE_0 src1_sel:DWORD
	v_bfrev_b32_e32 v3, 1
	s_and_saveexec_b64 s[78:79], s[88:89]
	s_cbranch_execz .LBB6_2613
; %bb.2610:                             ;   in Loop: Header=BB6_128 Depth=2
	v_bfe_u32 v7, v52, 16, 7
	v_cmp_ne_u32_e32 vcc, s51, v7
	v_mov_b32_e32 v3, 0x7f800001
	s_and_saveexec_b64 s[88:89], vcc
	s_cbranch_execz .LBB6_2612
; %bb.2611:                             ;   in Loop: Header=BB6_128 Depth=2
	v_and_b32_e32 v3, 7, v18
	v_lshrrev_b32_e32 v19, 3, v7
	v_cmp_gt_u32_e32 vcc, 8, v7
	v_ffbh_u32_e32 v7, v3
	v_min_u32_e32 v20, 32, v7
	v_subrev_u32_e32 v7, 28, v20
	v_lshlrev_b64 v[7:8], v7, v[18:19]
	v_sub_u32_e32 v8, 29, v20
	v_and_b32_e32 v7, 7, v7
	v_cndmask_b32_e32 v8, v19, v8, vcc
	v_cndmask_b32_e32 v3, v3, v7, vcc
	v_lshlrev_b32_e32 v7, 24, v18
	v_bfrev_b32_e32 v18, 60
	v_lshlrev_b32_e32 v3, 20, v3
	v_and_b32_e32 v7, 0x80000000, v7
	v_lshl_add_u32 v8, v8, 23, v18
	v_or3_b32 v3, v7, v8, v3
.LBB6_2612:                             ;   in Loop: Header=BB6_128 Depth=2
	s_or_b64 exec, exec, s[88:89]
.LBB6_2613:                             ;   in Loop: Header=BB6_128 Depth=2
	s_or_b64 exec, exec, s[78:79]
.LBB6_2614:                             ;   in Loop: Header=BB6_128 Depth=2
	s_or_b64 exec, exec, s[20:21]
	v_lshrrev_b32_e32 v18, 16, v15
	v_cmp_ne_u16_sdwa s[78:79], v18, v53 src0_sel:BYTE_0 src1_sel:DWORD
	s_and_saveexec_b64 s[20:21], s[78:79]
	s_cbranch_execz .LBB6_2620
; %bb.2615:                             ;   in Loop: Header=BB6_128 Depth=2
	v_cmp_ne_u16_sdwa s[88:89], v18, s53 src0_sel:BYTE_0 src1_sel:DWORD
	v_bfrev_b32_e32 v0, 1
	s_and_saveexec_b64 s[78:79], s[88:89]
	s_cbranch_execz .LBB6_2619
; %bb.2616:                             ;   in Loop: Header=BB6_128 Depth=2
	v_bfe_u32 v7, v15, 16, 7
	v_cmp_ne_u32_e32 vcc, s51, v7
	v_mov_b32_e32 v0, 0x7f800001
	s_and_saveexec_b64 s[88:89], vcc
	s_cbranch_execz .LBB6_2618
; %bb.2617:                             ;   in Loop: Header=BB6_128 Depth=2
	v_and_b32_e32 v0, 7, v18
	v_lshrrev_b32_e32 v19, 3, v7
	v_cmp_gt_u32_e32 vcc, 8, v7
	v_ffbh_u32_e32 v7, v0
	v_min_u32_e32 v20, 32, v7
	v_subrev_u32_e32 v7, 28, v20
	v_lshlrev_b64 v[7:8], v7, v[18:19]
	v_sub_u32_e32 v8, 29, v20
	v_and_b32_e32 v7, 7, v7
	v_cndmask_b32_e32 v8, v19, v8, vcc
	v_cndmask_b32_e32 v0, v0, v7, vcc
	v_lshlrev_b32_e32 v7, 8, v15
	v_bfrev_b32_e32 v18, 60
	v_lshlrev_b32_e32 v0, 20, v0
	v_and_b32_e32 v7, 0x80000000, v7
	v_lshl_add_u32 v8, v8, 23, v18
	v_or3_b32 v0, v7, v8, v0
.LBB6_2618:                             ;   in Loop: Header=BB6_128 Depth=2
	s_or_b64 exec, exec, s[88:89]
.LBB6_2619:                             ;   in Loop: Header=BB6_128 Depth=2
	s_or_b64 exec, exec, s[78:79]
.LBB6_2620:                             ;   in Loop: Header=BB6_128 Depth=2
	s_or_b64 exec, exec, s[20:21]
	v_add_f32_e32 v3, v3, v0
	v_and_b32_e32 v7, 0x7f800000, v3
	v_mov_b32_e32 v8, v53
	v_cmp_ne_u64_e32 vcc, s[56:57], v[7:8]
                                        ; implicit-def: $vgpr20
	s_and_saveexec_b64 s[20:21], vcc
	s_xor_b64 s[78:79], exec, s[20:21]
	s_cbranch_execz .LBB6_2634
; %bb.2621:                             ;   in Loop: Header=BB6_128 Depth=2
	v_and_b32_e32 v7, 0x7fffffff, v3
	v_mov_b32_e32 v8, v53
	v_cmp_gt_u64_e32 vcc, s[58:59], v[7:8]
	v_and_b32_sdwa v0, v3, s53 dst_sel:DWORD dst_unused:UNUSED_PAD src0_sel:BYTE_3 src1_sel:DWORD
                                        ; implicit-def: $vgpr20
	s_and_saveexec_b64 s[20:21], vcc
	s_xor_b64 s[88:89], exec, s[20:21]
	s_cbranch_execz .LBB6_2631
; %bb.2622:                             ;   in Loop: Header=BB6_128 Depth=2
	v_mov_b32_e32 v20, 0
	v_cmp_ne_u32_e32 vcc, 0, v3
	s_and_saveexec_b64 s[90:91], vcc
	s_cbranch_execz .LBB6_2630
; %bb.2623:                             ;   in Loop: Header=BB6_128 Depth=2
	v_and_b32_e32 v8, 0x7fffff, v3
	v_bfe_u32 v3, v3, 23, 8
	v_cmp_gt_u32_e64 s[20:21], s54, v3
	v_sub_u32_e32 v7, 0x79, v3
	v_cmp_eq_u32_e32 vcc, 0, v3
	v_cndmask_b32_e64 v7, 0, v7, s[20:21]
	v_mov_b32_e32 v19, 0x78
	v_or_b32_e32 v18, 0x800000, v8
	v_cndmask_b32_e32 v7, v7, v19, vcc
	v_cndmask_b32_e32 v18, v18, v8, vcc
	v_add_u32_e32 v8, 20, v7
	v_lshlrev_b64 v[27:28], v8, -1
	v_mov_b32_e32 v19, v53
	v_add_u32_e32 v8, 19, v7
	v_bfi_b32 v27, v27, 0, v18
	v_lshlrev_b64 v[30:31], v8, 1
	v_lshrrev_b64 v[18:19], v7, v[18:19]
	v_bfi_b32 v28, v28, 0, 0
	v_cmp_eq_u64_e64 s[20:21], v[27:28], v[30:31]
	v_mov_b32_e32 v20, v19
	v_mov_b32_e32 v19, v18
	s_and_saveexec_b64 s[92:93], s[20:21]
; %bb.2624:                             ;   in Loop: Header=BB6_128 Depth=2
	v_bfe_u32 v8, v18, 20, 1
	v_add_co_u32_e64 v8, s[20:21], v18, v8
	v_add_co_u32_e64 v19, s[20:21], -1, v8
; %bb.2625:                             ;   in Loop: Header=BB6_128 Depth=2
	s_or_b64 exec, exec, s[92:93]
	v_add_u32_e32 v3, 0xffffff81, v3
	v_mov_b32_e32 v8, 0xffffff82
	v_cndmask_b32_e32 v3, v3, v8, vcc
	v_lshrrev_b32_e32 v8, 23, v18
	v_add3_u32 v8, v7, v3, v8
	v_add_u32_e32 v7, 6, v8
	v_and_b32_e32 v3, 0xfffff, v19
	v_add_u32_e32 v18, v3, v18
	v_mov_b32_e32 v19, v53
	v_cmp_ne_u32_e32 vcc, 0, v7
                                        ; implicit-def: $vgpr3
	s_and_saveexec_b64 s[20:21], vcc
	s_xor_b64 s[20:21], exec, s[20:21]
; %bb.2626:                             ;   in Loop: Header=BB6_128 Depth=2
	v_cmp_lt_u64_e32 vcc, s[60:61], v[18:19]
	v_add_u32_e32 v3, 7, v8
	v_cndmask_b32_e32 v3, v7, v3, vcc
	v_cndmask_b32_e64 v7, 0, 1, vcc
	v_lshrrev_b64 v[18:19], v7, v[18:19]
; %bb.2627:                             ;   in Loop: Header=BB6_128 Depth=2
	s_andn2_saveexec_b64 s[20:21], s[20:21]
; %bb.2628:                             ;   in Loop: Header=BB6_128 Depth=2
	v_bfe_u32 v3, v18, 23, 1
; %bb.2629:                             ;   in Loop: Header=BB6_128 Depth=2
	s_or_b64 exec, exec, s[20:21]
	v_lshrrev_b64 v[7:8], 20, v[18:19]
	v_cmp_gt_i32_e32 vcc, 16, v3
	v_cndmask_b32_e32 v8, 0, v8, vcc
	v_cndmask_b32_e32 v7, 7, v7, vcc
	v_cmp_eq_u32_e32 vcc, 0, v3
	v_min_i32_e32 v3, 15, v3
	v_cmp_eq_u64_e64 s[20:21], 0, v[7:8]
	v_lshlrev_b32_e32 v3, 3, v3
	v_and_b32_e32 v3, 0xf8, v3
	v_and_or_b32 v3, v7, 7, v3
	s_and_b64 s[20:21], vcc, s[20:21]
	v_cndmask_b32_e64 v3, v3, 0, s[20:21]
	v_or_b32_e32 v20, v3, v0
.LBB6_2630:                             ;   in Loop: Header=BB6_128 Depth=2
	s_or_b64 exec, exec, s[90:91]
                                        ; implicit-def: $vgpr0
.LBB6_2631:                             ;   in Loop: Header=BB6_128 Depth=2
	s_andn2_saveexec_b64 s[20:21], s[88:89]
; %bb.2632:                             ;   in Loop: Header=BB6_128 Depth=2
	v_or_b32_e32 v20, 0x7e, v0
; %bb.2633:                             ;   in Loop: Header=BB6_128 Depth=2
	s_or_b64 exec, exec, s[20:21]
                                        ; implicit-def: $vgpr3
.LBB6_2634:                             ;   in Loop: Header=BB6_128 Depth=2
	s_andn2_saveexec_b64 s[20:21], s[78:79]
; %bb.2635:                             ;   in Loop: Header=BB6_128 Depth=2
	v_or_b32_sdwa v20, v3, s51 dst_sel:DWORD dst_unused:UNUSED_PAD src0_sel:BYTE_3 src1_sel:DWORD
; %bb.2636:                             ;   in Loop: Header=BB6_128 Depth=2
	s_or_b64 exec, exec, s[20:21]
	v_cmp_lt_u32_e32 vcc, s63, v52
	v_mov_b32_e32 v0, 0
	v_mov_b32_e32 v3, 0
	s_and_saveexec_b64 s[20:21], vcc
	s_cbranch_execz .LBB6_2642
; %bb.2637:                             ;   in Loop: Header=BB6_128 Depth=2
	v_lshrrev_b32_e32 v18, 24, v52
	v_cmp_ne_u32_sdwa s[88:89], v52, s53 src0_sel:BYTE_3 src1_sel:DWORD
	v_bfrev_b32_e32 v3, 1
	s_and_saveexec_b64 s[78:79], s[88:89]
	s_cbranch_execz .LBB6_2641
; %bb.2638:                             ;   in Loop: Header=BB6_128 Depth=2
	v_bfe_u32 v7, v52, 24, 7
	v_cmp_ne_u32_e32 vcc, s51, v7
	v_mov_b32_e32 v3, 0x7f800001
	s_and_saveexec_b64 s[88:89], vcc
	s_cbranch_execz .LBB6_2640
; %bb.2639:                             ;   in Loop: Header=BB6_128 Depth=2
	v_and_b32_e32 v3, 7, v18
	v_lshrrev_b32_e32 v19, 3, v7
	v_cmp_gt_u32_e32 vcc, 8, v7
	v_ffbh_u32_e32 v7, v3
	v_min_u32_e32 v25, 32, v7
	v_subrev_u32_e32 v7, 28, v25
	v_lshlrev_b64 v[7:8], v7, v[18:19]
	v_sub_u32_e32 v8, 29, v25
	v_and_b32_e32 v7, 7, v7
	v_cndmask_b32_e32 v3, v3, v7, vcc
	v_mov_b32_e32 v7, 24
	v_cndmask_b32_e32 v8, v19, v8, vcc
	v_lshlrev_b32_sdwa v7, v7, v52 dst_sel:DWORD dst_unused:UNUSED_PAD src0_sel:DWORD src1_sel:BYTE_3
	v_bfrev_b32_e32 v18, 60
	v_lshlrev_b32_e32 v3, 20, v3
	v_and_b32_e32 v7, 0x80000000, v7
	v_lshl_add_u32 v8, v8, 23, v18
	v_or3_b32 v3, v7, v8, v3
.LBB6_2640:                             ;   in Loop: Header=BB6_128 Depth=2
	s_or_b64 exec, exec, s[88:89]
.LBB6_2641:                             ;   in Loop: Header=BB6_128 Depth=2
	s_or_b64 exec, exec, s[78:79]
.LBB6_2642:                             ;   in Loop: Header=BB6_128 Depth=2
	s_or_b64 exec, exec, s[20:21]
	v_cmp_lt_u64_e32 vcc, s[62:63], v[14:15]
	s_and_saveexec_b64 s[20:21], vcc
	s_cbranch_execz .LBB6_2648
; %bb.2643:                             ;   in Loop: Header=BB6_128 Depth=2
	v_lshrrev_b32_e32 v14, 24, v15
	v_cmp_ne_u32_e32 vcc, s53, v14
	v_bfrev_b32_e32 v0, 1
	s_and_saveexec_b64 s[78:79], vcc
	s_cbranch_execz .LBB6_2647
; %bb.2644:                             ;   in Loop: Header=BB6_128 Depth=2
	v_bfe_u32 v7, v15, 24, 7
	v_cmp_ne_u32_e32 vcc, s51, v7
	v_mov_b32_e32 v0, 0x7f800001
	s_and_saveexec_b64 s[88:89], vcc
	s_cbranch_execz .LBB6_2646
; %bb.2645:                             ;   in Loop: Header=BB6_128 Depth=2
	v_and_b32_e32 v0, 7, v14
	v_lshrrev_b32_e32 v15, 3, v7
	v_cmp_gt_u32_e32 vcc, 8, v7
	v_ffbh_u32_e32 v7, v0
	v_min_u32_e32 v18, 32, v7
	v_subrev_u32_e32 v7, 28, v18
	v_lshlrev_b64 v[7:8], v7, v[14:15]
	v_sub_u32_e32 v8, 29, v18
	v_and_b32_e32 v7, 7, v7
	v_cndmask_b32_e32 v8, v15, v8, vcc
	v_cndmask_b32_e32 v0, v0, v7, vcc
	v_lshlrev_b32_e32 v7, 24, v14
	v_bfrev_b32_e32 v14, 60
	v_lshlrev_b32_e32 v0, 20, v0
	v_and_b32_e32 v7, 0x80000000, v7
	v_lshl_add_u32 v8, v8, 23, v14
	v_or3_b32 v0, v7, v8, v0
.LBB6_2646:                             ;   in Loop: Header=BB6_128 Depth=2
	s_or_b64 exec, exec, s[88:89]
.LBB6_2647:                             ;   in Loop: Header=BB6_128 Depth=2
	s_or_b64 exec, exec, s[78:79]
.LBB6_2648:                             ;   in Loop: Header=BB6_128 Depth=2
	s_or_b64 exec, exec, s[20:21]
	v_add_f32_e32 v3, v3, v0
	v_and_b32_e32 v52, 0x7f800000, v3
	v_cmp_ne_u64_e32 vcc, s[56:57], v[52:53]
                                        ; implicit-def: $vgpr60
	s_and_saveexec_b64 s[20:21], vcc
	s_xor_b64 s[78:79], exec, s[20:21]
	s_cbranch_execz .LBB6_2662
; %bb.2649:                             ;   in Loop: Header=BB6_128 Depth=2
	v_and_b32_e32 v52, 0x7fffffff, v3
	v_cmp_gt_u64_e32 vcc, s[58:59], v[52:53]
	v_and_b32_sdwa v0, v3, s53 dst_sel:DWORD dst_unused:UNUSED_PAD src0_sel:BYTE_3 src1_sel:DWORD
                                        ; implicit-def: $vgpr60
	s_and_saveexec_b64 s[20:21], vcc
	s_xor_b64 s[88:89], exec, s[20:21]
	s_cbranch_execz .LBB6_2659
; %bb.2650:                             ;   in Loop: Header=BB6_128 Depth=2
	v_mov_b32_e32 v60, 0
	v_cmp_ne_u32_e32 vcc, 0, v3
	s_and_saveexec_b64 s[90:91], vcc
	s_cbranch_execz .LBB6_2658
; %bb.2651:                             ;   in Loop: Header=BB6_128 Depth=2
	v_and_b32_e32 v8, 0x7fffff, v3
	v_bfe_u32 v3, v3, 23, 8
	v_cmp_gt_u32_e64 s[20:21], s54, v3
	v_sub_u32_e32 v7, 0x79, v3
	v_cmp_eq_u32_e32 vcc, 0, v3
	v_cndmask_b32_e64 v7, 0, v7, s[20:21]
	v_mov_b32_e32 v15, 0x78
	v_or_b32_e32 v14, 0x800000, v8
	v_cndmask_b32_e32 v7, v7, v15, vcc
	v_cndmask_b32_e32 v52, v14, v8, vcc
	v_add_u32_e32 v8, 20, v7
	v_lshlrev_b64 v[14:15], v8, -1
	v_add_u32_e32 v8, 19, v7
	v_lshlrev_b64 v[18:19], v8, 1
	v_bfi_b32 v15, v15, 0, 0
	v_bfi_b32 v14, v14, 0, v52
	v_cmp_eq_u64_e64 s[20:21], v[14:15], v[18:19]
	v_lshrrev_b64 v[14:15], v7, v[52:53]
	v_mov_b32_e32 v19, v15
	v_mov_b32_e32 v18, v14
	s_and_saveexec_b64 s[92:93], s[20:21]
; %bb.2652:                             ;   in Loop: Header=BB6_128 Depth=2
	v_bfe_u32 v8, v14, 20, 1
	v_add_co_u32_e64 v8, s[20:21], v14, v8
	v_add_co_u32_e64 v18, s[20:21], -1, v8
; %bb.2653:                             ;   in Loop: Header=BB6_128 Depth=2
	s_or_b64 exec, exec, s[92:93]
	v_add_u32_e32 v3, 0xffffff81, v3
	v_mov_b32_e32 v8, 0xffffff82
	v_cndmask_b32_e32 v3, v3, v8, vcc
	v_lshrrev_b32_e32 v8, 23, v14
	v_add3_u32 v8, v7, v3, v8
	v_add_u32_e32 v7, 6, v8
	v_and_b32_e32 v3, 0xfffff, v18
	v_add_u32_e32 v52, v3, v14
	v_cmp_ne_u32_e32 vcc, 0, v7
                                        ; implicit-def: $vgpr14_vgpr15
                                        ; implicit-def: $vgpr3
	s_and_saveexec_b64 s[20:21], vcc
	s_xor_b64 s[20:21], exec, s[20:21]
; %bb.2654:                             ;   in Loop: Header=BB6_128 Depth=2
	v_cmp_lt_u64_e32 vcc, s[60:61], v[52:53]
	v_add_u32_e32 v3, 7, v8
	v_cndmask_b32_e32 v3, v7, v3, vcc
	v_cndmask_b32_e64 v7, 0, 1, vcc
	v_lshrrev_b64 v[14:15], v7, v[52:53]
; %bb.2655:                             ;   in Loop: Header=BB6_128 Depth=2
	s_andn2_saveexec_b64 s[20:21], s[20:21]
; %bb.2656:                             ;   in Loop: Header=BB6_128 Depth=2
	v_mov_b32_e32 v14, v52
	v_bfe_u32 v3, v52, 23, 1
	v_mov_b32_e32 v15, v53
; %bb.2657:                             ;   in Loop: Header=BB6_128 Depth=2
	s_or_b64 exec, exec, s[20:21]
	v_lshrrev_b64 v[7:8], 20, v[14:15]
	v_cmp_gt_i32_e32 vcc, 16, v3
	v_cndmask_b32_e32 v8, 0, v8, vcc
	v_cndmask_b32_e32 v7, 7, v7, vcc
	v_cmp_eq_u32_e32 vcc, 0, v3
	v_min_i32_e32 v3, 15, v3
	v_cmp_eq_u64_e64 s[20:21], 0, v[7:8]
	v_lshlrev_b32_e32 v3, 3, v3
	v_and_b32_e32 v3, 0xf8, v3
	v_and_or_b32 v3, v7, 7, v3
	s_and_b64 s[20:21], vcc, s[20:21]
	v_cndmask_b32_e64 v3, v3, 0, s[20:21]
	v_or_b32_e32 v60, v3, v0
.LBB6_2658:                             ;   in Loop: Header=BB6_128 Depth=2
	s_or_b64 exec, exec, s[90:91]
                                        ; implicit-def: $vgpr0
.LBB6_2659:                             ;   in Loop: Header=BB6_128 Depth=2
	s_andn2_saveexec_b64 s[20:21], s[88:89]
; %bb.2660:                             ;   in Loop: Header=BB6_128 Depth=2
	v_or_b32_e32 v60, 0x7e, v0
; %bb.2661:                             ;   in Loop: Header=BB6_128 Depth=2
	s_or_b64 exec, exec, s[20:21]
                                        ; implicit-def: $vgpr3
.LBB6_2662:                             ;   in Loop: Header=BB6_128 Depth=2
	s_andn2_saveexec_b64 s[20:21], s[78:79]
; %bb.2663:                             ;   in Loop: Header=BB6_128 Depth=2
	v_or_b32_sdwa v60, v3, s51 dst_sel:DWORD dst_unused:UNUSED_PAD src0_sel:BYTE_3 src1_sel:DWORD
; %bb.2664:                             ;   in Loop: Header=BB6_128 Depth=2
	s_or_b64 exec, exec, s[20:21]
	buffer_load_dword v0, off, s[0:3], s33 offset:188 ; 4-byte Folded Reload
	buffer_load_dword v3, off, s[0:3], s33 offset:208 ; 4-byte Folded Reload
	;; [unrolled: 1-line block ×3, first 2 shown]
	v_cmp_ne_u32_e32 vcc, 0, v29
	s_waitcnt vmcnt(2)
	v_lshl_or_b32 v0, v0, 8, v29
	s_waitcnt vmcnt(1)
	v_lshlrev_b32_e32 v3, 16, v3
	s_waitcnt vmcnt(0)
	v_lshlrev_b32_e32 v7, 24, v7
	v_or3_b32 v52, v3, v7, v0
	v_mov_b32_e32 v3, 0
	v_mov_b32_e32 v7, 0
	s_and_saveexec_b64 s[20:21], vcc
	s_cbranch_execz .LBB6_2670
; %bb.2665:                             ;   in Loop: Header=BB6_128 Depth=2
	v_cmp_ne_u32_e32 vcc, s53, v29
	v_bfrev_b32_e32 v7, 1
	s_and_saveexec_b64 s[78:79], vcc
	s_cbranch_execz .LBB6_2669
; %bb.2666:                             ;   in Loop: Header=BB6_128 Depth=2
	v_and_b32_e32 v8, 0x7f, v29
	v_cmp_ne_u32_e32 vcc, s51, v8
	v_mov_b32_e32 v7, 0x7f800001
	s_and_saveexec_b64 s[88:89], vcc
	s_cbranch_execz .LBB6_2668
; %bb.2667:                             ;   in Loop: Header=BB6_128 Depth=2
	v_and_b32_e32 v7, 7, v29
	v_ffbh_u32_e32 v7, v7
	v_min_u32_e32 v7, 32, v7
	v_lshrrev_b32_e32 v14, 3, v8
	v_cmp_gt_u32_e32 vcc, 8, v8
	v_subrev_u32_e32 v8, 28, v7
	v_sub_u32_e32 v7, 29, v7
	v_cndmask_b32_e32 v14, v14, v7, vcc
	v_cndmask_b32_e32 v7, 0, v8, vcc
	v_lshlrev_b64 v[7:8], v7, v[52:53]
	v_lshlrev_b32_e32 v8, 24, v52
	v_lshlrev_b32_e32 v7, 20, v7
	v_bfrev_b32_e32 v15, 60
	v_and_b32_e32 v7, 0x700000, v7
	v_and_b32_e32 v8, 0x80000000, v8
	v_lshl_add_u32 v14, v14, 23, v15
	v_or3_b32 v7, v8, v14, v7
.LBB6_2668:                             ;   in Loop: Header=BB6_128 Depth=2
	s_or_b64 exec, exec, s[88:89]
.LBB6_2669:                             ;   in Loop: Header=BB6_128 Depth=2
	s_or_b64 exec, exec, s[78:79]
.LBB6_2670:                             ;   in Loop: Header=BB6_128 Depth=2
	s_or_b64 exec, exec, s[20:21]
	v_cmp_ne_u16_sdwa s[78:79], v16, v53 src0_sel:BYTE_0 src1_sel:DWORD
	s_and_saveexec_b64 s[20:21], s[78:79]
	s_cbranch_execz .LBB6_2676
; %bb.2671:                             ;   in Loop: Header=BB6_128 Depth=2
	v_cmp_ne_u16_sdwa s[88:89], v16, s53 src0_sel:BYTE_0 src1_sel:DWORD
	v_bfrev_b32_e32 v3, 1
	s_and_saveexec_b64 s[78:79], s[88:89]
	s_cbranch_execz .LBB6_2675
; %bb.2672:                             ;   in Loop: Header=BB6_128 Depth=2
	v_and_b32_e32 v8, 0x7f, v16
	v_cmp_ne_u32_e32 vcc, s51, v8
	v_mov_b32_e32 v3, 0x7f800001
	s_and_saveexec_b64 s[88:89], vcc
	s_cbranch_execz .LBB6_2674
; %bb.2673:                             ;   in Loop: Header=BB6_128 Depth=2
	v_and_b32_e32 v3, 7, v16
	v_ffbh_u32_e32 v3, v3
	v_min_u32_e32 v3, 32, v3
	v_lshrrev_b32_e32 v14, 3, v8
	v_cmp_gt_u32_e32 vcc, 8, v8
	v_subrev_u32_e32 v8, 28, v3
	v_sub_u32_e32 v3, 29, v3
	v_cndmask_b32_e32 v8, 0, v8, vcc
	v_cndmask_b32_e32 v3, v14, v3, vcc
	v_lshlrev_b64 v[14:15], v8, v[16:17]
	v_bfrev_b32_e32 v15, 60
	v_lshlrev_b32_e32 v8, 20, v14
	v_lshlrev_b32_e32 v14, 24, v16
	v_and_b32_e32 v8, 0x700000, v8
	v_and_b32_e32 v14, 0x80000000, v14
	v_lshl_add_u32 v3, v3, 23, v15
	v_or3_b32 v3, v14, v3, v8
.LBB6_2674:                             ;   in Loop: Header=BB6_128 Depth=2
	s_or_b64 exec, exec, s[88:89]
.LBB6_2675:                             ;   in Loop: Header=BB6_128 Depth=2
	s_or_b64 exec, exec, s[78:79]
.LBB6_2676:                             ;   in Loop: Header=BB6_128 Depth=2
	s_or_b64 exec, exec, s[20:21]
	v_add_f32_e32 v7, v7, v3
	v_and_b32_e32 v14, 0x7f800000, v7
	v_mov_b32_e32 v15, v53
	v_cmp_ne_u64_e32 vcc, s[56:57], v[14:15]
                                        ; implicit-def: $vgpr29
	s_and_saveexec_b64 s[20:21], vcc
	s_xor_b64 s[78:79], exec, s[20:21]
	s_cbranch_execz .LBB6_2690
; %bb.2677:                             ;   in Loop: Header=BB6_128 Depth=2
	v_and_b32_e32 v14, 0x7fffffff, v7
	v_mov_b32_e32 v15, v53
	v_cmp_gt_u64_e32 vcc, s[58:59], v[14:15]
	v_and_b32_sdwa v3, v7, s53 dst_sel:DWORD dst_unused:UNUSED_PAD src0_sel:BYTE_3 src1_sel:DWORD
                                        ; implicit-def: $vgpr29
	s_and_saveexec_b64 s[20:21], vcc
	s_xor_b64 s[88:89], exec, s[20:21]
	s_cbranch_execz .LBB6_2687
; %bb.2678:                             ;   in Loop: Header=BB6_128 Depth=2
	v_mov_b32_e32 v29, 0
	v_cmp_ne_u32_e32 vcc, 0, v7
	s_and_saveexec_b64 s[90:91], vcc
	s_cbranch_execz .LBB6_2686
; %bb.2679:                             ;   in Loop: Header=BB6_128 Depth=2
	v_and_b32_e32 v14, 0x7fffff, v7
	v_bfe_u32 v7, v7, 23, 8
	v_cmp_gt_u32_e64 s[20:21], s54, v7
	v_sub_u32_e32 v8, 0x79, v7
	v_cmp_eq_u32_e32 vcc, 0, v7
	v_cndmask_b32_e64 v8, 0, v8, s[20:21]
	v_mov_b32_e32 v18, 0x78
	v_cndmask_b32_e32 v8, v8, v18, vcc
	v_add_u32_e32 v18, 20, v8
	v_or_b32_e32 v15, 0x800000, v14
	v_lshlrev_b64 v[18:19], v18, -1
	v_cndmask_b32_e32 v14, v15, v14, vcc
	v_mov_b32_e32 v15, v53
	v_add_u32_e32 v25, 19, v8
	v_bfi_b32 v18, v18, 0, v14
	v_lshlrev_b64 v[27:28], v25, 1
	v_lshrrev_b64 v[14:15], v8, v[14:15]
	v_bfi_b32 v19, v19, 0, 0
	v_cmp_eq_u64_e64 s[20:21], v[18:19], v[27:28]
	v_mov_b32_e32 v19, v15
	v_mov_b32_e32 v18, v14
	s_and_saveexec_b64 s[92:93], s[20:21]
; %bb.2680:                             ;   in Loop: Header=BB6_128 Depth=2
	v_bfe_u32 v15, v14, 20, 1
	v_add_co_u32_e64 v15, s[20:21], v14, v15
	v_add_co_u32_e64 v18, s[20:21], -1, v15
; %bb.2681:                             ;   in Loop: Header=BB6_128 Depth=2
	s_or_b64 exec, exec, s[92:93]
	v_add_u32_e32 v7, 0xffffff81, v7
	v_mov_b32_e32 v15, 0xffffff82
	v_cndmask_b32_e32 v7, v7, v15, vcc
	v_lshrrev_b32_e32 v15, 23, v14
	v_add3_u32 v19, v8, v7, v15
	v_add_u32_e32 v8, 6, v19
	v_and_b32_e32 v7, 0xfffff, v18
	v_add_u32_e32 v14, v7, v14
	v_mov_b32_e32 v15, v53
	v_cmp_ne_u32_e32 vcc, 0, v8
                                        ; implicit-def: $vgpr7
	s_and_saveexec_b64 s[20:21], vcc
	s_xor_b64 s[20:21], exec, s[20:21]
; %bb.2682:                             ;   in Loop: Header=BB6_128 Depth=2
	v_cmp_lt_u64_e32 vcc, s[60:61], v[14:15]
	v_add_u32_e32 v7, 7, v19
	v_cndmask_b32_e32 v7, v8, v7, vcc
	v_cndmask_b32_e64 v8, 0, 1, vcc
	v_lshrrev_b64 v[14:15], v8, v[14:15]
; %bb.2683:                             ;   in Loop: Header=BB6_128 Depth=2
	s_andn2_saveexec_b64 s[20:21], s[20:21]
; %bb.2684:                             ;   in Loop: Header=BB6_128 Depth=2
	v_bfe_u32 v7, v14, 23, 1
; %bb.2685:                             ;   in Loop: Header=BB6_128 Depth=2
	s_or_b64 exec, exec, s[20:21]
	v_lshrrev_b64 v[14:15], 20, v[14:15]
	v_cmp_gt_i32_e32 vcc, 16, v7
	v_cndmask_b32_e32 v15, 0, v15, vcc
	v_cndmask_b32_e32 v14, 7, v14, vcc
	v_cmp_eq_u32_e32 vcc, 0, v7
	v_min_i32_e32 v7, 15, v7
	v_cmp_eq_u64_e64 s[20:21], 0, v[14:15]
	v_lshlrev_b32_e32 v7, 3, v7
	v_and_b32_e32 v7, 0xf8, v7
	v_and_or_b32 v7, v14, 7, v7
	s_and_b64 s[20:21], vcc, s[20:21]
	v_cndmask_b32_e64 v7, v7, 0, s[20:21]
	v_or_b32_e32 v29, v7, v3
.LBB6_2686:                             ;   in Loop: Header=BB6_128 Depth=2
	s_or_b64 exec, exec, s[90:91]
                                        ; implicit-def: $vgpr3
.LBB6_2687:                             ;   in Loop: Header=BB6_128 Depth=2
	s_andn2_saveexec_b64 s[20:21], s[88:89]
; %bb.2688:                             ;   in Loop: Header=BB6_128 Depth=2
	v_or_b32_e32 v29, 0x7e, v3
; %bb.2689:                             ;   in Loop: Header=BB6_128 Depth=2
	s_or_b64 exec, exec, s[20:21]
                                        ; implicit-def: $vgpr7
.LBB6_2690:                             ;   in Loop: Header=BB6_128 Depth=2
	s_andn2_saveexec_b64 s[20:21], s[78:79]
; %bb.2691:                             ;   in Loop: Header=BB6_128 Depth=2
	v_or_b32_sdwa v29, v7, s51 dst_sel:DWORD dst_unused:UNUSED_PAD src0_sel:BYTE_3 src1_sel:DWORD
; %bb.2692:                             ;   in Loop: Header=BB6_128 Depth=2
	s_or_b64 exec, exec, s[20:21]
	v_lshrrev_b16_e32 v14, 8, v0
	v_cmp_ne_u16_e32 vcc, 0, v14
	v_mov_b32_e32 v3, 0
	v_mov_b32_e32 v7, 0
	s_and_saveexec_b64 s[20:21], vcc
	s_cbranch_execz .LBB6_2698
; %bb.2693:                             ;   in Loop: Header=BB6_128 Depth=2
	v_cmp_ne_u16_e32 vcc, s53, v14
	v_bfrev_b32_e32 v7, 1
	s_and_saveexec_b64 s[78:79], vcc
	s_cbranch_execz .LBB6_2697
; %bb.2694:                             ;   in Loop: Header=BB6_128 Depth=2
	v_and_b32_e32 v8, 0x7f, v14
	v_cmp_ne_u32_e32 vcc, s51, v8
	v_mov_b32_e32 v7, 0x7f800001
	s_and_saveexec_b64 s[88:89], vcc
	s_cbranch_execz .LBB6_2696
; %bb.2695:                             ;   in Loop: Header=BB6_128 Depth=2
	v_and_b32_e32 v15, 7, v14
	v_ffbh_u32_e32 v7, v15
	v_min_u32_e32 v19, 32, v7
	v_subrev_u32_e32 v7, 28, v19
	v_lshrrev_b32_e32 v18, 3, v8
	v_cmp_gt_u32_e32 vcc, 8, v8
	v_lshlrev_b64 v[7:8], v7, v[14:15]
	v_sub_u32_e32 v8, 29, v19
	v_and_b32_e32 v7, 7, v7
	v_cndmask_b32_e32 v8, v18, v8, vcc
	v_cndmask_b32_e32 v7, v15, v7, vcc
	v_lshlrev_b32_e32 v0, 16, v0
	v_bfrev_b32_e32 v14, 60
	v_lshlrev_b32_e32 v7, 20, v7
	v_and_b32_e32 v0, 0x80000000, v0
	v_lshl_add_u32 v8, v8, 23, v14
	v_or3_b32 v7, v0, v8, v7
.LBB6_2696:                             ;   in Loop: Header=BB6_128 Depth=2
	s_or_b64 exec, exec, s[88:89]
.LBB6_2697:                             ;   in Loop: Header=BB6_128 Depth=2
	s_or_b64 exec, exec, s[78:79]
.LBB6_2698:                             ;   in Loop: Header=BB6_128 Depth=2
	s_or_b64 exec, exec, s[20:21]
	v_lshrrev_b16_e32 v14, 8, v16
	v_cmp_ne_u16_e32 vcc, 0, v14
	s_and_saveexec_b64 s[20:21], vcc
	s_cbranch_execz .LBB6_2704
; %bb.2699:                             ;   in Loop: Header=BB6_128 Depth=2
	v_cmp_ne_u16_e32 vcc, s53, v14
	v_bfrev_b32_e32 v3, 1
	s_and_saveexec_b64 s[78:79], vcc
	s_cbranch_execz .LBB6_2703
; %bb.2700:                             ;   in Loop: Header=BB6_128 Depth=2
	v_and_b32_e32 v0, 0x7f, v14
	v_cmp_ne_u32_e32 vcc, s51, v0
	v_mov_b32_e32 v3, 0x7f800001
	s_and_saveexec_b64 s[88:89], vcc
	s_cbranch_execz .LBB6_2702
; %bb.2701:                             ;   in Loop: Header=BB6_128 Depth=2
	v_and_b32_e32 v3, 7, v14
	v_lshrrev_b32_e32 v8, 3, v0
	v_cmp_gt_u32_e32 vcc, 8, v0
	v_ffbh_u32_e32 v0, v3
	v_min_u32_e32 v0, 32, v0
	v_subrev_u32_e32 v15, 28, v0
	v_lshlrev_b64 v[14:15], v15, v[14:15]
	v_sub_u32_e32 v0, 29, v0
	v_and_b32_e32 v14, 7, v14
	v_cndmask_b32_e32 v0, v8, v0, vcc
	v_cndmask_b32_e32 v3, v3, v14, vcc
	v_lshlrev_b32_e32 v8, 16, v16
	v_bfrev_b32_e32 v14, 60
	v_lshlrev_b32_e32 v3, 20, v3
	v_and_b32_e32 v8, 0x80000000, v8
	v_lshl_add_u32 v0, v0, 23, v14
	v_or3_b32 v3, v8, v0, v3
.LBB6_2702:                             ;   in Loop: Header=BB6_128 Depth=2
	s_or_b64 exec, exec, s[88:89]
.LBB6_2703:                             ;   in Loop: Header=BB6_128 Depth=2
	s_or_b64 exec, exec, s[78:79]
.LBB6_2704:                             ;   in Loop: Header=BB6_128 Depth=2
	s_or_b64 exec, exec, s[20:21]
	v_add_f32_e32 v3, v7, v3
	v_and_b32_e32 v7, 0x7f800000, v3
	v_mov_b32_e32 v8, v53
	v_cmp_ne_u64_e32 vcc, s[56:57], v[7:8]
                                        ; implicit-def: $vgpr61
	s_and_saveexec_b64 s[20:21], vcc
	s_xor_b64 s[78:79], exec, s[20:21]
	s_cbranch_execz .LBB6_2718
; %bb.2705:                             ;   in Loop: Header=BB6_128 Depth=2
	v_and_b32_e32 v7, 0x7fffffff, v3
	v_mov_b32_e32 v8, v53
	v_cmp_gt_u64_e32 vcc, s[58:59], v[7:8]
	v_and_b32_sdwa v0, v3, s53 dst_sel:DWORD dst_unused:UNUSED_PAD src0_sel:BYTE_3 src1_sel:DWORD
                                        ; implicit-def: $vgpr61
	s_and_saveexec_b64 s[20:21], vcc
	s_xor_b64 s[88:89], exec, s[20:21]
	s_cbranch_execz .LBB6_2715
; %bb.2706:                             ;   in Loop: Header=BB6_128 Depth=2
	v_mov_b32_e32 v61, 0
	v_cmp_ne_u32_e32 vcc, 0, v3
	s_and_saveexec_b64 s[90:91], vcc
	s_cbranch_execz .LBB6_2714
; %bb.2707:                             ;   in Loop: Header=BB6_128 Depth=2
	v_and_b32_e32 v8, 0x7fffff, v3
	v_bfe_u32 v3, v3, 23, 8
	v_cmp_gt_u32_e64 s[20:21], s54, v3
	v_sub_u32_e32 v7, 0x79, v3
	v_cmp_eq_u32_e32 vcc, 0, v3
	v_cndmask_b32_e64 v7, 0, v7, s[20:21]
	v_mov_b32_e32 v15, 0x78
	v_or_b32_e32 v14, 0x800000, v8
	v_cndmask_b32_e32 v7, v7, v15, vcc
	v_cndmask_b32_e32 v14, v14, v8, vcc
	v_add_u32_e32 v8, 20, v7
	v_lshlrev_b64 v[18:19], v8, -1
	v_mov_b32_e32 v15, v53
	v_add_u32_e32 v8, 19, v7
	v_bfi_b32 v18, v18, 0, v14
	v_lshlrev_b64 v[27:28], v8, 1
	v_lshrrev_b64 v[14:15], v7, v[14:15]
	v_bfi_b32 v19, v19, 0, 0
	v_cmp_eq_u64_e64 s[20:21], v[18:19], v[27:28]
	v_mov_b32_e32 v19, v15
	v_mov_b32_e32 v18, v14
	s_and_saveexec_b64 s[92:93], s[20:21]
; %bb.2708:                             ;   in Loop: Header=BB6_128 Depth=2
	v_bfe_u32 v8, v14, 20, 1
	v_add_co_u32_e64 v8, s[20:21], v14, v8
	v_add_co_u32_e64 v18, s[20:21], -1, v8
; %bb.2709:                             ;   in Loop: Header=BB6_128 Depth=2
	s_or_b64 exec, exec, s[92:93]
	v_add_u32_e32 v3, 0xffffff81, v3
	v_mov_b32_e32 v8, 0xffffff82
	v_cndmask_b32_e32 v3, v3, v8, vcc
	v_lshrrev_b32_e32 v8, 23, v14
	v_add3_u32 v8, v7, v3, v8
	v_add_u32_e32 v7, 6, v8
	v_and_b32_e32 v3, 0xfffff, v18
	v_add_u32_e32 v14, v3, v14
	v_mov_b32_e32 v15, v53
	v_cmp_ne_u32_e32 vcc, 0, v7
                                        ; implicit-def: $vgpr3
	s_and_saveexec_b64 s[20:21], vcc
	s_xor_b64 s[20:21], exec, s[20:21]
; %bb.2710:                             ;   in Loop: Header=BB6_128 Depth=2
	v_cmp_lt_u64_e32 vcc, s[60:61], v[14:15]
	v_add_u32_e32 v3, 7, v8
	v_cndmask_b32_e32 v3, v7, v3, vcc
	v_cndmask_b32_e64 v7, 0, 1, vcc
	v_lshrrev_b64 v[14:15], v7, v[14:15]
; %bb.2711:                             ;   in Loop: Header=BB6_128 Depth=2
	s_andn2_saveexec_b64 s[20:21], s[20:21]
; %bb.2712:                             ;   in Loop: Header=BB6_128 Depth=2
	v_bfe_u32 v3, v14, 23, 1
; %bb.2713:                             ;   in Loop: Header=BB6_128 Depth=2
	s_or_b64 exec, exec, s[20:21]
	v_lshrrev_b64 v[7:8], 20, v[14:15]
	v_cmp_gt_i32_e32 vcc, 16, v3
	v_cndmask_b32_e32 v8, 0, v8, vcc
	v_cndmask_b32_e32 v7, 7, v7, vcc
	v_cmp_eq_u32_e32 vcc, 0, v3
	v_min_i32_e32 v3, 15, v3
	v_cmp_eq_u64_e64 s[20:21], 0, v[7:8]
	v_lshlrev_b32_e32 v3, 3, v3
	v_and_b32_e32 v3, 0xf8, v3
	v_and_or_b32 v3, v7, 7, v3
	s_and_b64 s[20:21], vcc, s[20:21]
	v_cndmask_b32_e64 v3, v3, 0, s[20:21]
	v_or_b32_e32 v61, v3, v0
.LBB6_2714:                             ;   in Loop: Header=BB6_128 Depth=2
	s_or_b64 exec, exec, s[90:91]
                                        ; implicit-def: $vgpr0
.LBB6_2715:                             ;   in Loop: Header=BB6_128 Depth=2
	s_andn2_saveexec_b64 s[20:21], s[88:89]
; %bb.2716:                             ;   in Loop: Header=BB6_128 Depth=2
	v_or_b32_e32 v61, 0x7e, v0
; %bb.2717:                             ;   in Loop: Header=BB6_128 Depth=2
	s_or_b64 exec, exec, s[20:21]
                                        ; implicit-def: $vgpr3
.LBB6_2718:                             ;   in Loop: Header=BB6_128 Depth=2
	s_andn2_saveexec_b64 s[20:21], s[78:79]
; %bb.2719:                             ;   in Loop: Header=BB6_128 Depth=2
	v_or_b32_sdwa v61, v3, s51 dst_sel:DWORD dst_unused:UNUSED_PAD src0_sel:BYTE_3 src1_sel:DWORD
; %bb.2720:                             ;   in Loop: Header=BB6_128 Depth=2
	s_or_b64 exec, exec, s[20:21]
	v_lshrrev_b32_e32 v14, 16, v52
	v_cmp_ne_u16_sdwa s[78:79], v14, v53 src0_sel:BYTE_0 src1_sel:DWORD
	v_mov_b32_e32 v0, 0
	v_mov_b32_e32 v3, 0
	s_and_saveexec_b64 s[20:21], s[78:79]
	s_cbranch_execz .LBB6_2726
; %bb.2721:                             ;   in Loop: Header=BB6_128 Depth=2
	v_cmp_ne_u16_sdwa s[88:89], v14, s53 src0_sel:BYTE_0 src1_sel:DWORD
	v_bfrev_b32_e32 v3, 1
	s_and_saveexec_b64 s[78:79], s[88:89]
	s_cbranch_execz .LBB6_2725
; %bb.2722:                             ;   in Loop: Header=BB6_128 Depth=2
	v_bfe_u32 v7, v52, 16, 7
	v_cmp_ne_u32_e32 vcc, s51, v7
	v_mov_b32_e32 v3, 0x7f800001
	s_and_saveexec_b64 s[88:89], vcc
	s_cbranch_execz .LBB6_2724
; %bb.2723:                             ;   in Loop: Header=BB6_128 Depth=2
	v_and_b32_e32 v3, 7, v14
	v_lshrrev_b32_e32 v15, 3, v7
	v_cmp_gt_u32_e32 vcc, 8, v7
	v_ffbh_u32_e32 v7, v3
	v_min_u32_e32 v18, 32, v7
	v_subrev_u32_e32 v7, 28, v18
	v_lshlrev_b64 v[7:8], v7, v[14:15]
	v_sub_u32_e32 v8, 29, v18
	v_and_b32_e32 v7, 7, v7
	v_cndmask_b32_e32 v8, v15, v8, vcc
	v_cndmask_b32_e32 v3, v3, v7, vcc
	v_lshlrev_b32_e32 v7, 24, v14
	v_bfrev_b32_e32 v14, 60
	v_lshlrev_b32_e32 v3, 20, v3
	v_and_b32_e32 v7, 0x80000000, v7
	v_lshl_add_u32 v8, v8, 23, v14
	v_or3_b32 v3, v7, v8, v3
.LBB6_2724:                             ;   in Loop: Header=BB6_128 Depth=2
	s_or_b64 exec, exec, s[88:89]
.LBB6_2725:                             ;   in Loop: Header=BB6_128 Depth=2
	s_or_b64 exec, exec, s[78:79]
.LBB6_2726:                             ;   in Loop: Header=BB6_128 Depth=2
	s_or_b64 exec, exec, s[20:21]
	v_lshrrev_b32_e32 v14, 16, v16
	v_cmp_ne_u16_sdwa s[78:79], v14, v53 src0_sel:BYTE_0 src1_sel:DWORD
	s_and_saveexec_b64 s[20:21], s[78:79]
	s_cbranch_execz .LBB6_2732
; %bb.2727:                             ;   in Loop: Header=BB6_128 Depth=2
	v_cmp_ne_u16_sdwa s[88:89], v14, s53 src0_sel:BYTE_0 src1_sel:DWORD
	v_bfrev_b32_e32 v0, 1
	s_and_saveexec_b64 s[78:79], s[88:89]
	s_cbranch_execz .LBB6_2731
; %bb.2728:                             ;   in Loop: Header=BB6_128 Depth=2
	v_bfe_u32 v7, v16, 16, 7
	v_cmp_ne_u32_e32 vcc, s51, v7
	v_mov_b32_e32 v0, 0x7f800001
	s_and_saveexec_b64 s[88:89], vcc
	s_cbranch_execz .LBB6_2730
; %bb.2729:                             ;   in Loop: Header=BB6_128 Depth=2
	v_and_b32_e32 v0, 7, v14
	v_lshrrev_b32_e32 v15, 3, v7
	v_cmp_gt_u32_e32 vcc, 8, v7
	v_ffbh_u32_e32 v7, v0
	v_min_u32_e32 v18, 32, v7
	v_subrev_u32_e32 v7, 28, v18
	v_lshlrev_b64 v[7:8], v7, v[14:15]
	v_sub_u32_e32 v8, 29, v18
	v_and_b32_e32 v7, 7, v7
	v_cndmask_b32_e32 v8, v15, v8, vcc
	v_cndmask_b32_e32 v0, v0, v7, vcc
	v_lshlrev_b32_e32 v7, 8, v16
	v_bfrev_b32_e32 v14, 60
	v_lshlrev_b32_e32 v0, 20, v0
	v_and_b32_e32 v7, 0x80000000, v7
	v_lshl_add_u32 v8, v8, 23, v14
	v_or3_b32 v0, v7, v8, v0
.LBB6_2730:                             ;   in Loop: Header=BB6_128 Depth=2
	s_or_b64 exec, exec, s[88:89]
.LBB6_2731:                             ;   in Loop: Header=BB6_128 Depth=2
	s_or_b64 exec, exec, s[78:79]
.LBB6_2732:                             ;   in Loop: Header=BB6_128 Depth=2
	s_or_b64 exec, exec, s[20:21]
	v_add_f32_e32 v3, v3, v0
	v_and_b32_e32 v7, 0x7f800000, v3
	v_mov_b32_e32 v8, v53
	v_cmp_ne_u64_e32 vcc, s[56:57], v[7:8]
                                        ; implicit-def: $vgpr50
	s_and_saveexec_b64 s[20:21], vcc
	s_xor_b64 s[78:79], exec, s[20:21]
	s_cbranch_execz .LBB6_2746
; %bb.2733:                             ;   in Loop: Header=BB6_128 Depth=2
	v_and_b32_e32 v7, 0x7fffffff, v3
	v_mov_b32_e32 v8, v53
	v_cmp_gt_u64_e32 vcc, s[58:59], v[7:8]
	v_and_b32_sdwa v0, v3, s53 dst_sel:DWORD dst_unused:UNUSED_PAD src0_sel:BYTE_3 src1_sel:DWORD
                                        ; implicit-def: $vgpr50
	s_and_saveexec_b64 s[20:21], vcc
	s_xor_b64 s[88:89], exec, s[20:21]
	s_cbranch_execz .LBB6_2743
; %bb.2734:                             ;   in Loop: Header=BB6_128 Depth=2
	v_mov_b32_e32 v50, 0
	v_cmp_ne_u32_e32 vcc, 0, v3
	s_and_saveexec_b64 s[90:91], vcc
	s_cbranch_execz .LBB6_2742
; %bb.2735:                             ;   in Loop: Header=BB6_128 Depth=2
	v_and_b32_e32 v8, 0x7fffff, v3
	v_bfe_u32 v3, v3, 23, 8
	v_cmp_gt_u32_e64 s[20:21], s54, v3
	v_sub_u32_e32 v7, 0x79, v3
	v_cmp_eq_u32_e32 vcc, 0, v3
	v_cndmask_b32_e64 v7, 0, v7, s[20:21]
	v_mov_b32_e32 v15, 0x78
	v_or_b32_e32 v14, 0x800000, v8
	v_cndmask_b32_e32 v7, v7, v15, vcc
	v_cndmask_b32_e32 v14, v14, v8, vcc
	v_add_u32_e32 v8, 20, v7
	v_lshlrev_b64 v[18:19], v8, -1
	v_mov_b32_e32 v15, v53
	v_add_u32_e32 v8, 19, v7
	v_bfi_b32 v18, v18, 0, v14
	v_lshlrev_b64 v[27:28], v8, 1
	v_lshrrev_b64 v[14:15], v7, v[14:15]
	v_bfi_b32 v19, v19, 0, 0
	v_cmp_eq_u64_e64 s[20:21], v[18:19], v[27:28]
	v_mov_b32_e32 v19, v15
	v_mov_b32_e32 v18, v14
	s_and_saveexec_b64 s[92:93], s[20:21]
; %bb.2736:                             ;   in Loop: Header=BB6_128 Depth=2
	v_bfe_u32 v8, v14, 20, 1
	v_add_co_u32_e64 v8, s[20:21], v14, v8
	v_add_co_u32_e64 v18, s[20:21], -1, v8
; %bb.2737:                             ;   in Loop: Header=BB6_128 Depth=2
	s_or_b64 exec, exec, s[92:93]
	v_add_u32_e32 v3, 0xffffff81, v3
	v_mov_b32_e32 v8, 0xffffff82
	v_cndmask_b32_e32 v3, v3, v8, vcc
	v_lshrrev_b32_e32 v8, 23, v14
	v_add3_u32 v8, v7, v3, v8
	v_add_u32_e32 v7, 6, v8
	v_and_b32_e32 v3, 0xfffff, v18
	v_add_u32_e32 v14, v3, v14
	v_mov_b32_e32 v15, v53
	v_cmp_ne_u32_e32 vcc, 0, v7
                                        ; implicit-def: $vgpr3
	s_and_saveexec_b64 s[20:21], vcc
	s_xor_b64 s[20:21], exec, s[20:21]
; %bb.2738:                             ;   in Loop: Header=BB6_128 Depth=2
	v_cmp_lt_u64_e32 vcc, s[60:61], v[14:15]
	v_add_u32_e32 v3, 7, v8
	v_cndmask_b32_e32 v3, v7, v3, vcc
	v_cndmask_b32_e64 v7, 0, 1, vcc
	v_lshrrev_b64 v[14:15], v7, v[14:15]
; %bb.2739:                             ;   in Loop: Header=BB6_128 Depth=2
	s_andn2_saveexec_b64 s[20:21], s[20:21]
; %bb.2740:                             ;   in Loop: Header=BB6_128 Depth=2
	v_bfe_u32 v3, v14, 23, 1
; %bb.2741:                             ;   in Loop: Header=BB6_128 Depth=2
	s_or_b64 exec, exec, s[20:21]
	v_lshrrev_b64 v[7:8], 20, v[14:15]
	v_cmp_gt_i32_e32 vcc, 16, v3
	v_cndmask_b32_e32 v8, 0, v8, vcc
	v_cndmask_b32_e32 v7, 7, v7, vcc
	v_cmp_eq_u32_e32 vcc, 0, v3
	v_min_i32_e32 v3, 15, v3
	v_cmp_eq_u64_e64 s[20:21], 0, v[7:8]
	v_lshlrev_b32_e32 v3, 3, v3
	v_and_b32_e32 v3, 0xf8, v3
	v_and_or_b32 v3, v7, 7, v3
	s_and_b64 s[20:21], vcc, s[20:21]
	v_cndmask_b32_e64 v3, v3, 0, s[20:21]
	v_or_b32_e32 v50, v3, v0
.LBB6_2742:                             ;   in Loop: Header=BB6_128 Depth=2
	s_or_b64 exec, exec, s[90:91]
                                        ; implicit-def: $vgpr0
.LBB6_2743:                             ;   in Loop: Header=BB6_128 Depth=2
	s_andn2_saveexec_b64 s[20:21], s[88:89]
; %bb.2744:                             ;   in Loop: Header=BB6_128 Depth=2
	v_or_b32_e32 v50, 0x7e, v0
; %bb.2745:                             ;   in Loop: Header=BB6_128 Depth=2
	s_or_b64 exec, exec, s[20:21]
                                        ; implicit-def: $vgpr3
.LBB6_2746:                             ;   in Loop: Header=BB6_128 Depth=2
	s_andn2_saveexec_b64 s[20:21], s[78:79]
; %bb.2747:                             ;   in Loop: Header=BB6_128 Depth=2
	v_or_b32_sdwa v50, v3, s51 dst_sel:DWORD dst_unused:UNUSED_PAD src0_sel:BYTE_3 src1_sel:DWORD
; %bb.2748:                             ;   in Loop: Header=BB6_128 Depth=2
	s_or_b64 exec, exec, s[20:21]
	v_cmp_lt_u32_e32 vcc, s63, v52
	v_mov_b32_e32 v0, 0
	v_mov_b32_e32 v3, 0
	s_and_saveexec_b64 s[20:21], vcc
	s_cbranch_execz .LBB6_2754
; %bb.2749:                             ;   in Loop: Header=BB6_128 Depth=2
	v_lshrrev_b32_e32 v14, 24, v52
	v_cmp_ne_u32_sdwa s[88:89], v52, s53 src0_sel:BYTE_3 src1_sel:DWORD
	v_bfrev_b32_e32 v3, 1
	s_and_saveexec_b64 s[78:79], s[88:89]
	s_cbranch_execz .LBB6_2753
; %bb.2750:                             ;   in Loop: Header=BB6_128 Depth=2
	v_bfe_u32 v7, v52, 24, 7
	v_cmp_ne_u32_e32 vcc, s51, v7
	v_mov_b32_e32 v3, 0x7f800001
	s_and_saveexec_b64 s[88:89], vcc
	s_cbranch_execz .LBB6_2752
; %bb.2751:                             ;   in Loop: Header=BB6_128 Depth=2
	v_and_b32_e32 v3, 7, v14
	v_lshrrev_b32_e32 v15, 3, v7
	v_cmp_gt_u32_e32 vcc, 8, v7
	v_ffbh_u32_e32 v7, v3
	v_min_u32_e32 v18, 32, v7
	v_subrev_u32_e32 v7, 28, v18
	v_lshlrev_b64 v[7:8], v7, v[14:15]
	v_sub_u32_e32 v8, 29, v18
	v_and_b32_e32 v7, 7, v7
	v_cndmask_b32_e32 v3, v3, v7, vcc
	v_mov_b32_e32 v7, 24
	v_cndmask_b32_e32 v8, v15, v8, vcc
	v_lshlrev_b32_sdwa v7, v7, v52 dst_sel:DWORD dst_unused:UNUSED_PAD src0_sel:DWORD src1_sel:BYTE_3
	v_bfrev_b32_e32 v14, 60
	v_lshlrev_b32_e32 v3, 20, v3
	v_and_b32_e32 v7, 0x80000000, v7
	v_lshl_add_u32 v8, v8, 23, v14
	v_or3_b32 v3, v7, v8, v3
.LBB6_2752:                             ;   in Loop: Header=BB6_128 Depth=2
	s_or_b64 exec, exec, s[88:89]
.LBB6_2753:                             ;   in Loop: Header=BB6_128 Depth=2
	s_or_b64 exec, exec, s[78:79]
.LBB6_2754:                             ;   in Loop: Header=BB6_128 Depth=2
	s_or_b64 exec, exec, s[20:21]
	v_cmp_lt_u32_e32 vcc, s63, v16
	s_and_saveexec_b64 s[20:21], vcc
	s_cbranch_execz .LBB6_2760
; %bb.2755:                             ;   in Loop: Header=BB6_128 Depth=2
	v_lshrrev_b32_e32 v14, 24, v16
	v_cmp_ne_u32_e32 vcc, s53, v14
	v_bfrev_b32_e32 v0, 1
	s_and_saveexec_b64 s[78:79], vcc
	s_cbranch_execz .LBB6_2759
; %bb.2756:                             ;   in Loop: Header=BB6_128 Depth=2
	v_bfe_u32 v7, v16, 24, 7
	v_cmp_ne_u32_e32 vcc, s51, v7
	v_mov_b32_e32 v0, 0x7f800001
	s_and_saveexec_b64 s[88:89], vcc
	s_cbranch_execz .LBB6_2758
; %bb.2757:                             ;   in Loop: Header=BB6_128 Depth=2
	v_and_b32_e32 v0, 7, v14
	v_lshrrev_b32_e32 v15, 3, v7
	v_cmp_gt_u32_e32 vcc, 8, v7
	v_ffbh_u32_e32 v7, v0
	v_min_u32_e32 v18, 32, v7
	v_subrev_u32_e32 v7, 28, v18
	v_lshlrev_b64 v[7:8], v7, v[14:15]
	v_sub_u32_e32 v8, 29, v18
	v_and_b32_e32 v7, 7, v7
	v_cndmask_b32_e32 v8, v15, v8, vcc
	v_cndmask_b32_e32 v0, v0, v7, vcc
	v_lshlrev_b32_e32 v7, 24, v14
	v_bfrev_b32_e32 v14, 60
	v_lshlrev_b32_e32 v0, 20, v0
	v_and_b32_e32 v7, 0x80000000, v7
	v_lshl_add_u32 v8, v8, 23, v14
	v_or3_b32 v0, v7, v8, v0
.LBB6_2758:                             ;   in Loop: Header=BB6_128 Depth=2
	s_or_b64 exec, exec, s[88:89]
.LBB6_2759:                             ;   in Loop: Header=BB6_128 Depth=2
	s_or_b64 exec, exec, s[78:79]
.LBB6_2760:                             ;   in Loop: Header=BB6_128 Depth=2
	s_or_b64 exec, exec, s[20:21]
	v_add_f32_e32 v7, v3, v0
	v_and_b32_e32 v52, 0x7f800000, v7
	v_cmp_ne_u64_e32 vcc, s[56:57], v[52:53]
                                        ; implicit-def: $vgpr3
	s_and_saveexec_b64 s[20:21], vcc
	s_xor_b64 s[78:79], exec, s[20:21]
	s_cbranch_execz .LBB6_2774
; %bb.2761:                             ;   in Loop: Header=BB6_128 Depth=2
	v_and_b32_e32 v52, 0x7fffffff, v7
	v_cmp_gt_u64_e32 vcc, s[58:59], v[52:53]
	v_and_b32_sdwa v0, v7, s53 dst_sel:DWORD dst_unused:UNUSED_PAD src0_sel:BYTE_3 src1_sel:DWORD
                                        ; implicit-def: $vgpr3
	s_and_saveexec_b64 s[20:21], vcc
	s_xor_b64 s[88:89], exec, s[20:21]
	s_cbranch_execz .LBB6_2771
; %bb.2762:                             ;   in Loop: Header=BB6_128 Depth=2
	v_mov_b32_e32 v3, 0
	v_cmp_ne_u32_e32 vcc, 0, v7
	s_and_saveexec_b64 s[90:91], vcc
	s_cbranch_execz .LBB6_2770
; %bb.2763:                             ;   in Loop: Header=BB6_128 Depth=2
	v_bfe_u32 v3, v7, 23, 8
	v_and_b32_e32 v8, 0x7fffff, v7
	v_cmp_gt_u32_e64 s[20:21], s54, v3
	v_sub_u32_e32 v7, 0x79, v3
	v_cmp_eq_u32_e32 vcc, 0, v3
	v_cndmask_b32_e64 v7, 0, v7, s[20:21]
	v_mov_b32_e32 v15, 0x78
	v_or_b32_e32 v14, 0x800000, v8
	v_cndmask_b32_e32 v7, v7, v15, vcc
	v_cndmask_b32_e32 v52, v14, v8, vcc
	v_add_u32_e32 v8, 20, v7
	v_lshlrev_b64 v[14:15], v8, -1
	v_add_u32_e32 v8, 19, v7
	v_lshlrev_b64 v[18:19], v8, 1
	v_bfi_b32 v15, v15, 0, 0
	v_bfi_b32 v14, v14, 0, v52
	v_cmp_eq_u64_e64 s[20:21], v[14:15], v[18:19]
	v_lshrrev_b64 v[14:15], v7, v[52:53]
	v_mov_b32_e32 v19, v15
	v_mov_b32_e32 v18, v14
	s_and_saveexec_b64 s[92:93], s[20:21]
; %bb.2764:                             ;   in Loop: Header=BB6_128 Depth=2
	v_bfe_u32 v8, v14, 20, 1
	v_add_co_u32_e64 v8, s[20:21], v14, v8
	v_add_co_u32_e64 v18, s[20:21], -1, v8
; %bb.2765:                             ;   in Loop: Header=BB6_128 Depth=2
	s_or_b64 exec, exec, s[92:93]
	v_add_u32_e32 v3, 0xffffff81, v3
	v_mov_b32_e32 v8, 0xffffff82
	v_cndmask_b32_e32 v3, v3, v8, vcc
	v_lshrrev_b32_e32 v8, 23, v14
	v_add3_u32 v8, v7, v3, v8
	v_add_u32_e32 v7, 6, v8
	v_and_b32_e32 v3, 0xfffff, v18
	v_add_u32_e32 v52, v3, v14
	v_cmp_ne_u32_e32 vcc, 0, v7
                                        ; implicit-def: $vgpr14_vgpr15
                                        ; implicit-def: $vgpr3
	s_and_saveexec_b64 s[20:21], vcc
	s_xor_b64 s[20:21], exec, s[20:21]
; %bb.2766:                             ;   in Loop: Header=BB6_128 Depth=2
	v_cmp_lt_u64_e32 vcc, s[60:61], v[52:53]
	v_add_u32_e32 v3, 7, v8
	v_cndmask_b32_e32 v3, v7, v3, vcc
	v_cndmask_b32_e64 v7, 0, 1, vcc
	v_lshrrev_b64 v[14:15], v7, v[52:53]
; %bb.2767:                             ;   in Loop: Header=BB6_128 Depth=2
	s_andn2_saveexec_b64 s[20:21], s[20:21]
; %bb.2768:                             ;   in Loop: Header=BB6_128 Depth=2
	v_mov_b32_e32 v14, v52
	v_bfe_u32 v3, v52, 23, 1
	v_mov_b32_e32 v15, v53
; %bb.2769:                             ;   in Loop: Header=BB6_128 Depth=2
	s_or_b64 exec, exec, s[20:21]
	v_lshrrev_b64 v[7:8], 20, v[14:15]
	v_cmp_gt_i32_e32 vcc, 16, v3
	v_cndmask_b32_e32 v8, 0, v8, vcc
	v_cndmask_b32_e32 v7, 7, v7, vcc
	v_cmp_eq_u32_e32 vcc, 0, v3
	v_min_i32_e32 v3, 15, v3
	v_cmp_eq_u64_e64 s[20:21], 0, v[7:8]
	v_lshlrev_b32_e32 v3, 3, v3
	v_and_b32_e32 v3, 0xf8, v3
	v_and_or_b32 v3, v7, 7, v3
	s_and_b64 s[20:21], vcc, s[20:21]
	v_cndmask_b32_e64 v3, v3, 0, s[20:21]
	v_or_b32_e32 v3, v3, v0
.LBB6_2770:                             ;   in Loop: Header=BB6_128 Depth=2
	s_or_b64 exec, exec, s[90:91]
                                        ; implicit-def: $vgpr0
.LBB6_2771:                             ;   in Loop: Header=BB6_128 Depth=2
	s_andn2_saveexec_b64 s[20:21], s[88:89]
; %bb.2772:                             ;   in Loop: Header=BB6_128 Depth=2
	v_or_b32_e32 v3, 0x7e, v0
; %bb.2773:                             ;   in Loop: Header=BB6_128 Depth=2
	s_or_b64 exec, exec, s[20:21]
                                        ; implicit-def: $vgpr7
.LBB6_2774:                             ;   in Loop: Header=BB6_128 Depth=2
	s_andn2_saveexec_b64 s[20:21], s[78:79]
; %bb.2775:                             ;   in Loop: Header=BB6_128 Depth=2
	v_or_b32_sdwa v3, v7, s51 dst_sel:DWORD dst_unused:UNUSED_PAD src0_sel:BYTE_3 src1_sel:DWORD
; %bb.2776:                             ;   in Loop: Header=BB6_128 Depth=2
	s_or_b64 exec, exec, s[20:21]
	buffer_load_dword v0, off, s[0:3], s33 offset:212 ; 4-byte Folded Reload
	v_cmp_ne_u32_e32 vcc, 0, v49
	s_waitcnt vmcnt(0)
	v_lshlrev_b32_e32 v7, 24, v0
	buffer_load_dword v0, off, s[0:3], s33 offset:192 ; 4-byte Folded Reload
	s_waitcnt vmcnt(0)
	v_lshlrev_b32_e32 v8, 16, v0
	buffer_load_dword v0, off, s[0:3], s33 offset:164 ; 4-byte Folded Reload
	s_waitcnt vmcnt(0)
	v_lshl_or_b32 v0, v0, 8, v49
	v_or3_b32 v52, v8, v7, v0
	v_mov_b32_e32 v8, 0
	v_mov_b32_e32 v7, 0
	s_and_saveexec_b64 s[20:21], vcc
	s_cbranch_execz .LBB6_2782
; %bb.2777:                             ;   in Loop: Header=BB6_128 Depth=2
	v_cmp_ne_u32_e32 vcc, s53, v49
	v_bfrev_b32_e32 v7, 1
	s_and_saveexec_b64 s[78:79], vcc
	s_cbranch_execz .LBB6_2781
; %bb.2778:                             ;   in Loop: Header=BB6_128 Depth=2
	v_and_b32_e32 v14, 0x7f, v49
	v_cmp_ne_u32_e32 vcc, s51, v14
	v_mov_b32_e32 v7, 0x7f800001
	s_and_saveexec_b64 s[88:89], vcc
	s_cbranch_execz .LBB6_2780
; %bb.2779:                             ;   in Loop: Header=BB6_128 Depth=2
	v_and_b32_e32 v7, 7, v49
	v_ffbh_u32_e32 v7, v7
	v_min_u32_e32 v7, 32, v7
	v_lshrrev_b32_e32 v15, 3, v14
	v_cmp_gt_u32_e32 vcc, 8, v14
	v_subrev_u32_e32 v14, 28, v7
	v_sub_u32_e32 v7, 29, v7
	v_cndmask_b32_e32 v14, 0, v14, vcc
	v_cndmask_b32_e32 v7, v15, v7, vcc
	v_lshlrev_b64 v[14:15], v14, v[52:53]
	v_lshlrev_b32_e32 v15, 24, v52
	v_lshlrev_b32_e32 v14, 20, v14
	v_bfrev_b32_e32 v18, 60
	v_and_b32_e32 v14, 0x700000, v14
	v_and_b32_e32 v15, 0x80000000, v15
	v_lshl_add_u32 v7, v7, 23, v18
	v_or3_b32 v7, v15, v7, v14
.LBB6_2780:                             ;   in Loop: Header=BB6_128 Depth=2
	s_or_b64 exec, exec, s[88:89]
.LBB6_2781:                             ;   in Loop: Header=BB6_128 Depth=2
	s_or_b64 exec, exec, s[78:79]
.LBB6_2782:                             ;   in Loop: Header=BB6_128 Depth=2
	s_or_b64 exec, exec, s[20:21]
	v_cmp_ne_u16_sdwa s[78:79], v17, v53 src0_sel:BYTE_0 src1_sel:DWORD
	s_and_saveexec_b64 s[20:21], s[78:79]
	s_cbranch_execz .LBB6_2788
; %bb.2783:                             ;   in Loop: Header=BB6_128 Depth=2
	v_cmp_ne_u16_sdwa s[88:89], v17, s53 src0_sel:BYTE_0 src1_sel:DWORD
	v_bfrev_b32_e32 v8, 1
	s_and_saveexec_b64 s[78:79], s[88:89]
	s_cbranch_execz .LBB6_2787
; %bb.2784:                             ;   in Loop: Header=BB6_128 Depth=2
	v_and_b32_e32 v14, 0x7f, v17
	v_cmp_ne_u32_e32 vcc, s51, v14
	v_mov_b32_e32 v8, 0x7f800001
	s_and_saveexec_b64 s[88:89], vcc
	s_cbranch_execz .LBB6_2786
; %bb.2785:                             ;   in Loop: Header=BB6_128 Depth=2
	v_and_b32_e32 v8, 7, v17
	v_ffbh_u32_e32 v8, v8
	v_min_u32_e32 v8, 32, v8
	v_lshrrev_b32_e32 v15, 3, v14
	v_cmp_gt_u32_e32 vcc, 8, v14
	v_subrev_u32_e32 v14, 28, v8
	v_mov_b32_e32 v18, v17
	v_mov_b32_e32 v19, v53
	v_sub_u32_e32 v8, 29, v8
	v_cndmask_b32_e32 v14, 0, v14, vcc
	v_cndmask_b32_e32 v8, v15, v8, vcc
	v_lshlrev_b64 v[14:15], v14, v[18:19]
	v_lshlrev_b32_e32 v15, 24, v18
	v_lshlrev_b32_e32 v14, 20, v14
	v_bfrev_b32_e32 v18, 60
	v_and_b32_e32 v14, 0x700000, v14
	v_and_b32_e32 v15, 0x80000000, v15
	v_lshl_add_u32 v8, v8, 23, v18
	v_or3_b32 v8, v15, v8, v14
.LBB6_2786:                             ;   in Loop: Header=BB6_128 Depth=2
	s_or_b64 exec, exec, s[88:89]
.LBB6_2787:                             ;   in Loop: Header=BB6_128 Depth=2
	s_or_b64 exec, exec, s[78:79]
.LBB6_2788:                             ;   in Loop: Header=BB6_128 Depth=2
	s_or_b64 exec, exec, s[20:21]
	v_add_f32_e32 v8, v7, v8
	v_and_b32_e32 v14, 0x7f800000, v8
	v_mov_b32_e32 v15, v53
	v_cmp_ne_u64_e32 vcc, s[56:57], v[14:15]
                                        ; implicit-def: $vgpr49
	s_and_saveexec_b64 s[20:21], vcc
	s_xor_b64 s[78:79], exec, s[20:21]
	s_cbranch_execz .LBB6_2802
; %bb.2789:                             ;   in Loop: Header=BB6_128 Depth=2
	v_and_b32_e32 v14, 0x7fffffff, v8
	v_mov_b32_e32 v15, v53
	v_cmp_gt_u64_e32 vcc, s[58:59], v[14:15]
	v_and_b32_sdwa v7, v8, s53 dst_sel:DWORD dst_unused:UNUSED_PAD src0_sel:BYTE_3 src1_sel:DWORD
                                        ; implicit-def: $vgpr49
	s_and_saveexec_b64 s[20:21], vcc
	s_xor_b64 s[88:89], exec, s[20:21]
	s_cbranch_execz .LBB6_2799
; %bb.2790:                             ;   in Loop: Header=BB6_128 Depth=2
	v_mov_b32_e32 v49, 0
	v_cmp_ne_u32_e32 vcc, 0, v8
	s_and_saveexec_b64 s[90:91], vcc
	s_cbranch_execz .LBB6_2798
; %bb.2791:                             ;   in Loop: Header=BB6_128 Depth=2
	v_and_b32_e32 v14, 0x7fffff, v8
	v_bfe_u32 v8, v8, 23, 8
	v_cmp_gt_u32_e64 s[20:21], s54, v8
	v_sub_u32_e32 v15, 0x79, v8
	v_cmp_eq_u32_e32 vcc, 0, v8
	v_cndmask_b32_e64 v15, 0, v15, s[20:21]
	v_mov_b32_e32 v19, 0x78
	v_or_b32_e32 v18, 0x800000, v14
	v_cndmask_b32_e32 v25, v15, v19, vcc
	v_cndmask_b32_e32 v14, v18, v14, vcc
	v_add_u32_e32 v18, 20, v25
	v_lshlrev_b64 v[18:19], v18, -1
	v_mov_b32_e32 v15, v53
	v_add_u32_e32 v27, 19, v25
	v_bfi_b32 v18, v18, 0, v14
	v_lshlrev_b64 v[27:28], v27, 1
	v_lshrrev_b64 v[14:15], v25, v[14:15]
	v_bfi_b32 v19, v19, 0, 0
	v_cmp_eq_u64_e64 s[20:21], v[18:19], v[27:28]
	v_mov_b32_e32 v19, v15
	v_mov_b32_e32 v18, v14
	s_and_saveexec_b64 s[92:93], s[20:21]
; %bb.2792:                             ;   in Loop: Header=BB6_128 Depth=2
	v_bfe_u32 v15, v14, 20, 1
	v_add_co_u32_e64 v15, s[20:21], v14, v15
	v_add_co_u32_e64 v18, s[20:21], -1, v15
; %bb.2793:                             ;   in Loop: Header=BB6_128 Depth=2
	s_or_b64 exec, exec, s[92:93]
	v_add_u32_e32 v8, 0xffffff81, v8
	v_mov_b32_e32 v15, 0xffffff82
	v_cndmask_b32_e32 v8, v8, v15, vcc
	v_lshrrev_b32_e32 v15, 23, v14
	v_add3_u32 v25, v25, v8, v15
	v_add_u32_e32 v19, 6, v25
	v_and_b32_e32 v8, 0xfffff, v18
	v_add_u32_e32 v14, v8, v14
	v_mov_b32_e32 v15, v53
	v_cmp_ne_u32_e32 vcc, 0, v19
                                        ; implicit-def: $vgpr8
	s_and_saveexec_b64 s[20:21], vcc
	s_xor_b64 s[20:21], exec, s[20:21]
; %bb.2794:                             ;   in Loop: Header=BB6_128 Depth=2
	v_cmp_lt_u64_e32 vcc, s[60:61], v[14:15]
	v_add_u32_e32 v8, 7, v25
	v_cndmask_b32_e64 v18, 0, 1, vcc
	v_lshrrev_b64 v[14:15], v18, v[14:15]
	v_cndmask_b32_e32 v8, v19, v8, vcc
; %bb.2795:                             ;   in Loop: Header=BB6_128 Depth=2
	s_andn2_saveexec_b64 s[20:21], s[20:21]
; %bb.2796:                             ;   in Loop: Header=BB6_128 Depth=2
	v_bfe_u32 v8, v14, 23, 1
; %bb.2797:                             ;   in Loop: Header=BB6_128 Depth=2
	s_or_b64 exec, exec, s[20:21]
	v_lshrrev_b64 v[14:15], 20, v[14:15]
	v_cmp_gt_i32_e32 vcc, 16, v8
	v_cndmask_b32_e32 v15, 0, v15, vcc
	v_cndmask_b32_e32 v14, 7, v14, vcc
	v_cmp_eq_u32_e32 vcc, 0, v8
	v_min_i32_e32 v8, 15, v8
	v_cmp_eq_u64_e64 s[20:21], 0, v[14:15]
	v_lshlrev_b32_e32 v8, 3, v8
	v_and_b32_e32 v8, 0xf8, v8
	v_and_or_b32 v8, v14, 7, v8
	s_and_b64 s[20:21], vcc, s[20:21]
	v_cndmask_b32_e64 v8, v8, 0, s[20:21]
	v_or_b32_e32 v49, v8, v7
.LBB6_2798:                             ;   in Loop: Header=BB6_128 Depth=2
	s_or_b64 exec, exec, s[90:91]
                                        ; implicit-def: $vgpr7
.LBB6_2799:                             ;   in Loop: Header=BB6_128 Depth=2
	s_andn2_saveexec_b64 s[20:21], s[88:89]
; %bb.2800:                             ;   in Loop: Header=BB6_128 Depth=2
	v_or_b32_e32 v49, 0x7e, v7
; %bb.2801:                             ;   in Loop: Header=BB6_128 Depth=2
	s_or_b64 exec, exec, s[20:21]
                                        ; implicit-def: $vgpr8
.LBB6_2802:                             ;   in Loop: Header=BB6_128 Depth=2
	s_andn2_saveexec_b64 s[20:21], s[78:79]
; %bb.2803:                             ;   in Loop: Header=BB6_128 Depth=2
	v_or_b32_sdwa v49, v8, s51 dst_sel:DWORD dst_unused:UNUSED_PAD src0_sel:BYTE_3 src1_sel:DWORD
; %bb.2804:                             ;   in Loop: Header=BB6_128 Depth=2
	s_or_b64 exec, exec, s[20:21]
	v_lshrrev_b16_e32 v14, 8, v0
	v_cmp_ne_u16_e32 vcc, 0, v14
	v_mov_b32_e32 v7, 0
	v_mov_b32_e32 v8, 0
	s_and_saveexec_b64 s[20:21], vcc
	s_cbranch_execz .LBB6_2810
; %bb.2805:                             ;   in Loop: Header=BB6_128 Depth=2
	v_cmp_ne_u16_e32 vcc, s53, v14
	v_bfrev_b32_e32 v8, 1
	s_and_saveexec_b64 s[78:79], vcc
	s_cbranch_execz .LBB6_2809
; %bb.2806:                             ;   in Loop: Header=BB6_128 Depth=2
	v_and_b32_e32 v15, 0x7f, v14
	v_cmp_ne_u32_e32 vcc, s51, v15
	v_mov_b32_e32 v8, 0x7f800001
	s_and_saveexec_b64 s[88:89], vcc
	s_cbranch_execz .LBB6_2808
; %bb.2807:                             ;   in Loop: Header=BB6_128 Depth=2
	v_and_b32_e32 v8, 7, v14
	v_lshrrev_b32_e32 v18, 3, v15
	v_cmp_gt_u32_e32 vcc, 8, v15
	v_ffbh_u32_e32 v15, v8
	v_min_u32_e32 v19, 32, v15
	v_subrev_u32_e32 v15, 28, v19
	v_lshlrev_b64 v[14:15], v15, v[14:15]
	v_sub_u32_e32 v15, 29, v19
	v_and_b32_e32 v14, 7, v14
	v_cndmask_b32_e32 v15, v18, v15, vcc
	v_cndmask_b32_e32 v8, v8, v14, vcc
	v_lshlrev_b32_e32 v0, 16, v0
	v_bfrev_b32_e32 v14, 60
	v_lshlrev_b32_e32 v8, 20, v8
	v_and_b32_e32 v0, 0x80000000, v0
	v_lshl_add_u32 v14, v15, 23, v14
	v_or3_b32 v8, v0, v14, v8
.LBB6_2808:                             ;   in Loop: Header=BB6_128 Depth=2
	s_or_b64 exec, exec, s[88:89]
.LBB6_2809:                             ;   in Loop: Header=BB6_128 Depth=2
	s_or_b64 exec, exec, s[78:79]
.LBB6_2810:                             ;   in Loop: Header=BB6_128 Depth=2
	s_or_b64 exec, exec, s[20:21]
	v_lshrrev_b16_e32 v14, 8, v17
	v_cmp_ne_u16_e32 vcc, 0, v14
	s_and_saveexec_b64 s[20:21], vcc
	s_cbranch_execz .LBB6_2816
; %bb.2811:                             ;   in Loop: Header=BB6_128 Depth=2
	v_cmp_ne_u16_e32 vcc, s53, v14
	v_bfrev_b32_e32 v7, 1
	s_and_saveexec_b64 s[78:79], vcc
	s_cbranch_execz .LBB6_2815
; %bb.2812:                             ;   in Loop: Header=BB6_128 Depth=2
	v_and_b32_e32 v0, 0x7f, v14
	v_cmp_ne_u32_e32 vcc, s51, v0
	v_mov_b32_e32 v7, 0x7f800001
	s_and_saveexec_b64 s[88:89], vcc
	s_cbranch_execz .LBB6_2814
; %bb.2813:                             ;   in Loop: Header=BB6_128 Depth=2
	v_and_b32_e32 v7, 7, v14
	v_lshrrev_b32_e32 v18, 3, v0
	v_cmp_gt_u32_e32 vcc, 8, v0
	v_ffbh_u32_e32 v0, v7
	v_min_u32_e32 v0, 32, v0
	v_subrev_u32_e32 v15, 28, v0
	v_lshlrev_b64 v[14:15], v15, v[14:15]
	v_sub_u32_e32 v0, 29, v0
	v_and_b32_e32 v14, 7, v14
	v_cndmask_b32_e32 v0, v18, v0, vcc
	v_cndmask_b32_e32 v7, v7, v14, vcc
	v_lshlrev_b32_e32 v14, 16, v17
	v_bfrev_b32_e32 v15, 60
	v_lshlrev_b32_e32 v7, 20, v7
	v_and_b32_e32 v14, 0x80000000, v14
	v_lshl_add_u32 v0, v0, 23, v15
	v_or3_b32 v7, v14, v0, v7
.LBB6_2814:                             ;   in Loop: Header=BB6_128 Depth=2
	s_or_b64 exec, exec, s[88:89]
.LBB6_2815:                             ;   in Loop: Header=BB6_128 Depth=2
	s_or_b64 exec, exec, s[78:79]
.LBB6_2816:                             ;   in Loop: Header=BB6_128 Depth=2
	s_or_b64 exec, exec, s[20:21]
	v_add_f32_e32 v7, v8, v7
	v_and_b32_e32 v14, 0x7f800000, v7
	v_mov_b32_e32 v15, v53
	v_cmp_ne_u64_e32 vcc, s[56:57], v[14:15]
                                        ; implicit-def: $vgpr54
	s_and_saveexec_b64 s[20:21], vcc
	s_xor_b64 s[78:79], exec, s[20:21]
	s_cbranch_execz .LBB6_2830
; %bb.2817:                             ;   in Loop: Header=BB6_128 Depth=2
	v_and_b32_e32 v14, 0x7fffffff, v7
	v_mov_b32_e32 v15, v53
	v_cmp_gt_u64_e32 vcc, s[58:59], v[14:15]
	v_and_b32_sdwa v0, v7, s53 dst_sel:DWORD dst_unused:UNUSED_PAD src0_sel:BYTE_3 src1_sel:DWORD
                                        ; implicit-def: $vgpr54
	s_and_saveexec_b64 s[20:21], vcc
	s_xor_b64 s[88:89], exec, s[20:21]
	s_cbranch_execz .LBB6_2827
; %bb.2818:                             ;   in Loop: Header=BB6_128 Depth=2
	v_mov_b32_e32 v54, 0
	v_cmp_ne_u32_e32 vcc, 0, v7
	s_and_saveexec_b64 s[90:91], vcc
	s_cbranch_execz .LBB6_2826
; %bb.2819:                             ;   in Loop: Header=BB6_128 Depth=2
	v_and_b32_e32 v14, 0x7fffff, v7
	v_bfe_u32 v7, v7, 23, 8
	v_cmp_gt_u32_e64 s[20:21], s54, v7
	v_sub_u32_e32 v8, 0x79, v7
	v_cmp_eq_u32_e32 vcc, 0, v7
	v_cndmask_b32_e64 v8, 0, v8, s[20:21]
	v_mov_b32_e32 v18, 0x78
	v_cndmask_b32_e32 v8, v8, v18, vcc
	v_add_u32_e32 v18, 20, v8
	v_or_b32_e32 v15, 0x800000, v14
	v_lshlrev_b64 v[18:19], v18, -1
	v_cndmask_b32_e32 v14, v15, v14, vcc
	v_mov_b32_e32 v15, v53
	v_add_u32_e32 v25, 19, v8
	v_bfi_b32 v18, v18, 0, v14
	v_lshlrev_b64 v[27:28], v25, 1
	v_lshrrev_b64 v[14:15], v8, v[14:15]
	v_bfi_b32 v19, v19, 0, 0
	v_cmp_eq_u64_e64 s[20:21], v[18:19], v[27:28]
	v_mov_b32_e32 v19, v15
	v_mov_b32_e32 v18, v14
	s_and_saveexec_b64 s[92:93], s[20:21]
; %bb.2820:                             ;   in Loop: Header=BB6_128 Depth=2
	v_bfe_u32 v15, v14, 20, 1
	v_add_co_u32_e64 v15, s[20:21], v14, v15
	v_add_co_u32_e64 v18, s[20:21], -1, v15
; %bb.2821:                             ;   in Loop: Header=BB6_128 Depth=2
	s_or_b64 exec, exec, s[92:93]
	v_add_u32_e32 v7, 0xffffff81, v7
	v_mov_b32_e32 v15, 0xffffff82
	v_cndmask_b32_e32 v7, v7, v15, vcc
	v_lshrrev_b32_e32 v15, 23, v14
	v_add3_u32 v19, v8, v7, v15
	v_add_u32_e32 v8, 6, v19
	v_and_b32_e32 v7, 0xfffff, v18
	v_add_u32_e32 v14, v7, v14
	v_mov_b32_e32 v15, v53
	v_cmp_ne_u32_e32 vcc, 0, v8
                                        ; implicit-def: $vgpr7
	s_and_saveexec_b64 s[20:21], vcc
	s_xor_b64 s[20:21], exec, s[20:21]
; %bb.2822:                             ;   in Loop: Header=BB6_128 Depth=2
	v_cmp_lt_u64_e32 vcc, s[60:61], v[14:15]
	v_add_u32_e32 v7, 7, v19
	v_cndmask_b32_e32 v7, v8, v7, vcc
	v_cndmask_b32_e64 v8, 0, 1, vcc
	v_lshrrev_b64 v[14:15], v8, v[14:15]
; %bb.2823:                             ;   in Loop: Header=BB6_128 Depth=2
	s_andn2_saveexec_b64 s[20:21], s[20:21]
; %bb.2824:                             ;   in Loop: Header=BB6_128 Depth=2
	v_bfe_u32 v7, v14, 23, 1
; %bb.2825:                             ;   in Loop: Header=BB6_128 Depth=2
	s_or_b64 exec, exec, s[20:21]
	v_lshrrev_b64 v[14:15], 20, v[14:15]
	v_cmp_gt_i32_e32 vcc, 16, v7
	v_cndmask_b32_e32 v15, 0, v15, vcc
	v_cndmask_b32_e32 v14, 7, v14, vcc
	v_cmp_eq_u32_e32 vcc, 0, v7
	v_min_i32_e32 v7, 15, v7
	v_cmp_eq_u64_e64 s[20:21], 0, v[14:15]
	v_lshlrev_b32_e32 v7, 3, v7
	v_and_b32_e32 v7, 0xf8, v7
	v_and_or_b32 v7, v14, 7, v7
	s_and_b64 s[20:21], vcc, s[20:21]
	v_cndmask_b32_e64 v7, v7, 0, s[20:21]
	v_or_b32_e32 v54, v7, v0
.LBB6_2826:                             ;   in Loop: Header=BB6_128 Depth=2
	s_or_b64 exec, exec, s[90:91]
                                        ; implicit-def: $vgpr0
.LBB6_2827:                             ;   in Loop: Header=BB6_128 Depth=2
	s_andn2_saveexec_b64 s[20:21], s[88:89]
; %bb.2828:                             ;   in Loop: Header=BB6_128 Depth=2
	v_or_b32_e32 v54, 0x7e, v0
; %bb.2829:                             ;   in Loop: Header=BB6_128 Depth=2
	s_or_b64 exec, exec, s[20:21]
                                        ; implicit-def: $vgpr7
.LBB6_2830:                             ;   in Loop: Header=BB6_128 Depth=2
	s_andn2_saveexec_b64 s[20:21], s[78:79]
; %bb.2831:                             ;   in Loop: Header=BB6_128 Depth=2
	v_or_b32_sdwa v54, v7, s51 dst_sel:DWORD dst_unused:UNUSED_PAD src0_sel:BYTE_3 src1_sel:DWORD
; %bb.2832:                             ;   in Loop: Header=BB6_128 Depth=2
	s_or_b64 exec, exec, s[20:21]
	v_lshrrev_b32_e32 v14, 16, v52
	v_cmp_ne_u16_sdwa s[78:79], v14, v53 src0_sel:BYTE_0 src1_sel:DWORD
	v_mov_b32_e32 v0, 0
	v_mov_b32_e32 v7, 0
	s_and_saveexec_b64 s[20:21], s[78:79]
	s_cbranch_execz .LBB6_2838
; %bb.2833:                             ;   in Loop: Header=BB6_128 Depth=2
	v_cmp_ne_u16_sdwa s[88:89], v14, s53 src0_sel:BYTE_0 src1_sel:DWORD
	v_bfrev_b32_e32 v7, 1
	s_and_saveexec_b64 s[78:79], s[88:89]
	s_cbranch_execz .LBB6_2837
; %bb.2834:                             ;   in Loop: Header=BB6_128 Depth=2
	v_bfe_u32 v8, v52, 16, 7
	v_cmp_ne_u32_e32 vcc, s51, v8
	v_mov_b32_e32 v7, 0x7f800001
	s_and_saveexec_b64 s[88:89], vcc
	s_cbranch_execz .LBB6_2836
; %bb.2835:                             ;   in Loop: Header=BB6_128 Depth=2
	v_and_b32_e32 v15, 7, v14
	v_ffbh_u32_e32 v7, v15
	v_min_u32_e32 v19, 32, v7
	v_subrev_u32_e32 v7, 28, v19
	v_lshrrev_b32_e32 v18, 3, v8
	v_cmp_gt_u32_e32 vcc, 8, v8
	v_lshlrev_b64 v[7:8], v7, v[14:15]
	v_sub_u32_e32 v8, 29, v19
	v_and_b32_e32 v7, 7, v7
	v_cndmask_b32_e32 v8, v18, v8, vcc
	v_cndmask_b32_e32 v7, v15, v7, vcc
	v_lshlrev_b32_e32 v14, 24, v14
	v_bfrev_b32_e32 v15, 60
	v_lshlrev_b32_e32 v7, 20, v7
	v_and_b32_e32 v14, 0x80000000, v14
	v_lshl_add_u32 v8, v8, 23, v15
	v_or3_b32 v7, v14, v8, v7
.LBB6_2836:                             ;   in Loop: Header=BB6_128 Depth=2
	s_or_b64 exec, exec, s[88:89]
.LBB6_2837:                             ;   in Loop: Header=BB6_128 Depth=2
	s_or_b64 exec, exec, s[78:79]
.LBB6_2838:                             ;   in Loop: Header=BB6_128 Depth=2
	s_or_b64 exec, exec, s[20:21]
	v_lshrrev_b32_e32 v14, 16, v17
	v_cmp_ne_u16_sdwa s[78:79], v14, v53 src0_sel:BYTE_0 src1_sel:DWORD
	s_and_saveexec_b64 s[20:21], s[78:79]
	s_cbranch_execz .LBB6_2844
; %bb.2839:                             ;   in Loop: Header=BB6_128 Depth=2
	v_cmp_ne_u16_sdwa s[88:89], v14, s53 src0_sel:BYTE_0 src1_sel:DWORD
	v_bfrev_b32_e32 v0, 1
	s_and_saveexec_b64 s[78:79], s[88:89]
	s_cbranch_execz .LBB6_2843
; %bb.2840:                             ;   in Loop: Header=BB6_128 Depth=2
	v_bfe_u32 v8, v17, 16, 7
	v_cmp_ne_u32_e32 vcc, s51, v8
	v_mov_b32_e32 v0, 0x7f800001
	s_and_saveexec_b64 s[88:89], vcc
	s_cbranch_execz .LBB6_2842
; %bb.2841:                             ;   in Loop: Header=BB6_128 Depth=2
	v_and_b32_e32 v0, 7, v14
	v_lshrrev_b32_e32 v18, 3, v8
	v_cmp_gt_u32_e32 vcc, 8, v8
	v_ffbh_u32_e32 v8, v0
	v_min_u32_e32 v8, 32, v8
	v_subrev_u32_e32 v15, 28, v8
	v_lshlrev_b64 v[14:15], v15, v[14:15]
	v_sub_u32_e32 v8, 29, v8
	v_and_b32_e32 v14, 7, v14
	v_cndmask_b32_e32 v8, v18, v8, vcc
	v_cndmask_b32_e32 v0, v0, v14, vcc
	v_lshlrev_b32_e32 v14, 8, v17
	v_bfrev_b32_e32 v15, 60
	v_lshlrev_b32_e32 v0, 20, v0
	v_and_b32_e32 v14, 0x80000000, v14
	v_lshl_add_u32 v8, v8, 23, v15
	v_or3_b32 v0, v14, v8, v0
.LBB6_2842:                             ;   in Loop: Header=BB6_128 Depth=2
	s_or_b64 exec, exec, s[88:89]
.LBB6_2843:                             ;   in Loop: Header=BB6_128 Depth=2
	s_or_b64 exec, exec, s[78:79]
.LBB6_2844:                             ;   in Loop: Header=BB6_128 Depth=2
	s_or_b64 exec, exec, s[20:21]
	v_add_f32_e32 v7, v7, v0
	v_and_b32_e32 v14, 0x7f800000, v7
	v_mov_b32_e32 v15, v53
	v_cmp_ne_u64_e32 vcc, s[56:57], v[14:15]
                                        ; implicit-def: $vgpr18
	s_and_saveexec_b64 s[20:21], vcc
	s_xor_b64 s[78:79], exec, s[20:21]
	s_cbranch_execz .LBB6_2858
; %bb.2845:                             ;   in Loop: Header=BB6_128 Depth=2
	v_and_b32_e32 v14, 0x7fffffff, v7
	v_mov_b32_e32 v15, v53
	v_cmp_gt_u64_e32 vcc, s[58:59], v[14:15]
	v_and_b32_sdwa v0, v7, s53 dst_sel:DWORD dst_unused:UNUSED_PAD src0_sel:BYTE_3 src1_sel:DWORD
                                        ; implicit-def: $vgpr18
	s_and_saveexec_b64 s[20:21], vcc
	s_xor_b64 s[88:89], exec, s[20:21]
	s_cbranch_execz .LBB6_2855
; %bb.2846:                             ;   in Loop: Header=BB6_128 Depth=2
	v_mov_b32_e32 v18, 0
	v_cmp_ne_u32_e32 vcc, 0, v7
	s_and_saveexec_b64 s[90:91], vcc
	s_cbranch_execz .LBB6_2854
; %bb.2847:                             ;   in Loop: Header=BB6_128 Depth=2
	v_and_b32_e32 v14, 0x7fffff, v7
	v_bfe_u32 v7, v7, 23, 8
	v_cmp_gt_u32_e64 s[20:21], s54, v7
	v_sub_u32_e32 v8, 0x79, v7
	v_cmp_eq_u32_e32 vcc, 0, v7
	v_cndmask_b32_e64 v8, 0, v8, s[20:21]
	v_mov_b32_e32 v18, 0x78
	v_cndmask_b32_e32 v8, v8, v18, vcc
	v_add_u32_e32 v18, 20, v8
	v_or_b32_e32 v15, 0x800000, v14
	v_lshlrev_b64 v[18:19], v18, -1
	v_cndmask_b32_e32 v14, v15, v14, vcc
	v_mov_b32_e32 v15, v53
	v_add_u32_e32 v25, 19, v8
	v_bfi_b32 v18, v18, 0, v14
	v_lshlrev_b64 v[27:28], v25, 1
	v_lshrrev_b64 v[14:15], v8, v[14:15]
	v_bfi_b32 v19, v19, 0, 0
	v_cmp_eq_u64_e64 s[20:21], v[18:19], v[27:28]
	v_mov_b32_e32 v19, v15
	v_mov_b32_e32 v18, v14
	s_and_saveexec_b64 s[92:93], s[20:21]
; %bb.2848:                             ;   in Loop: Header=BB6_128 Depth=2
	v_bfe_u32 v15, v14, 20, 1
	v_add_co_u32_e64 v15, s[20:21], v14, v15
	v_add_co_u32_e64 v18, s[20:21], -1, v15
; %bb.2849:                             ;   in Loop: Header=BB6_128 Depth=2
	s_or_b64 exec, exec, s[92:93]
	v_add_u32_e32 v7, 0xffffff81, v7
	v_mov_b32_e32 v15, 0xffffff82
	v_cndmask_b32_e32 v7, v7, v15, vcc
	v_lshrrev_b32_e32 v15, 23, v14
	v_add3_u32 v19, v8, v7, v15
	v_add_u32_e32 v8, 6, v19
	v_and_b32_e32 v7, 0xfffff, v18
	v_add_u32_e32 v14, v7, v14
	v_mov_b32_e32 v15, v53
	v_cmp_ne_u32_e32 vcc, 0, v8
                                        ; implicit-def: $vgpr7
	s_and_saveexec_b64 s[20:21], vcc
	s_xor_b64 s[20:21], exec, s[20:21]
; %bb.2850:                             ;   in Loop: Header=BB6_128 Depth=2
	v_cmp_lt_u64_e32 vcc, s[60:61], v[14:15]
	v_add_u32_e32 v7, 7, v19
	v_cndmask_b32_e32 v7, v8, v7, vcc
	v_cndmask_b32_e64 v8, 0, 1, vcc
	v_lshrrev_b64 v[14:15], v8, v[14:15]
; %bb.2851:                             ;   in Loop: Header=BB6_128 Depth=2
	s_andn2_saveexec_b64 s[20:21], s[20:21]
; %bb.2852:                             ;   in Loop: Header=BB6_128 Depth=2
	v_bfe_u32 v7, v14, 23, 1
; %bb.2853:                             ;   in Loop: Header=BB6_128 Depth=2
	s_or_b64 exec, exec, s[20:21]
	v_lshrrev_b64 v[14:15], 20, v[14:15]
	v_cmp_gt_i32_e32 vcc, 16, v7
	v_cndmask_b32_e32 v15, 0, v15, vcc
	v_cndmask_b32_e32 v14, 7, v14, vcc
	v_cmp_eq_u32_e32 vcc, 0, v7
	v_min_i32_e32 v7, 15, v7
	v_cmp_eq_u64_e64 s[20:21], 0, v[14:15]
	v_lshlrev_b32_e32 v7, 3, v7
	v_and_b32_e32 v7, 0xf8, v7
	v_and_or_b32 v7, v14, 7, v7
	s_and_b64 s[20:21], vcc, s[20:21]
	v_cndmask_b32_e64 v7, v7, 0, s[20:21]
	v_or_b32_e32 v18, v7, v0
.LBB6_2854:                             ;   in Loop: Header=BB6_128 Depth=2
	s_or_b64 exec, exec, s[90:91]
                                        ; implicit-def: $vgpr0
.LBB6_2855:                             ;   in Loop: Header=BB6_128 Depth=2
	s_andn2_saveexec_b64 s[20:21], s[88:89]
; %bb.2856:                             ;   in Loop: Header=BB6_128 Depth=2
	v_or_b32_e32 v18, 0x7e, v0
; %bb.2857:                             ;   in Loop: Header=BB6_128 Depth=2
	s_or_b64 exec, exec, s[20:21]
                                        ; implicit-def: $vgpr7
.LBB6_2858:                             ;   in Loop: Header=BB6_128 Depth=2
	s_andn2_saveexec_b64 s[20:21], s[78:79]
; %bb.2859:                             ;   in Loop: Header=BB6_128 Depth=2
	v_or_b32_sdwa v18, v7, s51 dst_sel:DWORD dst_unused:UNUSED_PAD src0_sel:BYTE_3 src1_sel:DWORD
; %bb.2860:                             ;   in Loop: Header=BB6_128 Depth=2
	s_or_b64 exec, exec, s[20:21]
	v_cmp_lt_u32_e32 vcc, s63, v52
	v_mov_b32_e32 v0, 0
	v_mov_b32_e32 v7, 0
	s_and_saveexec_b64 s[20:21], vcc
	s_cbranch_execz .LBB6_2866
; %bb.2861:                             ;   in Loop: Header=BB6_128 Depth=2
	v_lshrrev_b32_e32 v14, 24, v52
	v_cmp_ne_u32_sdwa s[88:89], v52, s53 src0_sel:BYTE_3 src1_sel:DWORD
	v_bfrev_b32_e32 v7, 1
	s_and_saveexec_b64 s[78:79], s[88:89]
	s_cbranch_execz .LBB6_2865
; %bb.2862:                             ;   in Loop: Header=BB6_128 Depth=2
	v_bfe_u32 v8, v52, 24, 7
	v_cmp_ne_u32_e32 vcc, s51, v8
	v_mov_b32_e32 v7, 0x7f800001
	s_and_saveexec_b64 s[88:89], vcc
	s_cbranch_execz .LBB6_2864
; %bb.2863:                             ;   in Loop: Header=BB6_128 Depth=2
	v_and_b32_e32 v15, 7, v14
	v_ffbh_u32_e32 v7, v15
	v_min_u32_e32 v25, 32, v7
	v_subrev_u32_e32 v7, 28, v25
	v_lshrrev_b32_e32 v19, 3, v8
	v_cmp_gt_u32_e32 vcc, 8, v8
	v_lshlrev_b64 v[7:8], v7, v[14:15]
	v_sub_u32_e32 v8, 29, v25
	v_and_b32_e32 v7, 7, v7
	v_mov_b32_e32 v14, 24
	v_cndmask_b32_e32 v8, v19, v8, vcc
	v_cndmask_b32_e32 v7, v15, v7, vcc
	v_lshlrev_b32_sdwa v14, v14, v52 dst_sel:DWORD dst_unused:UNUSED_PAD src0_sel:DWORD src1_sel:BYTE_3
	v_bfrev_b32_e32 v15, 60
	v_lshlrev_b32_e32 v7, 20, v7
	v_and_b32_e32 v14, 0x80000000, v14
	v_lshl_add_u32 v8, v8, 23, v15
	v_or3_b32 v7, v14, v8, v7
.LBB6_2864:                             ;   in Loop: Header=BB6_128 Depth=2
	s_or_b64 exec, exec, s[88:89]
.LBB6_2865:                             ;   in Loop: Header=BB6_128 Depth=2
	s_or_b64 exec, exec, s[78:79]
.LBB6_2866:                             ;   in Loop: Header=BB6_128 Depth=2
	s_or_b64 exec, exec, s[20:21]
	v_cmp_lt_u64_e32 vcc, s[62:63], v[16:17]
	s_and_saveexec_b64 s[20:21], vcc
	s_cbranch_execz .LBB6_2872
; %bb.2867:                             ;   in Loop: Header=BB6_128 Depth=2
	v_lshrrev_b32_e32 v14, 24, v17
	v_cmp_ne_u32_e32 vcc, s53, v14
	v_bfrev_b32_e32 v0, 1
	s_and_saveexec_b64 s[78:79], vcc
	s_cbranch_execz .LBB6_2871
; %bb.2868:                             ;   in Loop: Header=BB6_128 Depth=2
	v_bfe_u32 v8, v17, 24, 7
	v_cmp_ne_u32_e32 vcc, s51, v8
	v_mov_b32_e32 v0, 0x7f800001
	s_and_saveexec_b64 s[88:89], vcc
	s_cbranch_execz .LBB6_2870
; %bb.2869:                             ;   in Loop: Header=BB6_128 Depth=2
	v_and_b32_e32 v0, 7, v14
	v_lshrrev_b32_e32 v17, 3, v8
	v_cmp_gt_u32_e32 vcc, 8, v8
	v_ffbh_u32_e32 v8, v0
	v_min_u32_e32 v8, 32, v8
	v_subrev_u32_e32 v15, 28, v8
	v_lshlrev_b64 v[15:16], v15, v[14:15]
	v_sub_u32_e32 v8, 29, v8
	v_and_b32_e32 v15, 7, v15
	v_cndmask_b32_e32 v8, v17, v8, vcc
	v_cndmask_b32_e32 v0, v0, v15, vcc
	v_lshlrev_b32_e32 v14, 24, v14
	v_bfrev_b32_e32 v15, 60
	v_lshlrev_b32_e32 v0, 20, v0
	v_and_b32_e32 v14, 0x80000000, v14
	v_lshl_add_u32 v8, v8, 23, v15
	v_or3_b32 v0, v14, v8, v0
.LBB6_2870:                             ;   in Loop: Header=BB6_128 Depth=2
	s_or_b64 exec, exec, s[88:89]
.LBB6_2871:                             ;   in Loop: Header=BB6_128 Depth=2
	s_or_b64 exec, exec, s[78:79]
.LBB6_2872:                             ;   in Loop: Header=BB6_128 Depth=2
	s_or_b64 exec, exec, s[20:21]
	v_add_f32_e32 v7, v7, v0
	v_and_b32_e32 v52, 0x7f800000, v7
	v_cmp_ne_u64_e32 vcc, s[56:57], v[52:53]
                                        ; implicit-def: $vgpr17
	s_and_saveexec_b64 s[20:21], vcc
	s_xor_b64 s[78:79], exec, s[20:21]
	s_cbranch_execz .LBB6_2886
; %bb.2873:                             ;   in Loop: Header=BB6_128 Depth=2
	v_and_b32_e32 v52, 0x7fffffff, v7
	v_cmp_gt_u64_e32 vcc, s[58:59], v[52:53]
	v_and_b32_sdwa v0, v7, s53 dst_sel:DWORD dst_unused:UNUSED_PAD src0_sel:BYTE_3 src1_sel:DWORD
                                        ; implicit-def: $vgpr17
	s_and_saveexec_b64 s[20:21], vcc
	s_xor_b64 s[88:89], exec, s[20:21]
	s_cbranch_execz .LBB6_2883
; %bb.2874:                             ;   in Loop: Header=BB6_128 Depth=2
	v_mov_b32_e32 v17, 0
	v_cmp_ne_u32_e32 vcc, 0, v7
	s_and_saveexec_b64 s[90:91], vcc
	s_cbranch_execz .LBB6_2882
; %bb.2875:                             ;   in Loop: Header=BB6_128 Depth=2
	v_and_b32_e32 v14, 0x7fffff, v7
	v_bfe_u32 v7, v7, 23, 8
	v_cmp_gt_u32_e64 s[20:21], s54, v7
	v_sub_u32_e32 v8, 0x79, v7
	v_cmp_eq_u32_e32 vcc, 0, v7
	v_cndmask_b32_e64 v8, 0, v8, s[20:21]
	v_mov_b32_e32 v16, 0x78
	v_or_b32_e32 v15, 0x800000, v14
	v_cndmask_b32_e32 v8, v8, v16, vcc
	v_cndmask_b32_e32 v52, v15, v14, vcc
	v_add_u32_e32 v14, 20, v8
	v_lshlrev_b64 v[14:15], v14, -1
	v_add_u32_e32 v16, 19, v8
	v_lshlrev_b64 v[16:17], v16, 1
	v_bfi_b32 v15, v15, 0, 0
	v_bfi_b32 v14, v14, 0, v52
	v_cmp_eq_u64_e64 s[20:21], v[14:15], v[16:17]
	v_lshrrev_b64 v[14:15], v8, v[52:53]
	v_mov_b32_e32 v16, v15
	v_mov_b32_e32 v15, v14
	s_and_saveexec_b64 s[92:93], s[20:21]
; %bb.2876:                             ;   in Loop: Header=BB6_128 Depth=2
	v_bfe_u32 v15, v14, 20, 1
	v_add_co_u32_e64 v15, s[20:21], v14, v15
	v_add_co_u32_e64 v15, s[20:21], -1, v15
; %bb.2877:                             ;   in Loop: Header=BB6_128 Depth=2
	s_or_b64 exec, exec, s[92:93]
	v_add_u32_e32 v7, 0xffffff81, v7
	v_mov_b32_e32 v16, 0xffffff82
	v_cndmask_b32_e32 v7, v7, v16, vcc
	v_lshrrev_b32_e32 v16, 23, v14
	v_add3_u32 v16, v8, v7, v16
	v_add_u32_e32 v8, 6, v16
	v_and_b32_e32 v7, 0xfffff, v15
	v_add_u32_e32 v52, v7, v14
	v_cmp_ne_u32_e32 vcc, 0, v8
                                        ; implicit-def: $vgpr14_vgpr15
                                        ; implicit-def: $vgpr7
	s_and_saveexec_b64 s[20:21], vcc
	s_xor_b64 s[20:21], exec, s[20:21]
; %bb.2878:                             ;   in Loop: Header=BB6_128 Depth=2
	v_cmp_lt_u64_e32 vcc, s[60:61], v[52:53]
	v_add_u32_e32 v7, 7, v16
	v_cndmask_b32_e32 v7, v8, v7, vcc
	v_cndmask_b32_e64 v8, 0, 1, vcc
	v_lshrrev_b64 v[14:15], v8, v[52:53]
; %bb.2879:                             ;   in Loop: Header=BB6_128 Depth=2
	s_andn2_saveexec_b64 s[20:21], s[20:21]
; %bb.2880:                             ;   in Loop: Header=BB6_128 Depth=2
	v_mov_b32_e32 v14, v52
	v_bfe_u32 v7, v52, 23, 1
	v_mov_b32_e32 v15, v53
; %bb.2881:                             ;   in Loop: Header=BB6_128 Depth=2
	s_or_b64 exec, exec, s[20:21]
	v_lshrrev_b64 v[14:15], 20, v[14:15]
	v_cmp_gt_i32_e32 vcc, 16, v7
	v_cndmask_b32_e32 v15, 0, v15, vcc
	v_cndmask_b32_e32 v14, 7, v14, vcc
	v_cmp_eq_u32_e32 vcc, 0, v7
	v_min_i32_e32 v7, 15, v7
	v_cmp_eq_u64_e64 s[20:21], 0, v[14:15]
	v_lshlrev_b32_e32 v7, 3, v7
	v_and_b32_e32 v7, 0xf8, v7
	v_and_or_b32 v7, v14, 7, v7
	s_and_b64 s[20:21], vcc, s[20:21]
	v_cndmask_b32_e64 v7, v7, 0, s[20:21]
	v_or_b32_e32 v17, v7, v0
.LBB6_2882:                             ;   in Loop: Header=BB6_128 Depth=2
	s_or_b64 exec, exec, s[90:91]
                                        ; implicit-def: $vgpr0
.LBB6_2883:                             ;   in Loop: Header=BB6_128 Depth=2
	s_andn2_saveexec_b64 s[20:21], s[88:89]
; %bb.2884:                             ;   in Loop: Header=BB6_128 Depth=2
	v_or_b32_e32 v17, 0x7e, v0
; %bb.2885:                             ;   in Loop: Header=BB6_128 Depth=2
	s_or_b64 exec, exec, s[20:21]
                                        ; implicit-def: $vgpr7
.LBB6_2886:                             ;   in Loop: Header=BB6_128 Depth=2
	s_andn2_saveexec_b64 s[20:21], s[78:79]
; %bb.2887:                             ;   in Loop: Header=BB6_128 Depth=2
	v_or_b32_sdwa v17, v7, s51 dst_sel:DWORD dst_unused:UNUSED_PAD src0_sel:BYTE_3 src1_sel:DWORD
; %bb.2888:                             ;   in Loop: Header=BB6_128 Depth=2
	s_or_b64 exec, exec, s[20:21]
	buffer_load_dword v0, off, s[0:3], s33 offset:144 ; 4-byte Folded Reload
	buffer_load_dword v7, off, s[0:3], s33 offset:168 ; 4-byte Folded Reload
	;; [unrolled: 1-line block ×3, first 2 shown]
	v_cmp_ne_u32_e32 vcc, 0, v36
	s_waitcnt vmcnt(2)
	v_lshl_or_b32 v0, v0, 8, v36
	s_waitcnt vmcnt(1)
	v_lshlrev_b32_e32 v7, 16, v7
	s_waitcnt vmcnt(0)
	v_lshlrev_b32_e32 v8, 24, v8
	v_or3_b32 v52, v7, v8, v0
	v_mov_b32_e32 v7, 0
	v_mov_b32_e32 v8, 0
	s_and_saveexec_b64 s[20:21], vcc
	s_cbranch_execz .LBB6_2894
; %bb.2889:                             ;   in Loop: Header=BB6_128 Depth=2
	v_cmp_ne_u32_e32 vcc, s53, v36
	v_bfrev_b32_e32 v8, 1
	s_and_saveexec_b64 s[78:79], vcc
	s_cbranch_execz .LBB6_2893
; %bb.2890:                             ;   in Loop: Header=BB6_128 Depth=2
	v_and_b32_e32 v14, 0x7f, v36
	v_cmp_ne_u32_e32 vcc, s51, v14
	v_mov_b32_e32 v8, 0x7f800001
	s_and_saveexec_b64 s[88:89], vcc
	s_cbranch_execz .LBB6_2892
; %bb.2891:                             ;   in Loop: Header=BB6_128 Depth=2
	v_and_b32_e32 v8, 7, v36
	v_ffbh_u32_e32 v8, v8
	v_min_u32_e32 v8, 32, v8
	v_lshrrev_b32_e32 v15, 3, v14
	v_cmp_gt_u32_e32 vcc, 8, v14
	v_subrev_u32_e32 v14, 28, v8
	v_sub_u32_e32 v8, 29, v8
	v_cndmask_b32_e32 v14, 0, v14, vcc
	v_cndmask_b32_e32 v8, v15, v8, vcc
	v_lshlrev_b64 v[14:15], v14, v[52:53]
	v_lshlrev_b32_e32 v15, 24, v52
	v_lshlrev_b32_e32 v14, 20, v14
	v_bfrev_b32_e32 v16, 60
	v_and_b32_e32 v14, 0x700000, v14
	v_and_b32_e32 v15, 0x80000000, v15
	v_lshl_add_u32 v8, v8, 23, v16
	v_or3_b32 v8, v15, v8, v14
.LBB6_2892:                             ;   in Loop: Header=BB6_128 Depth=2
	s_or_b64 exec, exec, s[88:89]
.LBB6_2893:                             ;   in Loop: Header=BB6_128 Depth=2
	s_or_b64 exec, exec, s[78:79]
.LBB6_2894:                             ;   in Loop: Header=BB6_128 Depth=2
	s_or_b64 exec, exec, s[20:21]
	v_cmp_ne_u16_sdwa s[78:79], v10, v53 src0_sel:BYTE_0 src1_sel:DWORD
	s_and_saveexec_b64 s[20:21], s[78:79]
	s_cbranch_execz .LBB6_2900
; %bb.2895:                             ;   in Loop: Header=BB6_128 Depth=2
	v_cmp_ne_u16_sdwa s[88:89], v10, s53 src0_sel:BYTE_0 src1_sel:DWORD
	v_bfrev_b32_e32 v7, 1
	s_and_saveexec_b64 s[78:79], s[88:89]
	s_cbranch_execz .LBB6_2899
; %bb.2896:                             ;   in Loop: Header=BB6_128 Depth=2
	v_and_b32_e32 v14, 0x7f, v10
	v_cmp_ne_u32_e32 vcc, s51, v14
	v_mov_b32_e32 v7, 0x7f800001
	s_and_saveexec_b64 s[88:89], vcc
	s_cbranch_execz .LBB6_2898
; %bb.2897:                             ;   in Loop: Header=BB6_128 Depth=2
	v_and_b32_e32 v7, 7, v10
	v_ffbh_u32_e32 v7, v7
	v_min_u32_e32 v7, 32, v7
	v_lshrrev_b32_e32 v15, 3, v14
	v_cmp_gt_u32_e32 vcc, 8, v14
	v_subrev_u32_e32 v14, 28, v7
	v_sub_u32_e32 v7, 29, v7
	v_cndmask_b32_e32 v14, 0, v14, vcc
	v_cndmask_b32_e32 v7, v15, v7, vcc
	v_lshlrev_b64 v[14:15], v14, v[10:11]
	v_lshlrev_b32_e32 v15, 24, v10
	v_lshlrev_b32_e32 v14, 20, v14
	v_bfrev_b32_e32 v16, 60
	v_and_b32_e32 v14, 0x700000, v14
	v_and_b32_e32 v15, 0x80000000, v15
	v_lshl_add_u32 v7, v7, 23, v16
	v_or3_b32 v7, v15, v7, v14
.LBB6_2898:                             ;   in Loop: Header=BB6_128 Depth=2
	s_or_b64 exec, exec, s[88:89]
.LBB6_2899:                             ;   in Loop: Header=BB6_128 Depth=2
	s_or_b64 exec, exec, s[78:79]
.LBB6_2900:                             ;   in Loop: Header=BB6_128 Depth=2
	s_or_b64 exec, exec, s[20:21]
	v_add_f32_e32 v8, v8, v7
	v_and_b32_e32 v14, 0x7f800000, v8
	v_mov_b32_e32 v15, v53
	v_cmp_ne_u64_e32 vcc, s[56:57], v[14:15]
                                        ; implicit-def: $vgpr19
	s_and_saveexec_b64 s[20:21], vcc
	s_xor_b64 s[78:79], exec, s[20:21]
	s_cbranch_execz .LBB6_2914
; %bb.2901:                             ;   in Loop: Header=BB6_128 Depth=2
	v_and_b32_e32 v14, 0x7fffffff, v8
	v_mov_b32_e32 v15, v53
	v_cmp_gt_u64_e32 vcc, s[58:59], v[14:15]
	v_and_b32_sdwa v7, v8, s53 dst_sel:DWORD dst_unused:UNUSED_PAD src0_sel:BYTE_3 src1_sel:DWORD
                                        ; implicit-def: $vgpr19
	s_and_saveexec_b64 s[20:21], vcc
	s_xor_b64 s[88:89], exec, s[20:21]
	s_cbranch_execz .LBB6_2911
; %bb.2902:                             ;   in Loop: Header=BB6_128 Depth=2
	v_mov_b32_e32 v19, 0
	v_cmp_ne_u32_e32 vcc, 0, v8
	s_and_saveexec_b64 s[90:91], vcc
	s_cbranch_execz .LBB6_2910
; %bb.2903:                             ;   in Loop: Header=BB6_128 Depth=2
	v_and_b32_e32 v14, 0x7fffff, v8
	v_bfe_u32 v8, v8, 23, 8
	v_cmp_gt_u32_e64 s[20:21], s54, v8
	v_sub_u32_e32 v15, 0x79, v8
	v_cmp_eq_u32_e32 vcc, 0, v8
	v_cndmask_b32_e64 v15, 0, v15, s[20:21]
	v_mov_b32_e32 v19, 0x78
	v_or_b32_e32 v16, 0x800000, v14
	v_cndmask_b32_e32 v19, v15, v19, vcc
	v_cndmask_b32_e32 v14, v16, v14, vcc
	v_add_u32_e32 v16, 20, v19
	v_lshlrev_b64 v[27:28], v16, -1
	v_mov_b32_e32 v15, v53
	v_add_u32_e32 v16, 19, v19
	v_bfi_b32 v27, v27, 0, v14
	v_lshlrev_b64 v[30:31], v16, 1
	v_lshrrev_b64 v[14:15], v19, v[14:15]
	v_bfi_b32 v28, v28, 0, 0
	v_cmp_eq_u64_e64 s[20:21], v[27:28], v[30:31]
	v_mov_b32_e32 v16, v15
	v_mov_b32_e32 v15, v14
	s_and_saveexec_b64 s[92:93], s[20:21]
; %bb.2904:                             ;   in Loop: Header=BB6_128 Depth=2
	v_bfe_u32 v15, v14, 20, 1
	v_add_co_u32_e64 v15, s[20:21], v14, v15
	v_add_co_u32_e64 v15, s[20:21], -1, v15
; %bb.2905:                             ;   in Loop: Header=BB6_128 Depth=2
	s_or_b64 exec, exec, s[92:93]
	v_add_u32_e32 v8, 0xffffff81, v8
	v_mov_b32_e32 v16, 0xffffff82
	v_cndmask_b32_e32 v8, v8, v16, vcc
	v_lshrrev_b32_e32 v16, 23, v14
	v_add3_u32 v19, v19, v8, v16
	v_add_u32_e32 v16, 6, v19
	v_and_b32_e32 v8, 0xfffff, v15
	v_add_u32_e32 v14, v8, v14
	v_mov_b32_e32 v15, v53
	v_cmp_ne_u32_e32 vcc, 0, v16
                                        ; implicit-def: $vgpr8
	s_and_saveexec_b64 s[20:21], vcc
	s_xor_b64 s[20:21], exec, s[20:21]
; %bb.2906:                             ;   in Loop: Header=BB6_128 Depth=2
	v_cmp_lt_u64_e32 vcc, s[60:61], v[14:15]
	v_add_u32_e32 v8, 7, v19
	v_cndmask_b32_e32 v8, v16, v8, vcc
	v_cndmask_b32_e64 v16, 0, 1, vcc
	v_lshrrev_b64 v[14:15], v16, v[14:15]
; %bb.2907:                             ;   in Loop: Header=BB6_128 Depth=2
	s_andn2_saveexec_b64 s[20:21], s[20:21]
; %bb.2908:                             ;   in Loop: Header=BB6_128 Depth=2
	v_bfe_u32 v8, v14, 23, 1
; %bb.2909:                             ;   in Loop: Header=BB6_128 Depth=2
	s_or_b64 exec, exec, s[20:21]
	v_lshrrev_b64 v[14:15], 20, v[14:15]
	v_cmp_gt_i32_e32 vcc, 16, v8
	v_cndmask_b32_e32 v15, 0, v15, vcc
	v_cndmask_b32_e32 v14, 7, v14, vcc
	v_cmp_eq_u32_e32 vcc, 0, v8
	v_min_i32_e32 v8, 15, v8
	v_cmp_eq_u64_e64 s[20:21], 0, v[14:15]
	v_lshlrev_b32_e32 v8, 3, v8
	v_and_b32_e32 v8, 0xf8, v8
	v_and_or_b32 v8, v14, 7, v8
	s_and_b64 s[20:21], vcc, s[20:21]
	v_cndmask_b32_e64 v8, v8, 0, s[20:21]
	v_or_b32_e32 v19, v8, v7
.LBB6_2910:                             ;   in Loop: Header=BB6_128 Depth=2
	s_or_b64 exec, exec, s[90:91]
                                        ; implicit-def: $vgpr7
.LBB6_2911:                             ;   in Loop: Header=BB6_128 Depth=2
	s_andn2_saveexec_b64 s[20:21], s[88:89]
; %bb.2912:                             ;   in Loop: Header=BB6_128 Depth=2
	v_or_b32_e32 v19, 0x7e, v7
; %bb.2913:                             ;   in Loop: Header=BB6_128 Depth=2
	s_or_b64 exec, exec, s[20:21]
                                        ; implicit-def: $vgpr8
.LBB6_2914:                             ;   in Loop: Header=BB6_128 Depth=2
	s_andn2_saveexec_b64 s[20:21], s[78:79]
; %bb.2915:                             ;   in Loop: Header=BB6_128 Depth=2
	v_or_b32_sdwa v19, v8, s51 dst_sel:DWORD dst_unused:UNUSED_PAD src0_sel:BYTE_3 src1_sel:DWORD
; %bb.2916:                             ;   in Loop: Header=BB6_128 Depth=2
	s_or_b64 exec, exec, s[20:21]
	v_lshrrev_b16_e32 v14, 8, v0
	v_cmp_ne_u16_e32 vcc, 0, v14
	v_mov_b32_e32 v7, 0
	v_mov_b32_e32 v8, 0
	s_and_saveexec_b64 s[20:21], vcc
	s_cbranch_execz .LBB6_2922
; %bb.2917:                             ;   in Loop: Header=BB6_128 Depth=2
	v_cmp_ne_u16_e32 vcc, s53, v14
	v_bfrev_b32_e32 v8, 1
	s_and_saveexec_b64 s[78:79], vcc
	s_cbranch_execz .LBB6_2921
; %bb.2918:                             ;   in Loop: Header=BB6_128 Depth=2
	v_and_b32_e32 v15, 0x7f, v14
	v_cmp_ne_u32_e32 vcc, s51, v15
	v_mov_b32_e32 v8, 0x7f800001
	s_and_saveexec_b64 s[88:89], vcc
	s_cbranch_execz .LBB6_2920
; %bb.2919:                             ;   in Loop: Header=BB6_128 Depth=2
	v_and_b32_e32 v8, 7, v14
	v_lshrrev_b32_e32 v16, 3, v15
	v_cmp_gt_u32_e32 vcc, 8, v15
	v_ffbh_u32_e32 v15, v8
	v_min_u32_e32 v25, 32, v15
	v_subrev_u32_e32 v15, 28, v25
	v_lshlrev_b64 v[14:15], v15, v[14:15]
	v_sub_u32_e32 v15, 29, v25
	v_and_b32_e32 v14, 7, v14
	v_cndmask_b32_e32 v15, v16, v15, vcc
	v_cndmask_b32_e32 v8, v8, v14, vcc
	v_lshlrev_b32_e32 v0, 16, v0
	v_bfrev_b32_e32 v14, 60
	v_lshlrev_b32_e32 v8, 20, v8
	v_and_b32_e32 v0, 0x80000000, v0
	v_lshl_add_u32 v14, v15, 23, v14
	v_or3_b32 v8, v0, v14, v8
.LBB6_2920:                             ;   in Loop: Header=BB6_128 Depth=2
	s_or_b64 exec, exec, s[88:89]
.LBB6_2921:                             ;   in Loop: Header=BB6_128 Depth=2
	s_or_b64 exec, exec, s[78:79]
.LBB6_2922:                             ;   in Loop: Header=BB6_128 Depth=2
	s_or_b64 exec, exec, s[20:21]
	v_lshrrev_b16_e32 v14, 8, v10
	v_cmp_ne_u16_e32 vcc, 0, v14
	s_and_saveexec_b64 s[20:21], vcc
	s_cbranch_execz .LBB6_2928
; %bb.2923:                             ;   in Loop: Header=BB6_128 Depth=2
	v_cmp_ne_u16_e32 vcc, s53, v14
	v_bfrev_b32_e32 v7, 1
	s_and_saveexec_b64 s[78:79], vcc
	s_cbranch_execz .LBB6_2927
; %bb.2924:                             ;   in Loop: Header=BB6_128 Depth=2
	v_and_b32_e32 v0, 0x7f, v14
	v_cmp_ne_u32_e32 vcc, s51, v0
	v_mov_b32_e32 v7, 0x7f800001
	s_and_saveexec_b64 s[88:89], vcc
	s_cbranch_execz .LBB6_2926
; %bb.2925:                             ;   in Loop: Header=BB6_128 Depth=2
	v_and_b32_e32 v7, 7, v14
	v_lshrrev_b32_e32 v16, 3, v0
	v_cmp_gt_u32_e32 vcc, 8, v0
	v_ffbh_u32_e32 v0, v7
	v_min_u32_e32 v0, 32, v0
	v_subrev_u32_e32 v15, 28, v0
	v_lshlrev_b64 v[14:15], v15, v[14:15]
	v_sub_u32_e32 v0, 29, v0
	v_and_b32_e32 v14, 7, v14
	v_cndmask_b32_e32 v0, v16, v0, vcc
	v_cndmask_b32_e32 v7, v7, v14, vcc
	v_lshlrev_b32_e32 v14, 16, v10
	v_bfrev_b32_e32 v15, 60
	v_lshlrev_b32_e32 v7, 20, v7
	v_and_b32_e32 v14, 0x80000000, v14
	v_lshl_add_u32 v0, v0, 23, v15
	v_or3_b32 v7, v14, v0, v7
.LBB6_2926:                             ;   in Loop: Header=BB6_128 Depth=2
	s_or_b64 exec, exec, s[88:89]
.LBB6_2927:                             ;   in Loop: Header=BB6_128 Depth=2
	s_or_b64 exec, exec, s[78:79]
.LBB6_2928:                             ;   in Loop: Header=BB6_128 Depth=2
	s_or_b64 exec, exec, s[20:21]
	v_add_f32_e32 v8, v8, v7
	v_and_b32_e32 v14, 0x7f800000, v8
	v_mov_b32_e32 v15, v53
	v_cmp_ne_u64_e32 vcc, s[56:57], v[14:15]
                                        ; implicit-def: $vgpr0
	s_and_saveexec_b64 s[20:21], vcc
	s_xor_b64 s[78:79], exec, s[20:21]
	s_cbranch_execz .LBB6_2942
; %bb.2929:                             ;   in Loop: Header=BB6_128 Depth=2
	v_and_b32_e32 v14, 0x7fffffff, v8
	v_mov_b32_e32 v15, v53
	v_cmp_gt_u64_e32 vcc, s[58:59], v[14:15]
	v_and_b32_sdwa v7, v8, s53 dst_sel:DWORD dst_unused:UNUSED_PAD src0_sel:BYTE_3 src1_sel:DWORD
                                        ; implicit-def: $vgpr0
	s_and_saveexec_b64 s[20:21], vcc
	s_xor_b64 s[88:89], exec, s[20:21]
	s_cbranch_execz .LBB6_2939
; %bb.2930:                             ;   in Loop: Header=BB6_128 Depth=2
	v_mov_b32_e32 v0, 0
	v_cmp_ne_u32_e32 vcc, 0, v8
	s_and_saveexec_b64 s[90:91], vcc
	s_cbranch_execz .LBB6_2938
; %bb.2931:                             ;   in Loop: Header=BB6_128 Depth=2
	v_bfe_u32 v0, v8, 23, 8
	v_and_b32_e32 v14, 0x7fffff, v8
	v_cmp_gt_u32_e64 s[20:21], s54, v0
	v_sub_u32_e32 v8, 0x79, v0
	v_cmp_eq_u32_e32 vcc, 0, v0
	v_cndmask_b32_e64 v8, 0, v8, s[20:21]
	v_mov_b32_e32 v16, 0x78
	v_cndmask_b32_e32 v8, v8, v16, vcc
	v_add_u32_e32 v16, 20, v8
	v_or_b32_e32 v15, 0x800000, v14
	v_lshlrev_b64 v[27:28], v16, -1
	v_cndmask_b32_e32 v14, v15, v14, vcc
	v_mov_b32_e32 v15, v53
	v_add_u32_e32 v16, 19, v8
	v_bfi_b32 v27, v27, 0, v14
	v_lshlrev_b64 v[30:31], v16, 1
	v_lshrrev_b64 v[14:15], v8, v[14:15]
	v_bfi_b32 v28, v28, 0, 0
	v_cmp_eq_u64_e64 s[20:21], v[27:28], v[30:31]
	v_mov_b32_e32 v16, v15
	v_mov_b32_e32 v15, v14
	s_and_saveexec_b64 s[92:93], s[20:21]
; %bb.2932:                             ;   in Loop: Header=BB6_128 Depth=2
	v_bfe_u32 v15, v14, 20, 1
	v_add_co_u32_e64 v15, s[20:21], v14, v15
	v_add_co_u32_e64 v15, s[20:21], -1, v15
; %bb.2933:                             ;   in Loop: Header=BB6_128 Depth=2
	s_or_b64 exec, exec, s[92:93]
	v_add_u32_e32 v0, 0xffffff81, v0
	v_mov_b32_e32 v16, 0xffffff82
	v_cndmask_b32_e32 v0, v0, v16, vcc
	v_lshrrev_b32_e32 v16, 23, v14
	v_add3_u32 v16, v8, v0, v16
	v_add_u32_e32 v8, 6, v16
	v_and_b32_e32 v0, 0xfffff, v15
	v_add_u32_e32 v14, v0, v14
	v_mov_b32_e32 v15, v53
	v_cmp_ne_u32_e32 vcc, 0, v8
                                        ; implicit-def: $vgpr0
	s_and_saveexec_b64 s[20:21], vcc
	s_xor_b64 s[20:21], exec, s[20:21]
; %bb.2934:                             ;   in Loop: Header=BB6_128 Depth=2
	v_cmp_lt_u64_e32 vcc, s[60:61], v[14:15]
	v_add_u32_e32 v0, 7, v16
	v_cndmask_b32_e32 v0, v8, v0, vcc
	v_cndmask_b32_e64 v8, 0, 1, vcc
	v_lshrrev_b64 v[14:15], v8, v[14:15]
; %bb.2935:                             ;   in Loop: Header=BB6_128 Depth=2
	s_andn2_saveexec_b64 s[20:21], s[20:21]
; %bb.2936:                             ;   in Loop: Header=BB6_128 Depth=2
	v_bfe_u32 v0, v14, 23, 1
; %bb.2937:                             ;   in Loop: Header=BB6_128 Depth=2
	s_or_b64 exec, exec, s[20:21]
	v_lshrrev_b64 v[14:15], 20, v[14:15]
	v_cmp_gt_i32_e32 vcc, 16, v0
	v_cndmask_b32_e32 v15, 0, v15, vcc
	v_cndmask_b32_e32 v14, 7, v14, vcc
	v_cmp_eq_u32_e32 vcc, 0, v0
	v_min_i32_e32 v0, 15, v0
	v_cmp_eq_u64_e64 s[20:21], 0, v[14:15]
	v_lshlrev_b32_e32 v0, 3, v0
	v_and_b32_e32 v0, 0xf8, v0
	v_and_or_b32 v0, v14, 7, v0
	s_and_b64 s[20:21], vcc, s[20:21]
	v_cndmask_b32_e64 v0, v0, 0, s[20:21]
	v_or_b32_e32 v0, v0, v7
.LBB6_2938:                             ;   in Loop: Header=BB6_128 Depth=2
	s_or_b64 exec, exec, s[90:91]
                                        ; implicit-def: $vgpr7
.LBB6_2939:                             ;   in Loop: Header=BB6_128 Depth=2
	s_andn2_saveexec_b64 s[20:21], s[88:89]
; %bb.2940:                             ;   in Loop: Header=BB6_128 Depth=2
	v_or_b32_e32 v0, 0x7e, v7
; %bb.2941:                             ;   in Loop: Header=BB6_128 Depth=2
	s_or_b64 exec, exec, s[20:21]
                                        ; implicit-def: $vgpr8
.LBB6_2942:                             ;   in Loop: Header=BB6_128 Depth=2
	s_andn2_saveexec_b64 s[20:21], s[78:79]
; %bb.2943:                             ;   in Loop: Header=BB6_128 Depth=2
	v_or_b32_sdwa v0, v8, s51 dst_sel:DWORD dst_unused:UNUSED_PAD src0_sel:BYTE_3 src1_sel:DWORD
; %bb.2944:                             ;   in Loop: Header=BB6_128 Depth=2
	s_or_b64 exec, exec, s[20:21]
	v_lshrrev_b32_e32 v14, 16, v52
	v_cmp_ne_u16_sdwa s[78:79], v14, v53 src0_sel:BYTE_0 src1_sel:DWORD
	v_mov_b32_e32 v7, 0
	v_mov_b32_e32 v8, 0
	s_and_saveexec_b64 s[20:21], s[78:79]
	s_cbranch_execz .LBB6_2950
; %bb.2945:                             ;   in Loop: Header=BB6_128 Depth=2
	v_cmp_ne_u16_sdwa s[88:89], v14, s53 src0_sel:BYTE_0 src1_sel:DWORD
	v_bfrev_b32_e32 v8, 1
	s_and_saveexec_b64 s[78:79], s[88:89]
	s_cbranch_execz .LBB6_2949
; %bb.2946:                             ;   in Loop: Header=BB6_128 Depth=2
	v_bfe_u32 v15, v52, 16, 7
	v_cmp_ne_u32_e32 vcc, s51, v15
	v_mov_b32_e32 v8, 0x7f800001
	s_and_saveexec_b64 s[88:89], vcc
	s_cbranch_execz .LBB6_2948
; %bb.2947:                             ;   in Loop: Header=BB6_128 Depth=2
	v_and_b32_e32 v8, 7, v14
	v_lshrrev_b32_e32 v25, 3, v15
	v_cmp_gt_u32_e32 vcc, 8, v15
	v_ffbh_u32_e32 v15, v8
	v_min_u32_e32 v27, 32, v15
	v_subrev_u32_e32 v15, 28, v27
	v_lshlrev_b64 v[15:16], v15, v[14:15]
	v_sub_u32_e32 v16, 29, v27
	v_and_b32_e32 v15, 7, v15
	v_cndmask_b32_e32 v16, v25, v16, vcc
	v_cndmask_b32_e32 v8, v8, v15, vcc
	v_lshlrev_b32_e32 v14, 24, v14
	v_bfrev_b32_e32 v15, 60
	v_lshlrev_b32_e32 v8, 20, v8
	v_and_b32_e32 v14, 0x80000000, v14
	v_lshl_add_u32 v15, v16, 23, v15
	v_or3_b32 v8, v14, v15, v8
.LBB6_2948:                             ;   in Loop: Header=BB6_128 Depth=2
	s_or_b64 exec, exec, s[88:89]
.LBB6_2949:                             ;   in Loop: Header=BB6_128 Depth=2
	s_or_b64 exec, exec, s[78:79]
.LBB6_2950:                             ;   in Loop: Header=BB6_128 Depth=2
	s_or_b64 exec, exec, s[20:21]
	v_lshrrev_b32_e32 v14, 16, v10
	v_cmp_ne_u16_sdwa s[78:79], v14, v53 src0_sel:BYTE_0 src1_sel:DWORD
	s_and_saveexec_b64 s[20:21], s[78:79]
	s_cbranch_execz .LBB6_2956
; %bb.2951:                             ;   in Loop: Header=BB6_128 Depth=2
	v_cmp_ne_u16_sdwa s[88:89], v14, s53 src0_sel:BYTE_0 src1_sel:DWORD
	v_bfrev_b32_e32 v7, 1
	s_and_saveexec_b64 s[78:79], s[88:89]
	s_cbranch_execz .LBB6_2955
; %bb.2952:                             ;   in Loop: Header=BB6_128 Depth=2
	v_bfe_u32 v15, v10, 16, 7
	v_cmp_ne_u32_e32 vcc, s51, v15
	v_mov_b32_e32 v7, 0x7f800001
	s_and_saveexec_b64 s[88:89], vcc
	s_cbranch_execz .LBB6_2954
; %bb.2953:                             ;   in Loop: Header=BB6_128 Depth=2
	v_and_b32_e32 v7, 7, v14
	v_lshrrev_b32_e32 v16, 3, v15
	v_cmp_gt_u32_e32 vcc, 8, v15
	v_ffbh_u32_e32 v15, v7
	v_min_u32_e32 v25, 32, v15
	v_subrev_u32_e32 v15, 28, v25
	v_lshlrev_b64 v[14:15], v15, v[14:15]
	v_sub_u32_e32 v15, 29, v25
	v_and_b32_e32 v14, 7, v14
	v_cndmask_b32_e32 v15, v16, v15, vcc
	v_cndmask_b32_e32 v7, v7, v14, vcc
	v_lshlrev_b32_e32 v14, 8, v10
	v_bfrev_b32_e32 v16, 60
	v_lshlrev_b32_e32 v7, 20, v7
	v_and_b32_e32 v14, 0x80000000, v14
	v_lshl_add_u32 v15, v15, 23, v16
	v_or3_b32 v7, v14, v15, v7
.LBB6_2954:                             ;   in Loop: Header=BB6_128 Depth=2
	s_or_b64 exec, exec, s[88:89]
.LBB6_2955:                             ;   in Loop: Header=BB6_128 Depth=2
	s_or_b64 exec, exec, s[78:79]
.LBB6_2956:                             ;   in Loop: Header=BB6_128 Depth=2
	s_or_b64 exec, exec, s[20:21]
	v_add_f32_e32 v8, v8, v7
	v_and_b32_e32 v14, 0x7f800000, v8
	v_mov_b32_e32 v15, v53
	v_cmp_ne_u64_e32 vcc, s[56:57], v[14:15]
                                        ; implicit-def: $vgpr27
	s_and_saveexec_b64 s[20:21], vcc
	s_xor_b64 s[78:79], exec, s[20:21]
	s_cbranch_execz .LBB6_2970
; %bb.2957:                             ;   in Loop: Header=BB6_128 Depth=2
	v_and_b32_e32 v14, 0x7fffffff, v8
	v_mov_b32_e32 v15, v53
	v_cmp_gt_u64_e32 vcc, s[58:59], v[14:15]
	v_and_b32_sdwa v7, v8, s53 dst_sel:DWORD dst_unused:UNUSED_PAD src0_sel:BYTE_3 src1_sel:DWORD
                                        ; implicit-def: $vgpr27
	s_and_saveexec_b64 s[20:21], vcc
	s_xor_b64 s[88:89], exec, s[20:21]
	s_cbranch_execz .LBB6_2967
; %bb.2958:                             ;   in Loop: Header=BB6_128 Depth=2
	v_mov_b32_e32 v27, 0
	v_cmp_ne_u32_e32 vcc, 0, v8
	s_and_saveexec_b64 s[90:91], vcc
	s_cbranch_execz .LBB6_2966
; %bb.2959:                             ;   in Loop: Header=BB6_128 Depth=2
	v_and_b32_e32 v14, 0x7fffff, v8
	v_bfe_u32 v8, v8, 23, 8
	v_cmp_gt_u32_e64 s[20:21], s54, v8
	v_sub_u32_e32 v15, 0x79, v8
	v_cmp_eq_u32_e32 vcc, 0, v8
	v_cndmask_b32_e64 v15, 0, v15, s[20:21]
	v_mov_b32_e32 v25, 0x78
	v_or_b32_e32 v16, 0x800000, v14
	v_cndmask_b32_e32 v25, v15, v25, vcc
	v_cndmask_b32_e32 v14, v16, v14, vcc
	v_add_u32_e32 v16, 20, v25
	v_lshlrev_b64 v[27:28], v16, -1
	v_mov_b32_e32 v15, v53
	v_add_u32_e32 v16, 19, v25
	v_bfi_b32 v27, v27, 0, v14
	v_lshlrev_b64 v[30:31], v16, 1
	v_lshrrev_b64 v[14:15], v25, v[14:15]
	v_bfi_b32 v28, v28, 0, 0
	v_cmp_eq_u64_e64 s[20:21], v[27:28], v[30:31]
	v_mov_b32_e32 v16, v15
	v_mov_b32_e32 v15, v14
	s_and_saveexec_b64 s[92:93], s[20:21]
; %bb.2960:                             ;   in Loop: Header=BB6_128 Depth=2
	v_bfe_u32 v15, v14, 20, 1
	v_add_co_u32_e64 v15, s[20:21], v14, v15
	v_add_co_u32_e64 v15, s[20:21], -1, v15
; %bb.2961:                             ;   in Loop: Header=BB6_128 Depth=2
	s_or_b64 exec, exec, s[92:93]
	v_add_u32_e32 v8, 0xffffff81, v8
	v_mov_b32_e32 v16, 0xffffff82
	v_cndmask_b32_e32 v8, v8, v16, vcc
	v_lshrrev_b32_e32 v16, 23, v14
	v_add3_u32 v25, v25, v8, v16
	v_add_u32_e32 v16, 6, v25
	v_and_b32_e32 v8, 0xfffff, v15
	v_add_u32_e32 v14, v8, v14
	v_mov_b32_e32 v15, v53
	v_cmp_ne_u32_e32 vcc, 0, v16
                                        ; implicit-def: $vgpr8
	s_and_saveexec_b64 s[20:21], vcc
	s_xor_b64 s[20:21], exec, s[20:21]
; %bb.2962:                             ;   in Loop: Header=BB6_128 Depth=2
	v_cmp_lt_u64_e32 vcc, s[60:61], v[14:15]
	v_add_u32_e32 v8, 7, v25
	v_cndmask_b32_e32 v8, v16, v8, vcc
	v_cndmask_b32_e64 v16, 0, 1, vcc
	v_lshrrev_b64 v[14:15], v16, v[14:15]
; %bb.2963:                             ;   in Loop: Header=BB6_128 Depth=2
	s_andn2_saveexec_b64 s[20:21], s[20:21]
; %bb.2964:                             ;   in Loop: Header=BB6_128 Depth=2
	v_bfe_u32 v8, v14, 23, 1
; %bb.2965:                             ;   in Loop: Header=BB6_128 Depth=2
	s_or_b64 exec, exec, s[20:21]
	v_lshrrev_b64 v[14:15], 20, v[14:15]
	v_cmp_gt_i32_e32 vcc, 16, v8
	v_cndmask_b32_e32 v15, 0, v15, vcc
	v_cndmask_b32_e32 v14, 7, v14, vcc
	v_cmp_eq_u32_e32 vcc, 0, v8
	v_min_i32_e32 v8, 15, v8
	v_cmp_eq_u64_e64 s[20:21], 0, v[14:15]
	v_lshlrev_b32_e32 v8, 3, v8
	v_and_b32_e32 v8, 0xf8, v8
	v_and_or_b32 v8, v14, 7, v8
	s_and_b64 s[20:21], vcc, s[20:21]
	v_cndmask_b32_e64 v8, v8, 0, s[20:21]
	v_or_b32_e32 v27, v8, v7
.LBB6_2966:                             ;   in Loop: Header=BB6_128 Depth=2
	s_or_b64 exec, exec, s[90:91]
                                        ; implicit-def: $vgpr7
.LBB6_2967:                             ;   in Loop: Header=BB6_128 Depth=2
	s_andn2_saveexec_b64 s[20:21], s[88:89]
; %bb.2968:                             ;   in Loop: Header=BB6_128 Depth=2
	v_or_b32_e32 v27, 0x7e, v7
; %bb.2969:                             ;   in Loop: Header=BB6_128 Depth=2
	s_or_b64 exec, exec, s[20:21]
                                        ; implicit-def: $vgpr8
.LBB6_2970:                             ;   in Loop: Header=BB6_128 Depth=2
	s_andn2_saveexec_b64 s[20:21], s[78:79]
; %bb.2971:                             ;   in Loop: Header=BB6_128 Depth=2
	v_or_b32_sdwa v27, v8, s51 dst_sel:DWORD dst_unused:UNUSED_PAD src0_sel:BYTE_3 src1_sel:DWORD
; %bb.2972:                             ;   in Loop: Header=BB6_128 Depth=2
	s_or_b64 exec, exec, s[20:21]
	v_cmp_lt_u32_e32 vcc, s63, v52
	v_mov_b32_e32 v7, 0
	v_mov_b32_e32 v8, 0
	s_and_saveexec_b64 s[20:21], vcc
	s_cbranch_execz .LBB6_2978
; %bb.2973:                             ;   in Loop: Header=BB6_128 Depth=2
	v_lshrrev_b32_e32 v14, 24, v52
	v_cmp_ne_u32_sdwa s[88:89], v52, s53 src0_sel:BYTE_3 src1_sel:DWORD
	v_bfrev_b32_e32 v8, 1
	s_and_saveexec_b64 s[78:79], s[88:89]
	s_cbranch_execz .LBB6_2977
; %bb.2974:                             ;   in Loop: Header=BB6_128 Depth=2
	v_bfe_u32 v15, v52, 24, 7
	v_cmp_ne_u32_e32 vcc, s51, v15
	v_mov_b32_e32 v8, 0x7f800001
	s_and_saveexec_b64 s[88:89], vcc
	s_cbranch_execz .LBB6_2976
; %bb.2975:                             ;   in Loop: Header=BB6_128 Depth=2
	v_and_b32_e32 v8, 7, v14
	v_lshrrev_b32_e32 v16, 3, v15
	v_cmp_gt_u32_e32 vcc, 8, v15
	v_ffbh_u32_e32 v15, v8
	v_min_u32_e32 v25, 32, v15
	v_subrev_u32_e32 v15, 28, v25
	v_lshlrev_b64 v[14:15], v15, v[14:15]
	v_sub_u32_e32 v15, 29, v25
	v_and_b32_e32 v14, 7, v14
	v_cndmask_b32_e32 v8, v8, v14, vcc
	v_mov_b32_e32 v14, 24
	v_cndmask_b32_e32 v15, v16, v15, vcc
	v_lshlrev_b32_sdwa v14, v14, v52 dst_sel:DWORD dst_unused:UNUSED_PAD src0_sel:DWORD src1_sel:BYTE_3
	v_bfrev_b32_e32 v16, 60
	v_lshlrev_b32_e32 v8, 20, v8
	v_and_b32_e32 v14, 0x80000000, v14
	v_lshl_add_u32 v15, v15, 23, v16
	v_or3_b32 v8, v14, v15, v8
.LBB6_2976:                             ;   in Loop: Header=BB6_128 Depth=2
	s_or_b64 exec, exec, s[88:89]
.LBB6_2977:                             ;   in Loop: Header=BB6_128 Depth=2
	s_or_b64 exec, exec, s[78:79]
.LBB6_2978:                             ;   in Loop: Header=BB6_128 Depth=2
	s_or_b64 exec, exec, s[20:21]
	v_cmp_lt_u32_e32 vcc, s63, v10
	s_and_saveexec_b64 s[20:21], vcc
	s_cbranch_execz .LBB6_2984
; %bb.2979:                             ;   in Loop: Header=BB6_128 Depth=2
	v_lshrrev_b32_e32 v14, 24, v10
	v_cmp_ne_u32_e32 vcc, s53, v14
	v_bfrev_b32_e32 v7, 1
	s_and_saveexec_b64 s[78:79], vcc
	s_cbranch_execz .LBB6_2983
; %bb.2980:                             ;   in Loop: Header=BB6_128 Depth=2
	v_bfe_u32 v15, v10, 24, 7
	v_cmp_ne_u32_e32 vcc, s51, v15
	v_mov_b32_e32 v7, 0x7f800001
	s_and_saveexec_b64 s[88:89], vcc
	s_cbranch_execz .LBB6_2982
; %bb.2981:                             ;   in Loop: Header=BB6_128 Depth=2
	v_and_b32_e32 v7, 7, v14
	v_lshrrev_b32_e32 v25, 3, v15
	v_cmp_gt_u32_e32 vcc, 8, v15
	v_ffbh_u32_e32 v15, v7
	v_min_u32_e32 v28, 32, v15
	v_subrev_u32_e32 v15, 28, v28
	v_lshlrev_b64 v[15:16], v15, v[14:15]
	v_sub_u32_e32 v16, 29, v28
	v_and_b32_e32 v15, 7, v15
	v_cndmask_b32_e32 v16, v25, v16, vcc
	v_cndmask_b32_e32 v7, v7, v15, vcc
	v_lshlrev_b32_e32 v14, 24, v14
	v_bfrev_b32_e32 v15, 60
	v_lshlrev_b32_e32 v7, 20, v7
	v_and_b32_e32 v14, 0x80000000, v14
	v_lshl_add_u32 v15, v16, 23, v15
	v_or3_b32 v7, v14, v15, v7
.LBB6_2982:                             ;   in Loop: Header=BB6_128 Depth=2
	s_or_b64 exec, exec, s[88:89]
.LBB6_2983:                             ;   in Loop: Header=BB6_128 Depth=2
	s_or_b64 exec, exec, s[78:79]
.LBB6_2984:                             ;   in Loop: Header=BB6_128 Depth=2
	s_or_b64 exec, exec, s[20:21]
	v_add_f32_e32 v8, v8, v7
	v_and_b32_e32 v52, 0x7f800000, v8
	v_cmp_ne_u64_e32 vcc, s[56:57], v[52:53]
                                        ; implicit-def: $vgpr36
	s_and_saveexec_b64 s[20:21], vcc
	s_xor_b64 s[78:79], exec, s[20:21]
	s_cbranch_execz .LBB6_2998
; %bb.2985:                             ;   in Loop: Header=BB6_128 Depth=2
	v_and_b32_e32 v52, 0x7fffffff, v8
	v_cmp_gt_u64_e32 vcc, s[58:59], v[52:53]
	v_and_b32_sdwa v7, v8, s53 dst_sel:DWORD dst_unused:UNUSED_PAD src0_sel:BYTE_3 src1_sel:DWORD
                                        ; implicit-def: $vgpr36
	s_and_saveexec_b64 s[20:21], vcc
	s_xor_b64 s[88:89], exec, s[20:21]
	s_cbranch_execz .LBB6_2995
; %bb.2986:                             ;   in Loop: Header=BB6_128 Depth=2
	v_mov_b32_e32 v36, 0
	v_cmp_ne_u32_e32 vcc, 0, v8
	s_and_saveexec_b64 s[90:91], vcc
	s_cbranch_execz .LBB6_2994
; %bb.2987:                             ;   in Loop: Header=BB6_128 Depth=2
	v_and_b32_e32 v14, 0x7fffff, v8
	v_bfe_u32 v8, v8, 23, 8
	v_cmp_gt_u32_e64 s[20:21], s54, v8
	v_sub_u32_e32 v15, 0x79, v8
	v_cmp_eq_u32_e32 vcc, 0, v8
	v_cndmask_b32_e64 v15, 0, v15, s[20:21]
	v_mov_b32_e32 v25, 0x78
	v_or_b32_e32 v16, 0x800000, v14
	v_cndmask_b32_e32 v25, v15, v25, vcc
	v_cndmask_b32_e32 v52, v16, v14, vcc
	v_add_u32_e32 v14, 20, v25
	v_lshlrev_b64 v[14:15], v14, -1
	v_add_u32_e32 v16, 19, v25
	v_lshlrev_b64 v[30:31], v16, 1
	v_bfi_b32 v15, v15, 0, 0
	v_bfi_b32 v14, v14, 0, v52
	v_cmp_eq_u64_e64 s[20:21], v[14:15], v[30:31]
	v_lshrrev_b64 v[14:15], v25, v[52:53]
	v_mov_b32_e32 v16, v15
	v_mov_b32_e32 v15, v14
	s_and_saveexec_b64 s[92:93], s[20:21]
; %bb.2988:                             ;   in Loop: Header=BB6_128 Depth=2
	v_bfe_u32 v15, v14, 20, 1
	v_add_co_u32_e64 v15, s[20:21], v14, v15
	v_add_co_u32_e64 v15, s[20:21], -1, v15
; %bb.2989:                             ;   in Loop: Header=BB6_128 Depth=2
	s_or_b64 exec, exec, s[92:93]
	v_add_u32_e32 v8, 0xffffff81, v8
	v_mov_b32_e32 v16, 0xffffff82
	v_cndmask_b32_e32 v8, v8, v16, vcc
	v_lshrrev_b32_e32 v16, 23, v14
	v_add3_u32 v25, v25, v8, v16
	v_add_u32_e32 v16, 6, v25
	v_and_b32_e32 v8, 0xfffff, v15
	v_add_u32_e32 v52, v8, v14
	v_cmp_ne_u32_e32 vcc, 0, v16
                                        ; implicit-def: $vgpr14_vgpr15
                                        ; implicit-def: $vgpr8
	s_and_saveexec_b64 s[20:21], vcc
	s_xor_b64 s[20:21], exec, s[20:21]
; %bb.2990:                             ;   in Loop: Header=BB6_128 Depth=2
	v_cmp_lt_u64_e32 vcc, s[60:61], v[52:53]
	v_add_u32_e32 v8, 7, v25
	v_cndmask_b32_e64 v14, 0, 1, vcc
	v_lshrrev_b64 v[14:15], v14, v[52:53]
	v_cndmask_b32_e32 v8, v16, v8, vcc
; %bb.2991:                             ;   in Loop: Header=BB6_128 Depth=2
	s_andn2_saveexec_b64 s[20:21], s[20:21]
; %bb.2992:                             ;   in Loop: Header=BB6_128 Depth=2
	v_mov_b32_e32 v14, v52
	v_bfe_u32 v8, v52, 23, 1
	v_mov_b32_e32 v15, v53
; %bb.2993:                             ;   in Loop: Header=BB6_128 Depth=2
	s_or_b64 exec, exec, s[20:21]
	v_lshrrev_b64 v[14:15], 20, v[14:15]
	v_cmp_gt_i32_e32 vcc, 16, v8
	v_cndmask_b32_e32 v15, 0, v15, vcc
	v_cndmask_b32_e32 v14, 7, v14, vcc
	v_cmp_eq_u32_e32 vcc, 0, v8
	v_min_i32_e32 v8, 15, v8
	v_cmp_eq_u64_e64 s[20:21], 0, v[14:15]
	v_lshlrev_b32_e32 v8, 3, v8
	v_and_b32_e32 v8, 0xf8, v8
	v_and_or_b32 v8, v14, 7, v8
	s_and_b64 s[20:21], vcc, s[20:21]
	v_cndmask_b32_e64 v8, v8, 0, s[20:21]
	v_or_b32_e32 v36, v8, v7
.LBB6_2994:                             ;   in Loop: Header=BB6_128 Depth=2
	s_or_b64 exec, exec, s[90:91]
                                        ; implicit-def: $vgpr7
.LBB6_2995:                             ;   in Loop: Header=BB6_128 Depth=2
	s_andn2_saveexec_b64 s[20:21], s[88:89]
; %bb.2996:                             ;   in Loop: Header=BB6_128 Depth=2
	v_or_b32_e32 v36, 0x7e, v7
; %bb.2997:                             ;   in Loop: Header=BB6_128 Depth=2
	s_or_b64 exec, exec, s[20:21]
                                        ; implicit-def: $vgpr8
.LBB6_2998:                             ;   in Loop: Header=BB6_128 Depth=2
	s_andn2_saveexec_b64 s[20:21], s[78:79]
; %bb.2999:                             ;   in Loop: Header=BB6_128 Depth=2
	v_or_b32_sdwa v36, v8, s51 dst_sel:DWORD dst_unused:UNUSED_PAD src0_sel:BYTE_3 src1_sel:DWORD
; %bb.3000:                             ;   in Loop: Header=BB6_128 Depth=2
	s_or_b64 exec, exec, s[20:21]
	buffer_load_dword v7, off, s[0:3], s33 offset:128 ; 4-byte Folded Reload
	buffer_load_dword v8, off, s[0:3], s33 offset:148 ; 4-byte Folded Reload
	;; [unrolled: 1-line block ×3, first 2 shown]
	v_cmp_ne_u32_e32 vcc, 0, v9
	s_waitcnt vmcnt(2)
	v_lshl_or_b32 v7, v7, 8, v9
	s_waitcnt vmcnt(1)
	v_lshlrev_b32_e32 v8, 16, v8
	s_waitcnt vmcnt(0)
	v_lshlrev_b32_e32 v14, 24, v14
	v_or3_b32 v52, v8, v14, v7
	v_mov_b32_e32 v14, 0
	v_mov_b32_e32 v8, 0
	s_and_saveexec_b64 s[20:21], vcc
	s_cbranch_execz .LBB6_3006
; %bb.3001:                             ;   in Loop: Header=BB6_128 Depth=2
	v_cmp_ne_u32_e32 vcc, s53, v9
	v_bfrev_b32_e32 v8, 1
	s_and_saveexec_b64 s[78:79], vcc
	s_cbranch_execz .LBB6_3005
; %bb.3002:                             ;   in Loop: Header=BB6_128 Depth=2
	v_and_b32_e32 v15, 0x7f, v9
	v_cmp_ne_u32_e32 vcc, s51, v15
	v_mov_b32_e32 v8, 0x7f800001
	s_and_saveexec_b64 s[88:89], vcc
	s_cbranch_execz .LBB6_3004
; %bb.3003:                             ;   in Loop: Header=BB6_128 Depth=2
	v_and_b32_e32 v8, 7, v9
	v_ffbh_u32_e32 v8, v8
	v_min_u32_e32 v8, 32, v8
	v_lshrrev_b32_e32 v9, 3, v15
	v_cmp_gt_u32_e32 vcc, 8, v15
	v_subrev_u32_e32 v15, 28, v8
	v_sub_u32_e32 v8, 29, v8
	v_cndmask_b32_e32 v16, v9, v8, vcc
	v_cndmask_b32_e32 v8, 0, v15, vcc
	v_lshlrev_b64 v[8:9], v8, v[52:53]
	v_lshlrev_b32_e32 v9, 24, v52
	v_lshlrev_b32_e32 v8, 20, v8
	v_bfrev_b32_e32 v15, 60
	v_and_b32_e32 v8, 0x700000, v8
	v_and_b32_e32 v9, 0x80000000, v9
	v_lshl_add_u32 v15, v16, 23, v15
	v_or3_b32 v8, v9, v15, v8
.LBB6_3004:                             ;   in Loop: Header=BB6_128 Depth=2
	s_or_b64 exec, exec, s[88:89]
.LBB6_3005:                             ;   in Loop: Header=BB6_128 Depth=2
	s_or_b64 exec, exec, s[78:79]
.LBB6_3006:                             ;   in Loop: Header=BB6_128 Depth=2
	s_or_b64 exec, exec, s[20:21]
	v_cmp_ne_u16_sdwa s[78:79], v11, v53 src0_sel:BYTE_0 src1_sel:DWORD
	s_and_saveexec_b64 s[20:21], s[78:79]
	s_cbranch_execz .LBB6_3012
; %bb.3007:                             ;   in Loop: Header=BB6_128 Depth=2
	v_cmp_ne_u16_sdwa s[88:89], v11, s53 src0_sel:BYTE_0 src1_sel:DWORD
	v_bfrev_b32_e32 v14, 1
	s_and_saveexec_b64 s[78:79], s[88:89]
	s_cbranch_execz .LBB6_3011
; %bb.3008:                             ;   in Loop: Header=BB6_128 Depth=2
	v_and_b32_e32 v9, 0x7f, v11
	v_cmp_ne_u32_e32 vcc, s51, v9
	v_mov_b32_e32 v14, 0x7f800001
	s_and_saveexec_b64 s[88:89], vcc
	s_cbranch_execz .LBB6_3010
; %bb.3009:                             ;   in Loop: Header=BB6_128 Depth=2
	v_and_b32_e32 v16, 7, v11
	v_lshrrev_b32_e32 v25, 3, v9
	v_cmp_gt_u32_e32 vcc, 8, v9
	v_ffbh_u32_e32 v9, v16
	v_min_u32_e32 v9, 32, v9
	v_subrev_u32_e32 v16, 28, v9
	v_mov_b32_e32 v14, v11
	v_mov_b32_e32 v15, v53
	v_cndmask_b32_e32 v16, 0, v16, vcc
	v_lshlrev_b64 v[15:16], v16, v[14:15]
	v_sub_u32_e32 v9, 29, v9
	v_cndmask_b32_e32 v9, v25, v9, vcc
	v_lshlrev_b32_e32 v15, 20, v15
	v_lshlrev_b32_e32 v14, 24, v14
	v_bfrev_b32_e32 v16, 60
	v_and_b32_e32 v15, 0x700000, v15
	v_and_b32_e32 v14, 0x80000000, v14
	v_lshl_add_u32 v9, v9, 23, v16
	v_or3_b32 v14, v14, v9, v15
.LBB6_3010:                             ;   in Loop: Header=BB6_128 Depth=2
	s_or_b64 exec, exec, s[88:89]
.LBB6_3011:                             ;   in Loop: Header=BB6_128 Depth=2
	s_or_b64 exec, exec, s[78:79]
.LBB6_3012:                             ;   in Loop: Header=BB6_128 Depth=2
	s_or_b64 exec, exec, s[20:21]
	v_add_f32_e32 v14, v8, v14
	v_and_b32_e32 v8, 0x7f800000, v14
	v_mov_b32_e32 v9, v53
	v_cmp_ne_u64_e32 vcc, s[56:57], v[8:9]
                                        ; implicit-def: $vgpr9
	s_and_saveexec_b64 s[20:21], vcc
	s_xor_b64 s[78:79], exec, s[20:21]
	s_cbranch_execz .LBB6_3026
; %bb.3013:                             ;   in Loop: Header=BB6_128 Depth=2
	v_and_b32_e32 v8, 0x7fffffff, v14
	v_mov_b32_e32 v9, v53
	v_cmp_gt_u64_e32 vcc, s[58:59], v[8:9]
	v_and_b32_sdwa v8, v14, s53 dst_sel:DWORD dst_unused:UNUSED_PAD src0_sel:BYTE_3 src1_sel:DWORD
                                        ; implicit-def: $vgpr9
	s_and_saveexec_b64 s[20:21], vcc
	s_xor_b64 s[88:89], exec, s[20:21]
	s_cbranch_execz .LBB6_3023
; %bb.3014:                             ;   in Loop: Header=BB6_128 Depth=2
	v_mov_b32_e32 v9, 0
	v_cmp_ne_u32_e32 vcc, 0, v14
	s_and_saveexec_b64 s[90:91], vcc
	s_cbranch_execz .LBB6_3022
; %bb.3015:                             ;   in Loop: Header=BB6_128 Depth=2
	v_bfe_u32 v9, v14, 23, 8
	v_and_b32_e32 v15, 0x7fffff, v14
	v_cmp_gt_u32_e64 s[20:21], s54, v9
	v_sub_u32_e32 v14, 0x79, v9
	v_cmp_eq_u32_e32 vcc, 0, v9
	v_cndmask_b32_e64 v14, 0, v14, s[20:21]
	v_mov_b32_e32 v25, 0x78
	v_or_b32_e32 v16, 0x800000, v15
	v_cndmask_b32_e32 v25, v14, v25, vcc
	v_cndmask_b32_e32 v14, v16, v15, vcc
	v_add_u32_e32 v16, 20, v25
	v_lshlrev_b64 v[30:31], v16, -1
	v_mov_b32_e32 v15, v53
	v_add_u32_e32 v16, 19, v25
	v_bfi_b32 v30, v30, 0, v14
	v_lshlrev_b64 v[32:33], v16, 1
	v_lshrrev_b64 v[14:15], v25, v[14:15]
	v_bfi_b32 v31, v31, 0, 0
	v_cmp_eq_u64_e64 s[20:21], v[30:31], v[32:33]
	v_mov_b32_e32 v16, v15
	v_mov_b32_e32 v15, v14
	s_and_saveexec_b64 s[92:93], s[20:21]
; %bb.3016:                             ;   in Loop: Header=BB6_128 Depth=2
	v_bfe_u32 v15, v14, 20, 1
	v_add_co_u32_e64 v15, s[20:21], v14, v15
	v_add_co_u32_e64 v15, s[20:21], -1, v15
; %bb.3017:                             ;   in Loop: Header=BB6_128 Depth=2
	s_or_b64 exec, exec, s[92:93]
	v_add_u32_e32 v9, 0xffffff81, v9
	v_mov_b32_e32 v16, 0xffffff82
	v_cndmask_b32_e32 v9, v9, v16, vcc
	v_lshrrev_b32_e32 v16, 23, v14
	v_add3_u32 v25, v25, v9, v16
	v_add_u32_e32 v16, 6, v25
	v_and_b32_e32 v9, 0xfffff, v15
	v_add_u32_e32 v14, v9, v14
	v_mov_b32_e32 v15, v53
	v_cmp_ne_u32_e32 vcc, 0, v16
                                        ; implicit-def: $vgpr9
	s_and_saveexec_b64 s[20:21], vcc
	s_xor_b64 s[20:21], exec, s[20:21]
; %bb.3018:                             ;   in Loop: Header=BB6_128 Depth=2
	v_cmp_lt_u64_e32 vcc, s[60:61], v[14:15]
	v_add_u32_e32 v9, 7, v25
	v_cndmask_b32_e32 v9, v16, v9, vcc
	v_cndmask_b32_e64 v16, 0, 1, vcc
	v_lshrrev_b64 v[14:15], v16, v[14:15]
; %bb.3019:                             ;   in Loop: Header=BB6_128 Depth=2
	s_andn2_saveexec_b64 s[20:21], s[20:21]
; %bb.3020:                             ;   in Loop: Header=BB6_128 Depth=2
	v_bfe_u32 v9, v14, 23, 1
; %bb.3021:                             ;   in Loop: Header=BB6_128 Depth=2
	s_or_b64 exec, exec, s[20:21]
	v_lshrrev_b64 v[14:15], 20, v[14:15]
	v_cmp_gt_i32_e32 vcc, 16, v9
	v_cndmask_b32_e32 v15, 0, v15, vcc
	v_cndmask_b32_e32 v14, 7, v14, vcc
	v_cmp_eq_u32_e32 vcc, 0, v9
	v_min_i32_e32 v9, 15, v9
	v_cmp_eq_u64_e64 s[20:21], 0, v[14:15]
	v_lshlrev_b32_e32 v9, 3, v9
	v_and_b32_e32 v9, 0xf8, v9
	v_and_or_b32 v9, v14, 7, v9
	s_and_b64 s[20:21], vcc, s[20:21]
	v_cndmask_b32_e64 v9, v9, 0, s[20:21]
	v_or_b32_e32 v9, v9, v8
.LBB6_3022:                             ;   in Loop: Header=BB6_128 Depth=2
	s_or_b64 exec, exec, s[90:91]
                                        ; implicit-def: $vgpr8
.LBB6_3023:                             ;   in Loop: Header=BB6_128 Depth=2
	s_andn2_saveexec_b64 s[20:21], s[88:89]
; %bb.3024:                             ;   in Loop: Header=BB6_128 Depth=2
	v_or_b32_e32 v9, 0x7e, v8
; %bb.3025:                             ;   in Loop: Header=BB6_128 Depth=2
	s_or_b64 exec, exec, s[20:21]
                                        ; implicit-def: $vgpr14
.LBB6_3026:                             ;   in Loop: Header=BB6_128 Depth=2
	s_andn2_saveexec_b64 s[20:21], s[78:79]
; %bb.3027:                             ;   in Loop: Header=BB6_128 Depth=2
	v_or_b32_sdwa v9, v14, s51 dst_sel:DWORD dst_unused:UNUSED_PAD src0_sel:BYTE_3 src1_sel:DWORD
; %bb.3028:                             ;   in Loop: Header=BB6_128 Depth=2
	s_or_b64 exec, exec, s[20:21]
	v_lshrrev_b16_e32 v14, 8, v7
	v_cmp_ne_u16_e32 vcc, 0, v14
	v_mov_b32_e32 v8, 0
	v_mov_b32_e32 v15, 0
	s_and_saveexec_b64 s[20:21], vcc
	s_cbranch_execz .LBB6_3034
; %bb.3029:                             ;   in Loop: Header=BB6_128 Depth=2
	v_cmp_ne_u16_e32 vcc, s53, v14
	v_bfrev_b32_e32 v15, 1
	s_and_saveexec_b64 s[78:79], vcc
	s_cbranch_execz .LBB6_3033
; %bb.3030:                             ;   in Loop: Header=BB6_128 Depth=2
	v_and_b32_e32 v16, 0x7f, v14
	v_cmp_ne_u32_e32 vcc, s51, v16
	v_mov_b32_e32 v15, 0x7f800001
	s_and_saveexec_b64 s[88:89], vcc
	s_cbranch_execz .LBB6_3032
; %bb.3031:                             ;   in Loop: Header=BB6_128 Depth=2
	v_and_b32_e32 v25, 7, v14
	v_ffbh_u32_e32 v15, v25
	v_lshrrev_b32_e32 v28, 3, v16
	v_cmp_gt_u32_e32 vcc, 8, v16
	v_min_u32_e32 v16, 32, v15
	v_subrev_u32_e32 v15, 28, v16
	v_lshlrev_b64 v[14:15], v15, v[14:15]
	v_sub_u32_e32 v15, 29, v16
	v_and_b32_e32 v14, 7, v14
	v_cndmask_b32_e32 v15, v28, v15, vcc
	v_cndmask_b32_e32 v14, v25, v14, vcc
	v_lshlrev_b32_e32 v7, 16, v7
	v_bfrev_b32_e32 v16, 60
	v_lshlrev_b32_e32 v14, 20, v14
	v_and_b32_e32 v7, 0x80000000, v7
	v_lshl_add_u32 v15, v15, 23, v16
	v_or3_b32 v15, v7, v15, v14
.LBB6_3032:                             ;   in Loop: Header=BB6_128 Depth=2
	s_or_b64 exec, exec, s[88:89]
.LBB6_3033:                             ;   in Loop: Header=BB6_128 Depth=2
	s_or_b64 exec, exec, s[78:79]
.LBB6_3034:                             ;   in Loop: Header=BB6_128 Depth=2
	s_or_b64 exec, exec, s[20:21]
	v_lshrrev_b16_e32 v14, 8, v11
	v_cmp_ne_u16_e32 vcc, 0, v14
	s_and_saveexec_b64 s[20:21], vcc
	s_cbranch_execz .LBB6_3040
; %bb.3035:                             ;   in Loop: Header=BB6_128 Depth=2
	v_cmp_ne_u16_e32 vcc, s53, v14
	v_bfrev_b32_e32 v8, 1
	s_and_saveexec_b64 s[78:79], vcc
	s_cbranch_execz .LBB6_3039
; %bb.3036:                             ;   in Loop: Header=BB6_128 Depth=2
	v_and_b32_e32 v7, 0x7f, v14
	v_cmp_ne_u32_e32 vcc, s51, v7
	v_mov_b32_e32 v8, 0x7f800001
	s_and_saveexec_b64 s[88:89], vcc
	s_cbranch_execz .LBB6_3038
; %bb.3037:                             ;   in Loop: Header=BB6_128 Depth=2
	v_and_b32_e32 v16, 7, v14
	v_lshrrev_b32_e32 v25, 3, v7
	v_cmp_gt_u32_e32 vcc, 8, v7
	v_ffbh_u32_e32 v7, v16
	v_min_u32_e32 v28, 32, v7
	v_subrev_u32_e32 v7, 28, v28
	v_lshlrev_b64 v[7:8], v7, v[14:15]
	v_sub_u32_e32 v8, 29, v28
	v_and_b32_e32 v7, 7, v7
	v_cndmask_b32_e32 v8, v25, v8, vcc
	v_cndmask_b32_e32 v7, v16, v7, vcc
	v_lshlrev_b32_e32 v14, 16, v11
	v_bfrev_b32_e32 v16, 60
	v_lshlrev_b32_e32 v7, 20, v7
	v_and_b32_e32 v14, 0x80000000, v14
	v_lshl_add_u32 v8, v8, 23, v16
	v_or3_b32 v8, v14, v8, v7
.LBB6_3038:                             ;   in Loop: Header=BB6_128 Depth=2
	s_or_b64 exec, exec, s[88:89]
.LBB6_3039:                             ;   in Loop: Header=BB6_128 Depth=2
	s_or_b64 exec, exec, s[78:79]
.LBB6_3040:                             ;   in Loop: Header=BB6_128 Depth=2
	s_or_b64 exec, exec, s[20:21]
	v_add_f32_e32 v8, v15, v8
	v_and_b32_e32 v14, 0x7f800000, v8
	v_mov_b32_e32 v15, v53
	v_cmp_ne_u64_e32 vcc, s[56:57], v[14:15]
                                        ; implicit-def: $vgpr55
	s_and_saveexec_b64 s[20:21], vcc
	s_xor_b64 s[78:79], exec, s[20:21]
	s_cbranch_execz .LBB6_3054
; %bb.3041:                             ;   in Loop: Header=BB6_128 Depth=2
	v_and_b32_e32 v14, 0x7fffffff, v8
	v_mov_b32_e32 v15, v53
	v_cmp_gt_u64_e32 vcc, s[58:59], v[14:15]
	v_and_b32_sdwa v7, v8, s53 dst_sel:DWORD dst_unused:UNUSED_PAD src0_sel:BYTE_3 src1_sel:DWORD
                                        ; implicit-def: $vgpr55
	s_and_saveexec_b64 s[20:21], vcc
	s_xor_b64 s[88:89], exec, s[20:21]
	s_cbranch_execz .LBB6_3051
; %bb.3042:                             ;   in Loop: Header=BB6_128 Depth=2
	v_mov_b32_e32 v55, 0
	v_cmp_ne_u32_e32 vcc, 0, v8
	s_and_saveexec_b64 s[90:91], vcc
	s_cbranch_execz .LBB6_3050
; %bb.3043:                             ;   in Loop: Header=BB6_128 Depth=2
	v_and_b32_e32 v14, 0x7fffff, v8
	v_bfe_u32 v8, v8, 23, 8
	v_cmp_gt_u32_e64 s[20:21], s54, v8
	v_sub_u32_e32 v15, 0x79, v8
	v_cmp_eq_u32_e32 vcc, 0, v8
	v_cndmask_b32_e64 v15, 0, v15, s[20:21]
	v_mov_b32_e32 v25, 0x78
	v_or_b32_e32 v16, 0x800000, v14
	v_cndmask_b32_e32 v25, v15, v25, vcc
	v_cndmask_b32_e32 v14, v16, v14, vcc
	v_add_u32_e32 v16, 20, v25
	v_lshlrev_b64 v[30:31], v16, -1
	v_mov_b32_e32 v15, v53
	v_add_u32_e32 v16, 19, v25
	v_bfi_b32 v30, v30, 0, v14
	v_lshlrev_b64 v[32:33], v16, 1
	v_lshrrev_b64 v[14:15], v25, v[14:15]
	v_bfi_b32 v31, v31, 0, 0
	v_cmp_eq_u64_e64 s[20:21], v[30:31], v[32:33]
	v_mov_b32_e32 v16, v15
	v_mov_b32_e32 v15, v14
	s_and_saveexec_b64 s[92:93], s[20:21]
; %bb.3044:                             ;   in Loop: Header=BB6_128 Depth=2
	v_bfe_u32 v15, v14, 20, 1
	v_add_co_u32_e64 v15, s[20:21], v14, v15
	v_add_co_u32_e64 v15, s[20:21], -1, v15
; %bb.3045:                             ;   in Loop: Header=BB6_128 Depth=2
	s_or_b64 exec, exec, s[92:93]
	v_add_u32_e32 v8, 0xffffff81, v8
	v_mov_b32_e32 v16, 0xffffff82
	v_cndmask_b32_e32 v8, v8, v16, vcc
	v_lshrrev_b32_e32 v16, 23, v14
	v_add3_u32 v25, v25, v8, v16
	v_add_u32_e32 v16, 6, v25
	v_and_b32_e32 v8, 0xfffff, v15
	v_add_u32_e32 v14, v8, v14
	v_mov_b32_e32 v15, v53
	v_cmp_ne_u32_e32 vcc, 0, v16
                                        ; implicit-def: $vgpr8
	s_and_saveexec_b64 s[20:21], vcc
	s_xor_b64 s[20:21], exec, s[20:21]
; %bb.3046:                             ;   in Loop: Header=BB6_128 Depth=2
	v_cmp_lt_u64_e32 vcc, s[60:61], v[14:15]
	v_add_u32_e32 v8, 7, v25
	v_cndmask_b32_e32 v8, v16, v8, vcc
	v_cndmask_b32_e64 v16, 0, 1, vcc
	v_lshrrev_b64 v[14:15], v16, v[14:15]
; %bb.3047:                             ;   in Loop: Header=BB6_128 Depth=2
	s_andn2_saveexec_b64 s[20:21], s[20:21]
; %bb.3048:                             ;   in Loop: Header=BB6_128 Depth=2
	v_bfe_u32 v8, v14, 23, 1
; %bb.3049:                             ;   in Loop: Header=BB6_128 Depth=2
	s_or_b64 exec, exec, s[20:21]
	v_lshrrev_b64 v[14:15], 20, v[14:15]
	v_cmp_gt_i32_e32 vcc, 16, v8
	v_cndmask_b32_e32 v15, 0, v15, vcc
	v_cndmask_b32_e32 v14, 7, v14, vcc
	v_cmp_eq_u32_e32 vcc, 0, v8
	v_min_i32_e32 v8, 15, v8
	v_cmp_eq_u64_e64 s[20:21], 0, v[14:15]
	v_lshlrev_b32_e32 v8, 3, v8
	v_and_b32_e32 v8, 0xf8, v8
	v_and_or_b32 v8, v14, 7, v8
	s_and_b64 s[20:21], vcc, s[20:21]
	v_cndmask_b32_e64 v8, v8, 0, s[20:21]
	v_or_b32_e32 v55, v8, v7
.LBB6_3050:                             ;   in Loop: Header=BB6_128 Depth=2
	s_or_b64 exec, exec, s[90:91]
                                        ; implicit-def: $vgpr7
.LBB6_3051:                             ;   in Loop: Header=BB6_128 Depth=2
	s_andn2_saveexec_b64 s[20:21], s[88:89]
; %bb.3052:                             ;   in Loop: Header=BB6_128 Depth=2
	v_or_b32_e32 v55, 0x7e, v7
; %bb.3053:                             ;   in Loop: Header=BB6_128 Depth=2
	s_or_b64 exec, exec, s[20:21]
                                        ; implicit-def: $vgpr8
.LBB6_3054:                             ;   in Loop: Header=BB6_128 Depth=2
	s_andn2_saveexec_b64 s[20:21], s[78:79]
; %bb.3055:                             ;   in Loop: Header=BB6_128 Depth=2
	v_or_b32_sdwa v55, v8, s51 dst_sel:DWORD dst_unused:UNUSED_PAD src0_sel:BYTE_3 src1_sel:DWORD
; %bb.3056:                             ;   in Loop: Header=BB6_128 Depth=2
	s_or_b64 exec, exec, s[20:21]
	v_lshrrev_b32_e32 v14, 16, v52
	v_cmp_ne_u16_sdwa s[78:79], v14, v53 src0_sel:BYTE_0 src1_sel:DWORD
	v_mov_b32_e32 v7, 0
	v_mov_b32_e32 v8, 0
	s_and_saveexec_b64 s[20:21], s[78:79]
	s_cbranch_execz .LBB6_3062
; %bb.3057:                             ;   in Loop: Header=BB6_128 Depth=2
	v_cmp_ne_u16_sdwa s[88:89], v14, s53 src0_sel:BYTE_0 src1_sel:DWORD
	v_bfrev_b32_e32 v8, 1
	s_and_saveexec_b64 s[78:79], s[88:89]
	s_cbranch_execz .LBB6_3061
; %bb.3058:                             ;   in Loop: Header=BB6_128 Depth=2
	v_bfe_u32 v15, v52, 16, 7
	v_cmp_ne_u32_e32 vcc, s51, v15
	v_mov_b32_e32 v8, 0x7f800001
	s_and_saveexec_b64 s[88:89], vcc
	s_cbranch_execz .LBB6_3060
; %bb.3059:                             ;   in Loop: Header=BB6_128 Depth=2
	v_and_b32_e32 v8, 7, v14
	v_lshrrev_b32_e32 v25, 3, v15
	v_cmp_gt_u32_e32 vcc, 8, v15
	v_ffbh_u32_e32 v15, v8
	v_min_u32_e32 v28, 32, v15
	v_subrev_u32_e32 v15, 28, v28
	v_lshlrev_b64 v[15:16], v15, v[14:15]
	v_sub_u32_e32 v16, 29, v28
	v_and_b32_e32 v15, 7, v15
	v_cndmask_b32_e32 v16, v25, v16, vcc
	v_cndmask_b32_e32 v8, v8, v15, vcc
	v_lshlrev_b32_e32 v14, 24, v14
	v_bfrev_b32_e32 v15, 60
	v_lshlrev_b32_e32 v8, 20, v8
	v_and_b32_e32 v14, 0x80000000, v14
	v_lshl_add_u32 v15, v16, 23, v15
	v_or3_b32 v8, v14, v15, v8
.LBB6_3060:                             ;   in Loop: Header=BB6_128 Depth=2
	s_or_b64 exec, exec, s[88:89]
.LBB6_3061:                             ;   in Loop: Header=BB6_128 Depth=2
	s_or_b64 exec, exec, s[78:79]
.LBB6_3062:                             ;   in Loop: Header=BB6_128 Depth=2
	s_or_b64 exec, exec, s[20:21]
	v_lshrrev_b32_e32 v14, 16, v11
	v_cmp_ne_u16_sdwa s[78:79], v14, v53 src0_sel:BYTE_0 src1_sel:DWORD
	s_and_saveexec_b64 s[20:21], s[78:79]
	s_cbranch_execz .LBB6_3068
; %bb.3063:                             ;   in Loop: Header=BB6_128 Depth=2
	v_cmp_ne_u16_sdwa s[88:89], v14, s53 src0_sel:BYTE_0 src1_sel:DWORD
	v_bfrev_b32_e32 v7, 1
	s_and_saveexec_b64 s[78:79], s[88:89]
	s_cbranch_execz .LBB6_3067
; %bb.3064:                             ;   in Loop: Header=BB6_128 Depth=2
	v_bfe_u32 v15, v11, 16, 7
	v_cmp_ne_u32_e32 vcc, s51, v15
	v_mov_b32_e32 v7, 0x7f800001
	s_and_saveexec_b64 s[88:89], vcc
	s_cbranch_execz .LBB6_3066
; %bb.3065:                             ;   in Loop: Header=BB6_128 Depth=2
	v_and_b32_e32 v7, 7, v14
	v_lshrrev_b32_e32 v16, 3, v15
	v_cmp_gt_u32_e32 vcc, 8, v15
	v_ffbh_u32_e32 v15, v7
	v_min_u32_e32 v25, 32, v15
	v_subrev_u32_e32 v15, 28, v25
	v_lshlrev_b64 v[14:15], v15, v[14:15]
	v_sub_u32_e32 v15, 29, v25
	v_and_b32_e32 v14, 7, v14
	v_cndmask_b32_e32 v15, v16, v15, vcc
	v_cndmask_b32_e32 v7, v7, v14, vcc
	v_lshlrev_b32_e32 v14, 8, v11
	v_bfrev_b32_e32 v16, 60
	v_lshlrev_b32_e32 v7, 20, v7
	v_and_b32_e32 v14, 0x80000000, v14
	v_lshl_add_u32 v15, v15, 23, v16
	v_or3_b32 v7, v14, v15, v7
.LBB6_3066:                             ;   in Loop: Header=BB6_128 Depth=2
	s_or_b64 exec, exec, s[88:89]
.LBB6_3067:                             ;   in Loop: Header=BB6_128 Depth=2
	s_or_b64 exec, exec, s[78:79]
.LBB6_3068:                             ;   in Loop: Header=BB6_128 Depth=2
	s_or_b64 exec, exec, s[20:21]
	v_add_f32_e32 v8, v8, v7
	v_and_b32_e32 v14, 0x7f800000, v8
	v_mov_b32_e32 v15, v53
	v_cmp_ne_u64_e32 vcc, s[56:57], v[14:15]
                                        ; implicit-def: $vgpr16
	s_and_saveexec_b64 s[20:21], vcc
	s_xor_b64 s[78:79], exec, s[20:21]
	s_cbranch_execz .LBB6_3082
; %bb.3069:                             ;   in Loop: Header=BB6_128 Depth=2
	v_and_b32_e32 v14, 0x7fffffff, v8
	v_mov_b32_e32 v15, v53
	v_cmp_gt_u64_e32 vcc, s[58:59], v[14:15]
	v_and_b32_sdwa v7, v8, s53 dst_sel:DWORD dst_unused:UNUSED_PAD src0_sel:BYTE_3 src1_sel:DWORD
                                        ; implicit-def: $vgpr16
	s_and_saveexec_b64 s[20:21], vcc
	s_xor_b64 s[88:89], exec, s[20:21]
	s_cbranch_execz .LBB6_3079
; %bb.3070:                             ;   in Loop: Header=BB6_128 Depth=2
	v_mov_b32_e32 v16, 0
	v_cmp_ne_u32_e32 vcc, 0, v8
	s_and_saveexec_b64 s[90:91], vcc
	s_cbranch_execz .LBB6_3078
; %bb.3071:                             ;   in Loop: Header=BB6_128 Depth=2
	v_and_b32_e32 v14, 0x7fffff, v8
	v_bfe_u32 v8, v8, 23, 8
	v_cmp_gt_u32_e64 s[20:21], s54, v8
	v_sub_u32_e32 v15, 0x79, v8
	v_cmp_eq_u32_e32 vcc, 0, v8
	v_cndmask_b32_e64 v15, 0, v15, s[20:21]
	v_mov_b32_e32 v25, 0x78
	v_or_b32_e32 v16, 0x800000, v14
	v_cndmask_b32_e32 v25, v15, v25, vcc
	v_cndmask_b32_e32 v14, v16, v14, vcc
	v_add_u32_e32 v16, 20, v25
	v_lshlrev_b64 v[30:31], v16, -1
	v_mov_b32_e32 v15, v53
	v_add_u32_e32 v16, 19, v25
	v_bfi_b32 v30, v30, 0, v14
	v_lshlrev_b64 v[32:33], v16, 1
	v_lshrrev_b64 v[14:15], v25, v[14:15]
	v_bfi_b32 v31, v31, 0, 0
	v_cmp_eq_u64_e64 s[20:21], v[30:31], v[32:33]
	v_mov_b32_e32 v16, v15
	v_mov_b32_e32 v15, v14
	s_and_saveexec_b64 s[92:93], s[20:21]
; %bb.3072:                             ;   in Loop: Header=BB6_128 Depth=2
	v_bfe_u32 v15, v14, 20, 1
	v_add_co_u32_e64 v15, s[20:21], v14, v15
	v_add_co_u32_e64 v15, s[20:21], -1, v15
; %bb.3073:                             ;   in Loop: Header=BB6_128 Depth=2
	s_or_b64 exec, exec, s[92:93]
	v_add_u32_e32 v8, 0xffffff81, v8
	v_mov_b32_e32 v16, 0xffffff82
	v_cndmask_b32_e32 v8, v8, v16, vcc
	v_lshrrev_b32_e32 v16, 23, v14
	v_add3_u32 v25, v25, v8, v16
	v_add_u32_e32 v16, 6, v25
	v_and_b32_e32 v8, 0xfffff, v15
	v_add_u32_e32 v14, v8, v14
	v_mov_b32_e32 v15, v53
	v_cmp_ne_u32_e32 vcc, 0, v16
                                        ; implicit-def: $vgpr8
	s_and_saveexec_b64 s[20:21], vcc
	s_xor_b64 s[20:21], exec, s[20:21]
; %bb.3074:                             ;   in Loop: Header=BB6_128 Depth=2
	v_cmp_lt_u64_e32 vcc, s[60:61], v[14:15]
	v_add_u32_e32 v8, 7, v25
	v_cndmask_b32_e32 v8, v16, v8, vcc
	v_cndmask_b32_e64 v16, 0, 1, vcc
	v_lshrrev_b64 v[14:15], v16, v[14:15]
; %bb.3075:                             ;   in Loop: Header=BB6_128 Depth=2
	s_andn2_saveexec_b64 s[20:21], s[20:21]
; %bb.3076:                             ;   in Loop: Header=BB6_128 Depth=2
	v_bfe_u32 v8, v14, 23, 1
; %bb.3077:                             ;   in Loop: Header=BB6_128 Depth=2
	s_or_b64 exec, exec, s[20:21]
	v_lshrrev_b64 v[14:15], 20, v[14:15]
	v_cmp_gt_i32_e32 vcc, 16, v8
	v_cndmask_b32_e32 v15, 0, v15, vcc
	v_cndmask_b32_e32 v14, 7, v14, vcc
	v_cmp_eq_u32_e32 vcc, 0, v8
	v_min_i32_e32 v8, 15, v8
	v_cmp_eq_u64_e64 s[20:21], 0, v[14:15]
	v_lshlrev_b32_e32 v8, 3, v8
	v_and_b32_e32 v8, 0xf8, v8
	v_and_or_b32 v8, v14, 7, v8
	s_and_b64 s[20:21], vcc, s[20:21]
	v_cndmask_b32_e64 v8, v8, 0, s[20:21]
	v_or_b32_e32 v16, v8, v7
.LBB6_3078:                             ;   in Loop: Header=BB6_128 Depth=2
	s_or_b64 exec, exec, s[90:91]
                                        ; implicit-def: $vgpr7
.LBB6_3079:                             ;   in Loop: Header=BB6_128 Depth=2
	s_andn2_saveexec_b64 s[20:21], s[88:89]
; %bb.3080:                             ;   in Loop: Header=BB6_128 Depth=2
	v_or_b32_e32 v16, 0x7e, v7
; %bb.3081:                             ;   in Loop: Header=BB6_128 Depth=2
	s_or_b64 exec, exec, s[20:21]
                                        ; implicit-def: $vgpr8
.LBB6_3082:                             ;   in Loop: Header=BB6_128 Depth=2
	s_andn2_saveexec_b64 s[20:21], s[78:79]
; %bb.3083:                             ;   in Loop: Header=BB6_128 Depth=2
	v_or_b32_sdwa v16, v8, s51 dst_sel:DWORD dst_unused:UNUSED_PAD src0_sel:BYTE_3 src1_sel:DWORD
; %bb.3084:                             ;   in Loop: Header=BB6_128 Depth=2
	s_or_b64 exec, exec, s[20:21]
	v_cmp_lt_u32_e32 vcc, s63, v52
	v_mov_b32_e32 v7, 0
	v_mov_b32_e32 v8, 0
	s_and_saveexec_b64 s[20:21], vcc
	s_cbranch_execz .LBB6_3090
; %bb.3085:                             ;   in Loop: Header=BB6_128 Depth=2
	v_lshrrev_b32_e32 v14, 24, v52
	v_cmp_ne_u32_sdwa s[88:89], v52, s53 src0_sel:BYTE_3 src1_sel:DWORD
	v_bfrev_b32_e32 v8, 1
	s_and_saveexec_b64 s[78:79], s[88:89]
	s_cbranch_execz .LBB6_3089
; %bb.3086:                             ;   in Loop: Header=BB6_128 Depth=2
	v_bfe_u32 v15, v52, 24, 7
	v_cmp_ne_u32_e32 vcc, s51, v15
	v_mov_b32_e32 v8, 0x7f800001
	s_and_saveexec_b64 s[88:89], vcc
	s_cbranch_execz .LBB6_3088
; %bb.3087:                             ;   in Loop: Header=BB6_128 Depth=2
	v_and_b32_e32 v8, 7, v14
	v_lshrrev_b32_e32 v25, 3, v15
	v_cmp_gt_u32_e32 vcc, 8, v15
	v_ffbh_u32_e32 v15, v8
	v_min_u32_e32 v28, 32, v15
	v_subrev_u32_e32 v15, 28, v28
	v_lshlrev_b64 v[14:15], v15, v[14:15]
	v_sub_u32_e32 v15, 29, v28
	v_and_b32_e32 v14, 7, v14
	v_cndmask_b32_e32 v8, v8, v14, vcc
	v_mov_b32_e32 v14, 24
	v_cndmask_b32_e32 v15, v25, v15, vcc
	v_lshlrev_b32_sdwa v14, v14, v52 dst_sel:DWORD dst_unused:UNUSED_PAD src0_sel:DWORD src1_sel:BYTE_3
	v_bfrev_b32_e32 v25, 60
	v_lshlrev_b32_e32 v8, 20, v8
	v_and_b32_e32 v14, 0x80000000, v14
	v_lshl_add_u32 v15, v15, 23, v25
	v_or3_b32 v8, v14, v15, v8
.LBB6_3088:                             ;   in Loop: Header=BB6_128 Depth=2
	s_or_b64 exec, exec, s[88:89]
.LBB6_3089:                             ;   in Loop: Header=BB6_128 Depth=2
	s_or_b64 exec, exec, s[78:79]
.LBB6_3090:                             ;   in Loop: Header=BB6_128 Depth=2
	s_or_b64 exec, exec, s[20:21]
	v_cmp_lt_u64_e32 vcc, s[62:63], v[10:11]
	s_and_saveexec_b64 s[20:21], vcc
	s_cbranch_execz .LBB6_3096
; %bb.3091:                             ;   in Loop: Header=BB6_128 Depth=2
	v_lshrrev_b32_e32 v10, 24, v11
	v_cmp_ne_u32_e32 vcc, s53, v10
	v_bfrev_b32_e32 v7, 1
	s_and_saveexec_b64 s[78:79], vcc
	s_cbranch_execz .LBB6_3095
; %bb.3092:                             ;   in Loop: Header=BB6_128 Depth=2
	v_bfe_u32 v11, v11, 24, 7
	v_cmp_ne_u32_e32 vcc, s51, v11
	v_mov_b32_e32 v7, 0x7f800001
	s_and_saveexec_b64 s[88:89], vcc
	s_cbranch_execz .LBB6_3094
; %bb.3093:                             ;   in Loop: Header=BB6_128 Depth=2
	v_and_b32_e32 v7, 7, v10
	v_lshrrev_b32_e32 v25, 3, v11
	v_cmp_gt_u32_e32 vcc, 8, v11
	v_ffbh_u32_e32 v11, v7
	v_min_u32_e32 v11, 32, v11
	v_subrev_u32_e32 v14, 28, v11
	v_lshlrev_b64 v[14:15], v14, v[10:11]
	v_sub_u32_e32 v11, 29, v11
	v_and_b32_e32 v14, 7, v14
	v_cndmask_b32_e32 v11, v25, v11, vcc
	v_cndmask_b32_e32 v7, v7, v14, vcc
	v_lshlrev_b32_e32 v10, 24, v10
	v_bfrev_b32_e32 v14, 60
	v_lshlrev_b32_e32 v7, 20, v7
	v_and_b32_e32 v10, 0x80000000, v10
	v_lshl_add_u32 v11, v11, 23, v14
	v_or3_b32 v7, v10, v11, v7
.LBB6_3094:                             ;   in Loop: Header=BB6_128 Depth=2
	s_or_b64 exec, exec, s[88:89]
.LBB6_3095:                             ;   in Loop: Header=BB6_128 Depth=2
	s_or_b64 exec, exec, s[78:79]
.LBB6_3096:                             ;   in Loop: Header=BB6_128 Depth=2
	s_or_b64 exec, exec, s[20:21]
	v_add_f32_e32 v8, v8, v7
	v_and_b32_e32 v52, 0x7f800000, v8
	v_cmp_ne_u64_e32 vcc, s[56:57], v[52:53]
                                        ; implicit-def: $vgpr62
	s_and_saveexec_b64 s[20:21], vcc
	s_xor_b64 s[78:79], exec, s[20:21]
	s_cbranch_execz .LBB6_3110
; %bb.3097:                             ;   in Loop: Header=BB6_128 Depth=2
	v_and_b32_e32 v52, 0x7fffffff, v8
	v_cmp_gt_u64_e32 vcc, s[58:59], v[52:53]
	v_and_b32_sdwa v7, v8, s53 dst_sel:DWORD dst_unused:UNUSED_PAD src0_sel:BYTE_3 src1_sel:DWORD
                                        ; implicit-def: $vgpr62
	s_and_saveexec_b64 s[20:21], vcc
	s_xor_b64 s[88:89], exec, s[20:21]
	s_cbranch_execz .LBB6_3107
; %bb.3098:                             ;   in Loop: Header=BB6_128 Depth=2
	v_mov_b32_e32 v62, 0
	v_cmp_ne_u32_e32 vcc, 0, v8
	s_and_saveexec_b64 s[90:91], vcc
	s_cbranch_execz .LBB6_3106
; %bb.3099:                             ;   in Loop: Header=BB6_128 Depth=2
	v_and_b32_e32 v10, 0x7fffff, v8
	v_bfe_u32 v8, v8, 23, 8
	v_cmp_gt_u32_e64 s[20:21], s54, v8
	v_sub_u32_e32 v11, 0x79, v8
	v_cmp_eq_u32_e32 vcc, 0, v8
	v_cndmask_b32_e64 v11, 0, v11, s[20:21]
	v_mov_b32_e32 v15, 0x78
	v_or_b32_e32 v14, 0x800000, v10
	v_cndmask_b32_e32 v25, v11, v15, vcc
	v_cndmask_b32_e32 v52, v14, v10, vcc
	v_add_u32_e32 v10, 20, v25
	v_lshlrev_b64 v[10:11], v10, -1
	v_add_u32_e32 v14, 19, v25
	v_lshlrev_b64 v[14:15], v14, 1
	v_bfi_b32 v11, v11, 0, 0
	v_bfi_b32 v10, v10, 0, v52
	v_cmp_eq_u64_e64 s[20:21], v[10:11], v[14:15]
	v_lshrrev_b64 v[10:11], v25, v[52:53]
	v_mov_b32_e32 v15, v11
	v_mov_b32_e32 v14, v10
	s_and_saveexec_b64 s[92:93], s[20:21]
; %bb.3100:                             ;   in Loop: Header=BB6_128 Depth=2
	v_bfe_u32 v11, v10, 20, 1
	v_add_co_u32_e64 v11, s[20:21], v10, v11
	v_add_co_u32_e64 v14, s[20:21], -1, v11
; %bb.3101:                             ;   in Loop: Header=BB6_128 Depth=2
	s_or_b64 exec, exec, s[92:93]
	v_add_u32_e32 v8, 0xffffff81, v8
	v_mov_b32_e32 v11, 0xffffff82
	v_cndmask_b32_e32 v8, v8, v11, vcc
	v_lshrrev_b32_e32 v11, 23, v10
	v_add3_u32 v25, v25, v8, v11
	v_add_u32_e32 v15, 6, v25
	v_and_b32_e32 v8, 0xfffff, v14
	v_add_u32_e32 v52, v8, v10
	v_cmp_ne_u32_e32 vcc, 0, v15
                                        ; implicit-def: $vgpr10_vgpr11
                                        ; implicit-def: $vgpr8
	s_and_saveexec_b64 s[20:21], vcc
	s_xor_b64 s[20:21], exec, s[20:21]
; %bb.3102:                             ;   in Loop: Header=BB6_128 Depth=2
	v_cmp_lt_u64_e32 vcc, s[60:61], v[52:53]
	v_add_u32_e32 v8, 7, v25
	v_cndmask_b32_e64 v10, 0, 1, vcc
	v_lshrrev_b64 v[10:11], v10, v[52:53]
	v_cndmask_b32_e32 v8, v15, v8, vcc
; %bb.3103:                             ;   in Loop: Header=BB6_128 Depth=2
	s_andn2_saveexec_b64 s[20:21], s[20:21]
; %bb.3104:                             ;   in Loop: Header=BB6_128 Depth=2
	v_mov_b32_e32 v10, v52
	v_bfe_u32 v8, v52, 23, 1
	v_mov_b32_e32 v11, v53
; %bb.3105:                             ;   in Loop: Header=BB6_128 Depth=2
	s_or_b64 exec, exec, s[20:21]
	v_lshrrev_b64 v[10:11], 20, v[10:11]
	v_cmp_gt_i32_e32 vcc, 16, v8
	v_cndmask_b32_e32 v11, 0, v11, vcc
	v_cndmask_b32_e32 v10, 7, v10, vcc
	v_cmp_eq_u32_e32 vcc, 0, v8
	v_min_i32_e32 v8, 15, v8
	v_cmp_eq_u64_e64 s[20:21], 0, v[10:11]
	v_lshlrev_b32_e32 v8, 3, v8
	v_and_b32_e32 v8, 0xf8, v8
	v_and_or_b32 v8, v10, 7, v8
	s_and_b64 s[20:21], vcc, s[20:21]
	v_cndmask_b32_e64 v8, v8, 0, s[20:21]
	v_or_b32_e32 v62, v8, v7
.LBB6_3106:                             ;   in Loop: Header=BB6_128 Depth=2
	s_or_b64 exec, exec, s[90:91]
                                        ; implicit-def: $vgpr7
.LBB6_3107:                             ;   in Loop: Header=BB6_128 Depth=2
	s_andn2_saveexec_b64 s[20:21], s[88:89]
; %bb.3108:                             ;   in Loop: Header=BB6_128 Depth=2
	v_or_b32_e32 v62, 0x7e, v7
; %bb.3109:                             ;   in Loop: Header=BB6_128 Depth=2
	s_or_b64 exec, exec, s[20:21]
                                        ; implicit-def: $vgpr8
.LBB6_3110:                             ;   in Loop: Header=BB6_128 Depth=2
	s_andn2_saveexec_b64 s[20:21], s[78:79]
; %bb.3111:                             ;   in Loop: Header=BB6_128 Depth=2
	v_or_b32_sdwa v62, v8, s51 dst_sel:DWORD dst_unused:UNUSED_PAD src0_sel:BYTE_3 src1_sel:DWORD
; %bb.3112:                             ;   in Loop: Header=BB6_128 Depth=2
	s_or_b64 exec, exec, s[20:21]
	buffer_load_dword v7, off, s[0:3], s33 offset:120 ; 4-byte Folded Reload
	buffer_load_dword v8, off, s[0:3], s33 offset:136 ; 4-byte Folded Reload
	;; [unrolled: 1-line block ×3, first 2 shown]
	v_cmp_ne_u32_e32 vcc, 0, v6
	s_waitcnt vmcnt(2)
	v_lshl_or_b32 v7, v7, 8, v6
	s_waitcnt vmcnt(1)
	v_lshlrev_b32_e32 v8, 16, v8
	s_waitcnt vmcnt(0)
	v_lshlrev_b32_e32 v10, 24, v10
	v_or3_b32 v52, v8, v10, v7
	v_mov_b32_e32 v8, 0
	v_mov_b32_e32 v10, 0
	s_and_saveexec_b64 s[20:21], vcc
	s_cbranch_execz .LBB6_3118
; %bb.3113:                             ;   in Loop: Header=BB6_128 Depth=2
	v_cmp_ne_u32_e32 vcc, s53, v6
	v_bfrev_b32_e32 v10, 1
	s_and_saveexec_b64 s[78:79], vcc
	s_cbranch_execz .LBB6_3117
; %bb.3114:                             ;   in Loop: Header=BB6_128 Depth=2
	v_and_b32_e32 v11, 0x7f, v6
	v_cmp_ne_u32_e32 vcc, s51, v11
	v_mov_b32_e32 v10, 0x7f800001
	s_and_saveexec_b64 s[88:89], vcc
	s_cbranch_execz .LBB6_3116
; %bb.3115:                             ;   in Loop: Header=BB6_128 Depth=2
	v_and_b32_e32 v6, 7, v6
	v_ffbh_u32_e32 v6, v6
	v_min_u32_e32 v6, 32, v6
	v_lshrrev_b32_e32 v10, 3, v11
	v_cmp_gt_u32_e32 vcc, 8, v11
	v_subrev_u32_e32 v11, 28, v6
	v_sub_u32_e32 v6, 29, v6
	v_cndmask_b32_e32 v6, v10, v6, vcc
	v_cndmask_b32_e32 v10, 0, v11, vcc
	v_lshlrev_b64 v[10:11], v10, v[52:53]
	v_lshlrev_b32_e32 v11, 24, v52
	v_lshlrev_b32_e32 v10, 20, v10
	v_bfrev_b32_e32 v14, 60
	v_and_b32_e32 v10, 0x700000, v10
	v_and_b32_e32 v11, 0x80000000, v11
	v_lshl_add_u32 v6, v6, 23, v14
	v_or3_b32 v10, v11, v6, v10
.LBB6_3116:                             ;   in Loop: Header=BB6_128 Depth=2
	s_or_b64 exec, exec, s[88:89]
.LBB6_3117:                             ;   in Loop: Header=BB6_128 Depth=2
	s_or_b64 exec, exec, s[78:79]
.LBB6_3118:                             ;   in Loop: Header=BB6_128 Depth=2
	s_or_b64 exec, exec, s[20:21]
	v_cmp_ne_u16_sdwa s[78:79], v12, v53 src0_sel:BYTE_0 src1_sel:DWORD
	s_and_saveexec_b64 s[20:21], s[78:79]
	s_cbranch_execz .LBB6_3124
; %bb.3119:                             ;   in Loop: Header=BB6_128 Depth=2
	v_cmp_ne_u16_sdwa s[88:89], v12, s53 src0_sel:BYTE_0 src1_sel:DWORD
	v_bfrev_b32_e32 v8, 1
	s_and_saveexec_b64 s[78:79], s[88:89]
	s_cbranch_execz .LBB6_3123
; %bb.3120:                             ;   in Loop: Header=BB6_128 Depth=2
	v_and_b32_e32 v6, 0x7f, v12
	v_cmp_ne_u32_e32 vcc, s51, v6
	v_mov_b32_e32 v8, 0x7f800001
	s_and_saveexec_b64 s[88:89], vcc
	s_cbranch_execz .LBB6_3122
; %bb.3121:                             ;   in Loop: Header=BB6_128 Depth=2
	v_and_b32_e32 v8, 7, v12
	v_lshrrev_b32_e32 v11, 3, v6
	v_cmp_gt_u32_e32 vcc, 8, v6
	v_ffbh_u32_e32 v6, v8
	v_min_u32_e32 v6, 32, v6
	v_subrev_u32_e32 v8, 28, v6
	v_cndmask_b32_e32 v8, 0, v8, vcc
	v_lshlrev_b64 v[14:15], v8, v[12:13]
	v_sub_u32_e32 v6, 29, v6
	v_cndmask_b32_e32 v6, v11, v6, vcc
	v_lshlrev_b32_e32 v8, 20, v14
	v_lshlrev_b32_e32 v11, 24, v12
	v_bfrev_b32_e32 v14, 60
	v_and_b32_e32 v8, 0x700000, v8
	v_and_b32_e32 v11, 0x80000000, v11
	v_lshl_add_u32 v6, v6, 23, v14
	v_or3_b32 v8, v11, v6, v8
.LBB6_3122:                             ;   in Loop: Header=BB6_128 Depth=2
	s_or_b64 exec, exec, s[88:89]
.LBB6_3123:                             ;   in Loop: Header=BB6_128 Depth=2
	s_or_b64 exec, exec, s[78:79]
.LBB6_3124:                             ;   in Loop: Header=BB6_128 Depth=2
	s_or_b64 exec, exec, s[20:21]
	v_add_f32_e32 v10, v10, v8
	v_and_b32_e32 v14, 0x7f800000, v10
	v_mov_b32_e32 v15, v53
	v_cmp_ne_u64_e32 vcc, s[56:57], v[14:15]
                                        ; implicit-def: $vgpr6
	s_and_saveexec_b64 s[20:21], vcc
	s_xor_b64 s[78:79], exec, s[20:21]
	s_cbranch_execz .LBB6_3138
; %bb.3125:                             ;   in Loop: Header=BB6_128 Depth=2
	v_and_b32_e32 v14, 0x7fffffff, v10
	v_mov_b32_e32 v15, v53
	v_cmp_gt_u64_e32 vcc, s[58:59], v[14:15]
	v_and_b32_sdwa v8, v10, s53 dst_sel:DWORD dst_unused:UNUSED_PAD src0_sel:BYTE_3 src1_sel:DWORD
                                        ; implicit-def: $vgpr6
	s_and_saveexec_b64 s[20:21], vcc
	s_xor_b64 s[88:89], exec, s[20:21]
	s_cbranch_execz .LBB6_3135
; %bb.3126:                             ;   in Loop: Header=BB6_128 Depth=2
	v_mov_b32_e32 v6, 0
	v_cmp_ne_u32_e32 vcc, 0, v10
	s_and_saveexec_b64 s[90:91], vcc
	s_cbranch_execz .LBB6_3134
; %bb.3127:                             ;   in Loop: Header=BB6_128 Depth=2
	v_bfe_u32 v6, v10, 23, 8
	v_and_b32_e32 v11, 0x7fffff, v10
	v_cmp_gt_u32_e64 s[20:21], s54, v6
	v_sub_u32_e32 v10, 0x79, v6
	v_cmp_eq_u32_e32 vcc, 0, v6
	v_cndmask_b32_e64 v10, 0, v10, s[20:21]
	v_mov_b32_e32 v15, 0x78
	v_or_b32_e32 v14, 0x800000, v11
	v_cndmask_b32_e32 v25, v10, v15, vcc
	v_cndmask_b32_e32 v10, v14, v11, vcc
	v_add_u32_e32 v14, 20, v25
	v_lshlrev_b64 v[14:15], v14, -1
	v_mov_b32_e32 v11, v53
	v_add_u32_e32 v28, 19, v25
	v_bfi_b32 v14, v14, 0, v10
	v_lshlrev_b64 v[30:31], v28, 1
	v_lshrrev_b64 v[10:11], v25, v[10:11]
	v_bfi_b32 v15, v15, 0, 0
	v_cmp_eq_u64_e64 s[20:21], v[14:15], v[30:31]
	v_mov_b32_e32 v15, v11
	v_mov_b32_e32 v14, v10
	s_and_saveexec_b64 s[92:93], s[20:21]
; %bb.3128:                             ;   in Loop: Header=BB6_128 Depth=2
	v_bfe_u32 v11, v10, 20, 1
	v_add_co_u32_e64 v11, s[20:21], v10, v11
	v_add_co_u32_e64 v14, s[20:21], -1, v11
; %bb.3129:                             ;   in Loop: Header=BB6_128 Depth=2
	s_or_b64 exec, exec, s[92:93]
	v_add_u32_e32 v6, 0xffffff81, v6
	v_mov_b32_e32 v11, 0xffffff82
	v_cndmask_b32_e32 v6, v6, v11, vcc
	v_lshrrev_b32_e32 v11, 23, v10
	v_add3_u32 v25, v25, v6, v11
	v_add_u32_e32 v15, 6, v25
	v_and_b32_e32 v6, 0xfffff, v14
	v_add_u32_e32 v10, v6, v10
	v_mov_b32_e32 v11, v53
	v_cmp_ne_u32_e32 vcc, 0, v15
                                        ; implicit-def: $vgpr6
	s_and_saveexec_b64 s[20:21], vcc
	s_xor_b64 s[20:21], exec, s[20:21]
; %bb.3130:                             ;   in Loop: Header=BB6_128 Depth=2
	v_cmp_lt_u64_e32 vcc, s[60:61], v[10:11]
	v_add_u32_e32 v6, 7, v25
	v_cndmask_b32_e64 v14, 0, 1, vcc
	v_lshrrev_b64 v[10:11], v14, v[10:11]
	v_cndmask_b32_e32 v6, v15, v6, vcc
; %bb.3131:                             ;   in Loop: Header=BB6_128 Depth=2
	s_andn2_saveexec_b64 s[20:21], s[20:21]
; %bb.3132:                             ;   in Loop: Header=BB6_128 Depth=2
	v_bfe_u32 v6, v10, 23, 1
; %bb.3133:                             ;   in Loop: Header=BB6_128 Depth=2
	s_or_b64 exec, exec, s[20:21]
	v_lshrrev_b64 v[10:11], 20, v[10:11]
	v_cmp_gt_i32_e32 vcc, 16, v6
	v_cndmask_b32_e32 v11, 0, v11, vcc
	v_cndmask_b32_e32 v10, 7, v10, vcc
	v_cmp_eq_u32_e32 vcc, 0, v6
	v_min_i32_e32 v6, 15, v6
	v_cmp_eq_u64_e64 s[20:21], 0, v[10:11]
	v_lshlrev_b32_e32 v6, 3, v6
	v_and_b32_e32 v6, 0xf8, v6
	v_and_or_b32 v6, v10, 7, v6
	s_and_b64 s[20:21], vcc, s[20:21]
	v_cndmask_b32_e64 v6, v6, 0, s[20:21]
	v_or_b32_e32 v6, v6, v8
.LBB6_3134:                             ;   in Loop: Header=BB6_128 Depth=2
	s_or_b64 exec, exec, s[90:91]
                                        ; implicit-def: $vgpr8
.LBB6_3135:                             ;   in Loop: Header=BB6_128 Depth=2
	s_andn2_saveexec_b64 s[20:21], s[88:89]
; %bb.3136:                             ;   in Loop: Header=BB6_128 Depth=2
	v_or_b32_e32 v6, 0x7e, v8
; %bb.3137:                             ;   in Loop: Header=BB6_128 Depth=2
	s_or_b64 exec, exec, s[20:21]
                                        ; implicit-def: $vgpr10
.LBB6_3138:                             ;   in Loop: Header=BB6_128 Depth=2
	s_andn2_saveexec_b64 s[20:21], s[78:79]
; %bb.3139:                             ;   in Loop: Header=BB6_128 Depth=2
	v_or_b32_sdwa v6, v10, s51 dst_sel:DWORD dst_unused:UNUSED_PAD src0_sel:BYTE_3 src1_sel:DWORD
; %bb.3140:                             ;   in Loop: Header=BB6_128 Depth=2
	s_or_b64 exec, exec, s[20:21]
	v_lshrrev_b16_e32 v10, 8, v7
	v_cmp_ne_u16_e32 vcc, 0, v10
	v_mov_b32_e32 v8, 0
	v_mov_b32_e32 v11, 0
	s_and_saveexec_b64 s[20:21], vcc
	s_cbranch_execz .LBB6_3146
; %bb.3141:                             ;   in Loop: Header=BB6_128 Depth=2
	v_cmp_ne_u16_e32 vcc, s53, v10
	v_bfrev_b32_e32 v11, 1
	s_and_saveexec_b64 s[78:79], vcc
	s_cbranch_execz .LBB6_3145
; %bb.3142:                             ;   in Loop: Header=BB6_128 Depth=2
	v_and_b32_e32 v14, 0x7f, v10
	v_cmp_ne_u32_e32 vcc, s51, v14
	v_mov_b32_e32 v11, 0x7f800001
	s_and_saveexec_b64 s[88:89], vcc
	s_cbranch_execz .LBB6_3144
; %bb.3143:                             ;   in Loop: Header=BB6_128 Depth=2
	v_and_b32_e32 v15, 7, v10
	v_ffbh_u32_e32 v11, v15
	v_lshrrev_b32_e32 v25, 3, v14
	v_cmp_gt_u32_e32 vcc, 8, v14
	v_min_u32_e32 v14, 32, v11
	v_subrev_u32_e32 v11, 28, v14
	v_lshlrev_b64 v[10:11], v11, v[10:11]
	v_sub_u32_e32 v11, 29, v14
	v_and_b32_e32 v10, 7, v10
	v_cndmask_b32_e32 v11, v25, v11, vcc
	v_cndmask_b32_e32 v10, v15, v10, vcc
	v_lshlrev_b32_e32 v7, 16, v7
	v_bfrev_b32_e32 v14, 60
	v_lshlrev_b32_e32 v10, 20, v10
	v_and_b32_e32 v7, 0x80000000, v7
	v_lshl_add_u32 v11, v11, 23, v14
	v_or3_b32 v11, v7, v11, v10
.LBB6_3144:                             ;   in Loop: Header=BB6_128 Depth=2
	s_or_b64 exec, exec, s[88:89]
.LBB6_3145:                             ;   in Loop: Header=BB6_128 Depth=2
	s_or_b64 exec, exec, s[78:79]
.LBB6_3146:                             ;   in Loop: Header=BB6_128 Depth=2
	s_or_b64 exec, exec, s[20:21]
	v_lshrrev_b16_e32 v10, 8, v12
	v_cmp_ne_u16_e32 vcc, 0, v10
	s_and_saveexec_b64 s[20:21], vcc
	s_cbranch_execz .LBB6_3152
; %bb.3147:                             ;   in Loop: Header=BB6_128 Depth=2
	v_cmp_ne_u16_e32 vcc, s53, v10
	v_bfrev_b32_e32 v8, 1
	s_and_saveexec_b64 s[78:79], vcc
	s_cbranch_execz .LBB6_3151
; %bb.3148:                             ;   in Loop: Header=BB6_128 Depth=2
	v_and_b32_e32 v7, 0x7f, v10
	v_cmp_ne_u32_e32 vcc, s51, v7
	v_mov_b32_e32 v8, 0x7f800001
	s_and_saveexec_b64 s[88:89], vcc
	s_cbranch_execz .LBB6_3150
; %bb.3149:                             ;   in Loop: Header=BB6_128 Depth=2
	v_and_b32_e32 v14, 7, v10
	v_lshrrev_b32_e32 v15, 3, v7
	v_cmp_gt_u32_e32 vcc, 8, v7
	v_ffbh_u32_e32 v7, v14
	v_min_u32_e32 v25, 32, v7
	v_subrev_u32_e32 v7, 28, v25
	v_lshlrev_b64 v[7:8], v7, v[10:11]
	v_sub_u32_e32 v8, 29, v25
	v_and_b32_e32 v7, 7, v7
	v_cndmask_b32_e32 v8, v15, v8, vcc
	v_cndmask_b32_e32 v7, v14, v7, vcc
	v_lshlrev_b32_e32 v10, 16, v12
	v_bfrev_b32_e32 v14, 60
	v_lshlrev_b32_e32 v7, 20, v7
	v_and_b32_e32 v10, 0x80000000, v10
	v_lshl_add_u32 v8, v8, 23, v14
	v_or3_b32 v8, v10, v8, v7
.LBB6_3150:                             ;   in Loop: Header=BB6_128 Depth=2
	s_or_b64 exec, exec, s[88:89]
.LBB6_3151:                             ;   in Loop: Header=BB6_128 Depth=2
	s_or_b64 exec, exec, s[78:79]
.LBB6_3152:                             ;   in Loop: Header=BB6_128 Depth=2
	s_or_b64 exec, exec, s[20:21]
	v_add_f32_e32 v8, v11, v8
	v_and_b32_e32 v10, 0x7f800000, v8
	v_mov_b32_e32 v11, v53
	v_cmp_ne_u64_e32 vcc, s[56:57], v[10:11]
                                        ; implicit-def: $vgpr30
	s_and_saveexec_b64 s[20:21], vcc
	s_xor_b64 s[78:79], exec, s[20:21]
	s_cbranch_execz .LBB6_3166
; %bb.3153:                             ;   in Loop: Header=BB6_128 Depth=2
	v_and_b32_e32 v10, 0x7fffffff, v8
	v_mov_b32_e32 v11, v53
	v_cmp_gt_u64_e32 vcc, s[58:59], v[10:11]
	v_and_b32_sdwa v7, v8, s53 dst_sel:DWORD dst_unused:UNUSED_PAD src0_sel:BYTE_3 src1_sel:DWORD
                                        ; implicit-def: $vgpr30
	s_and_saveexec_b64 s[20:21], vcc
	s_xor_b64 s[88:89], exec, s[20:21]
	s_cbranch_execz .LBB6_3163
; %bb.3154:                             ;   in Loop: Header=BB6_128 Depth=2
	v_mov_b32_e32 v30, 0
	v_cmp_ne_u32_e32 vcc, 0, v8
	s_and_saveexec_b64 s[90:91], vcc
	s_cbranch_execz .LBB6_3162
; %bb.3155:                             ;   in Loop: Header=BB6_128 Depth=2
	v_and_b32_e32 v10, 0x7fffff, v8
	v_bfe_u32 v8, v8, 23, 8
	v_cmp_gt_u32_e64 s[20:21], s54, v8
	v_sub_u32_e32 v11, 0x79, v8
	v_cmp_eq_u32_e32 vcc, 0, v8
	v_cndmask_b32_e64 v11, 0, v11, s[20:21]
	v_mov_b32_e32 v15, 0x78
	v_or_b32_e32 v14, 0x800000, v10
	v_cndmask_b32_e32 v25, v11, v15, vcc
	v_cndmask_b32_e32 v10, v14, v10, vcc
	v_add_u32_e32 v14, 20, v25
	v_lshlrev_b64 v[14:15], v14, -1
	v_mov_b32_e32 v11, v53
	v_add_u32_e32 v28, 19, v25
	v_bfi_b32 v14, v14, 0, v10
	v_lshlrev_b64 v[30:31], v28, 1
	v_lshrrev_b64 v[10:11], v25, v[10:11]
	v_bfi_b32 v15, v15, 0, 0
	v_cmp_eq_u64_e64 s[20:21], v[14:15], v[30:31]
	v_mov_b32_e32 v15, v11
	v_mov_b32_e32 v14, v10
	s_and_saveexec_b64 s[92:93], s[20:21]
; %bb.3156:                             ;   in Loop: Header=BB6_128 Depth=2
	v_bfe_u32 v11, v10, 20, 1
	v_add_co_u32_e64 v11, s[20:21], v10, v11
	v_add_co_u32_e64 v14, s[20:21], -1, v11
; %bb.3157:                             ;   in Loop: Header=BB6_128 Depth=2
	s_or_b64 exec, exec, s[92:93]
	v_add_u32_e32 v8, 0xffffff81, v8
	v_mov_b32_e32 v11, 0xffffff82
	v_cndmask_b32_e32 v8, v8, v11, vcc
	v_lshrrev_b32_e32 v11, 23, v10
	v_add3_u32 v25, v25, v8, v11
	v_add_u32_e32 v15, 6, v25
	v_and_b32_e32 v8, 0xfffff, v14
	v_add_u32_e32 v10, v8, v10
	v_mov_b32_e32 v11, v53
	v_cmp_ne_u32_e32 vcc, 0, v15
                                        ; implicit-def: $vgpr8
	s_and_saveexec_b64 s[20:21], vcc
	s_xor_b64 s[20:21], exec, s[20:21]
; %bb.3158:                             ;   in Loop: Header=BB6_128 Depth=2
	v_cmp_lt_u64_e32 vcc, s[60:61], v[10:11]
	v_add_u32_e32 v8, 7, v25
	v_cndmask_b32_e64 v14, 0, 1, vcc
	v_lshrrev_b64 v[10:11], v14, v[10:11]
	v_cndmask_b32_e32 v8, v15, v8, vcc
; %bb.3159:                             ;   in Loop: Header=BB6_128 Depth=2
	s_andn2_saveexec_b64 s[20:21], s[20:21]
; %bb.3160:                             ;   in Loop: Header=BB6_128 Depth=2
	v_bfe_u32 v8, v10, 23, 1
; %bb.3161:                             ;   in Loop: Header=BB6_128 Depth=2
	s_or_b64 exec, exec, s[20:21]
	v_lshrrev_b64 v[10:11], 20, v[10:11]
	v_cmp_gt_i32_e32 vcc, 16, v8
	v_cndmask_b32_e32 v11, 0, v11, vcc
	v_cndmask_b32_e32 v10, 7, v10, vcc
	v_cmp_eq_u32_e32 vcc, 0, v8
	v_min_i32_e32 v8, 15, v8
	v_cmp_eq_u64_e64 s[20:21], 0, v[10:11]
	v_lshlrev_b32_e32 v8, 3, v8
	v_and_b32_e32 v8, 0xf8, v8
	v_and_or_b32 v8, v10, 7, v8
	s_and_b64 s[20:21], vcc, s[20:21]
	v_cndmask_b32_e64 v8, v8, 0, s[20:21]
	v_or_b32_e32 v30, v8, v7
.LBB6_3162:                             ;   in Loop: Header=BB6_128 Depth=2
	s_or_b64 exec, exec, s[90:91]
                                        ; implicit-def: $vgpr7
.LBB6_3163:                             ;   in Loop: Header=BB6_128 Depth=2
	s_andn2_saveexec_b64 s[20:21], s[88:89]
; %bb.3164:                             ;   in Loop: Header=BB6_128 Depth=2
	v_or_b32_e32 v30, 0x7e, v7
; %bb.3165:                             ;   in Loop: Header=BB6_128 Depth=2
	s_or_b64 exec, exec, s[20:21]
                                        ; implicit-def: $vgpr8
.LBB6_3166:                             ;   in Loop: Header=BB6_128 Depth=2
	s_andn2_saveexec_b64 s[20:21], s[78:79]
; %bb.3167:                             ;   in Loop: Header=BB6_128 Depth=2
	v_or_b32_sdwa v30, v8, s51 dst_sel:DWORD dst_unused:UNUSED_PAD src0_sel:BYTE_3 src1_sel:DWORD
; %bb.3168:                             ;   in Loop: Header=BB6_128 Depth=2
	s_or_b64 exec, exec, s[20:21]
	v_lshrrev_b32_e32 v10, 16, v52
	v_cmp_ne_u16_sdwa s[78:79], v10, v53 src0_sel:BYTE_0 src1_sel:DWORD
	v_mov_b32_e32 v7, 0
	v_mov_b32_e32 v8, 0
	s_and_saveexec_b64 s[20:21], s[78:79]
	s_cbranch_execz .LBB6_3174
; %bb.3169:                             ;   in Loop: Header=BB6_128 Depth=2
	v_cmp_ne_u16_sdwa s[88:89], v10, s53 src0_sel:BYTE_0 src1_sel:DWORD
	v_bfrev_b32_e32 v8, 1
	s_and_saveexec_b64 s[78:79], s[88:89]
	s_cbranch_execz .LBB6_3173
; %bb.3170:                             ;   in Loop: Header=BB6_128 Depth=2
	v_bfe_u32 v11, v52, 16, 7
	v_cmp_ne_u32_e32 vcc, s51, v11
	v_mov_b32_e32 v8, 0x7f800001
	s_and_saveexec_b64 s[88:89], vcc
	s_cbranch_execz .LBB6_3172
; %bb.3171:                             ;   in Loop: Header=BB6_128 Depth=2
	v_and_b32_e32 v8, 7, v10
	v_lshrrev_b32_e32 v25, 3, v11
	v_cmp_gt_u32_e32 vcc, 8, v11
	v_ffbh_u32_e32 v11, v8
	v_min_u32_e32 v11, 32, v11
	v_subrev_u32_e32 v14, 28, v11
	v_lshlrev_b64 v[14:15], v14, v[10:11]
	v_sub_u32_e32 v11, 29, v11
	v_and_b32_e32 v14, 7, v14
	v_cndmask_b32_e32 v11, v25, v11, vcc
	v_cndmask_b32_e32 v8, v8, v14, vcc
	v_lshlrev_b32_e32 v10, 24, v10
	v_bfrev_b32_e32 v14, 60
	v_lshlrev_b32_e32 v8, 20, v8
	v_and_b32_e32 v10, 0x80000000, v10
	v_lshl_add_u32 v11, v11, 23, v14
	v_or3_b32 v8, v10, v11, v8
.LBB6_3172:                             ;   in Loop: Header=BB6_128 Depth=2
	s_or_b64 exec, exec, s[88:89]
.LBB6_3173:                             ;   in Loop: Header=BB6_128 Depth=2
	s_or_b64 exec, exec, s[78:79]
.LBB6_3174:                             ;   in Loop: Header=BB6_128 Depth=2
	s_or_b64 exec, exec, s[20:21]
	v_lshrrev_b32_e32 v10, 16, v12
	v_cmp_ne_u16_sdwa s[78:79], v10, v53 src0_sel:BYTE_0 src1_sel:DWORD
	s_and_saveexec_b64 s[20:21], s[78:79]
	s_cbranch_execz .LBB6_3180
; %bb.3175:                             ;   in Loop: Header=BB6_128 Depth=2
	v_cmp_ne_u16_sdwa s[88:89], v10, s53 src0_sel:BYTE_0 src1_sel:DWORD
	v_bfrev_b32_e32 v7, 1
	s_and_saveexec_b64 s[78:79], s[88:89]
	s_cbranch_execz .LBB6_3179
; %bb.3176:                             ;   in Loop: Header=BB6_128 Depth=2
	v_bfe_u32 v11, v12, 16, 7
	v_cmp_ne_u32_e32 vcc, s51, v11
	v_mov_b32_e32 v7, 0x7f800001
	s_and_saveexec_b64 s[88:89], vcc
	s_cbranch_execz .LBB6_3178
; %bb.3177:                             ;   in Loop: Header=BB6_128 Depth=2
	v_and_b32_e32 v7, 7, v10
	v_lshrrev_b32_e32 v14, 3, v11
	v_cmp_gt_u32_e32 vcc, 8, v11
	v_ffbh_u32_e32 v11, v7
	v_min_u32_e32 v15, 32, v11
	v_subrev_u32_e32 v11, 28, v15
	v_lshlrev_b64 v[10:11], v11, v[10:11]
	v_sub_u32_e32 v11, 29, v15
	v_and_b32_e32 v10, 7, v10
	v_cndmask_b32_e32 v11, v14, v11, vcc
	v_cndmask_b32_e32 v7, v7, v10, vcc
	v_lshlrev_b32_e32 v10, 8, v12
	v_bfrev_b32_e32 v14, 60
	v_lshlrev_b32_e32 v7, 20, v7
	v_and_b32_e32 v10, 0x80000000, v10
	v_lshl_add_u32 v11, v11, 23, v14
	v_or3_b32 v7, v10, v11, v7
.LBB6_3178:                             ;   in Loop: Header=BB6_128 Depth=2
	s_or_b64 exec, exec, s[88:89]
.LBB6_3179:                             ;   in Loop: Header=BB6_128 Depth=2
	s_or_b64 exec, exec, s[78:79]
.LBB6_3180:                             ;   in Loop: Header=BB6_128 Depth=2
	s_or_b64 exec, exec, s[20:21]
	v_add_f32_e32 v8, v8, v7
	v_and_b32_e32 v10, 0x7f800000, v8
	v_mov_b32_e32 v11, v53
	v_cmp_ne_u64_e32 vcc, s[56:57], v[10:11]
                                        ; implicit-def: $vgpr28
	s_and_saveexec_b64 s[20:21], vcc
	s_xor_b64 s[78:79], exec, s[20:21]
	s_cbranch_execz .LBB6_3194
; %bb.3181:                             ;   in Loop: Header=BB6_128 Depth=2
	v_and_b32_e32 v10, 0x7fffffff, v8
	v_mov_b32_e32 v11, v53
	v_cmp_gt_u64_e32 vcc, s[58:59], v[10:11]
	v_and_b32_sdwa v7, v8, s53 dst_sel:DWORD dst_unused:UNUSED_PAD src0_sel:BYTE_3 src1_sel:DWORD
                                        ; implicit-def: $vgpr28
	s_and_saveexec_b64 s[20:21], vcc
	s_xor_b64 s[88:89], exec, s[20:21]
	s_cbranch_execz .LBB6_3191
; %bb.3182:                             ;   in Loop: Header=BB6_128 Depth=2
	v_mov_b32_e32 v28, 0
	v_cmp_ne_u32_e32 vcc, 0, v8
	s_and_saveexec_b64 s[90:91], vcc
	s_cbranch_execz .LBB6_3190
; %bb.3183:                             ;   in Loop: Header=BB6_128 Depth=2
	v_and_b32_e32 v10, 0x7fffff, v8
	v_bfe_u32 v8, v8, 23, 8
	v_cmp_gt_u32_e64 s[20:21], s54, v8
	v_sub_u32_e32 v11, 0x79, v8
	v_cmp_eq_u32_e32 vcc, 0, v8
	v_cndmask_b32_e64 v11, 0, v11, s[20:21]
	v_mov_b32_e32 v15, 0x78
	v_or_b32_e32 v14, 0x800000, v10
	v_cndmask_b32_e32 v25, v11, v15, vcc
	v_cndmask_b32_e32 v10, v14, v10, vcc
	v_add_u32_e32 v14, 20, v25
	v_lshlrev_b64 v[14:15], v14, -1
	v_mov_b32_e32 v11, v53
	v_add_u32_e32 v28, 19, v25
	v_bfi_b32 v14, v14, 0, v10
	v_lshlrev_b64 v[31:32], v28, 1
	v_lshrrev_b64 v[10:11], v25, v[10:11]
	v_bfi_b32 v15, v15, 0, 0
	v_cmp_eq_u64_e64 s[20:21], v[14:15], v[31:32]
	v_mov_b32_e32 v15, v11
	v_mov_b32_e32 v14, v10
	s_and_saveexec_b64 s[92:93], s[20:21]
; %bb.3184:                             ;   in Loop: Header=BB6_128 Depth=2
	v_bfe_u32 v11, v10, 20, 1
	v_add_co_u32_e64 v11, s[20:21], v10, v11
	v_add_co_u32_e64 v14, s[20:21], -1, v11
; %bb.3185:                             ;   in Loop: Header=BB6_128 Depth=2
	s_or_b64 exec, exec, s[92:93]
	v_add_u32_e32 v8, 0xffffff81, v8
	v_mov_b32_e32 v11, 0xffffff82
	v_cndmask_b32_e32 v8, v8, v11, vcc
	v_lshrrev_b32_e32 v11, 23, v10
	v_add3_u32 v25, v25, v8, v11
	v_add_u32_e32 v15, 6, v25
	v_and_b32_e32 v8, 0xfffff, v14
	v_add_u32_e32 v10, v8, v10
	v_mov_b32_e32 v11, v53
	v_cmp_ne_u32_e32 vcc, 0, v15
                                        ; implicit-def: $vgpr8
	s_and_saveexec_b64 s[20:21], vcc
	s_xor_b64 s[20:21], exec, s[20:21]
; %bb.3186:                             ;   in Loop: Header=BB6_128 Depth=2
	v_cmp_lt_u64_e32 vcc, s[60:61], v[10:11]
	v_add_u32_e32 v8, 7, v25
	v_cndmask_b32_e64 v14, 0, 1, vcc
	v_lshrrev_b64 v[10:11], v14, v[10:11]
	v_cndmask_b32_e32 v8, v15, v8, vcc
; %bb.3187:                             ;   in Loop: Header=BB6_128 Depth=2
	s_andn2_saveexec_b64 s[20:21], s[20:21]
; %bb.3188:                             ;   in Loop: Header=BB6_128 Depth=2
	v_bfe_u32 v8, v10, 23, 1
; %bb.3189:                             ;   in Loop: Header=BB6_128 Depth=2
	s_or_b64 exec, exec, s[20:21]
	v_lshrrev_b64 v[10:11], 20, v[10:11]
	v_cmp_gt_i32_e32 vcc, 16, v8
	v_cndmask_b32_e32 v11, 0, v11, vcc
	v_cndmask_b32_e32 v10, 7, v10, vcc
	v_cmp_eq_u32_e32 vcc, 0, v8
	v_min_i32_e32 v8, 15, v8
	v_cmp_eq_u64_e64 s[20:21], 0, v[10:11]
	v_lshlrev_b32_e32 v8, 3, v8
	v_and_b32_e32 v8, 0xf8, v8
	v_and_or_b32 v8, v10, 7, v8
	s_and_b64 s[20:21], vcc, s[20:21]
	v_cndmask_b32_e64 v8, v8, 0, s[20:21]
	v_or_b32_e32 v28, v8, v7
.LBB6_3190:                             ;   in Loop: Header=BB6_128 Depth=2
	s_or_b64 exec, exec, s[90:91]
                                        ; implicit-def: $vgpr7
.LBB6_3191:                             ;   in Loop: Header=BB6_128 Depth=2
	s_andn2_saveexec_b64 s[20:21], s[88:89]
; %bb.3192:                             ;   in Loop: Header=BB6_128 Depth=2
	v_or_b32_e32 v28, 0x7e, v7
; %bb.3193:                             ;   in Loop: Header=BB6_128 Depth=2
	s_or_b64 exec, exec, s[20:21]
                                        ; implicit-def: $vgpr8
.LBB6_3194:                             ;   in Loop: Header=BB6_128 Depth=2
	s_andn2_saveexec_b64 s[20:21], s[78:79]
; %bb.3195:                             ;   in Loop: Header=BB6_128 Depth=2
	v_or_b32_sdwa v28, v8, s51 dst_sel:DWORD dst_unused:UNUSED_PAD src0_sel:BYTE_3 src1_sel:DWORD
; %bb.3196:                             ;   in Loop: Header=BB6_128 Depth=2
	s_or_b64 exec, exec, s[20:21]
	v_cmp_lt_u32_e32 vcc, s63, v52
	v_mov_b32_e32 v7, 0
	v_mov_b32_e32 v8, 0
	s_and_saveexec_b64 s[20:21], vcc
	s_cbranch_execz .LBB6_3202
; %bb.3197:                             ;   in Loop: Header=BB6_128 Depth=2
	v_lshrrev_b32_e32 v10, 24, v52
	v_cmp_ne_u32_sdwa s[88:89], v52, s53 src0_sel:BYTE_3 src1_sel:DWORD
	v_bfrev_b32_e32 v8, 1
	s_and_saveexec_b64 s[78:79], s[88:89]
	s_cbranch_execz .LBB6_3201
; %bb.3198:                             ;   in Loop: Header=BB6_128 Depth=2
	v_bfe_u32 v11, v52, 24, 7
	v_cmp_ne_u32_e32 vcc, s51, v11
	v_mov_b32_e32 v8, 0x7f800001
	s_and_saveexec_b64 s[88:89], vcc
	s_cbranch_execz .LBB6_3200
; %bb.3199:                             ;   in Loop: Header=BB6_128 Depth=2
	v_and_b32_e32 v8, 7, v10
	v_lshrrev_b32_e32 v14, 3, v11
	v_cmp_gt_u32_e32 vcc, 8, v11
	v_ffbh_u32_e32 v11, v8
	v_min_u32_e32 v15, 32, v11
	v_subrev_u32_e32 v11, 28, v15
	v_lshlrev_b64 v[10:11], v11, v[10:11]
	v_sub_u32_e32 v11, 29, v15
	v_and_b32_e32 v10, 7, v10
	v_cndmask_b32_e32 v8, v8, v10, vcc
	v_mov_b32_e32 v10, 24
	v_cndmask_b32_e32 v11, v14, v11, vcc
	v_lshlrev_b32_sdwa v10, v10, v52 dst_sel:DWORD dst_unused:UNUSED_PAD src0_sel:DWORD src1_sel:BYTE_3
	v_bfrev_b32_e32 v14, 60
	v_lshlrev_b32_e32 v8, 20, v8
	v_and_b32_e32 v10, 0x80000000, v10
	v_lshl_add_u32 v11, v11, 23, v14
	v_or3_b32 v8, v10, v11, v8
.LBB6_3200:                             ;   in Loop: Header=BB6_128 Depth=2
	s_or_b64 exec, exec, s[88:89]
.LBB6_3201:                             ;   in Loop: Header=BB6_128 Depth=2
	s_or_b64 exec, exec, s[78:79]
.LBB6_3202:                             ;   in Loop: Header=BB6_128 Depth=2
	s_or_b64 exec, exec, s[20:21]
	v_cmp_lt_u32_e32 vcc, s63, v12
	s_and_saveexec_b64 s[20:21], vcc
	s_cbranch_execz .LBB6_3208
; %bb.3203:                             ;   in Loop: Header=BB6_128 Depth=2
	v_lshrrev_b32_e32 v10, 24, v12
	v_cmp_ne_u32_e32 vcc, s53, v10
	v_bfrev_b32_e32 v7, 1
	s_and_saveexec_b64 s[78:79], vcc
	s_cbranch_execz .LBB6_3207
; %bb.3204:                             ;   in Loop: Header=BB6_128 Depth=2
	v_bfe_u32 v11, v12, 24, 7
	v_cmp_ne_u32_e32 vcc, s51, v11
	v_mov_b32_e32 v7, 0x7f800001
	s_and_saveexec_b64 s[88:89], vcc
	s_cbranch_execz .LBB6_3206
; %bb.3205:                             ;   in Loop: Header=BB6_128 Depth=2
	v_and_b32_e32 v7, 7, v10
	v_lshrrev_b32_e32 v25, 3, v11
	v_cmp_gt_u32_e32 vcc, 8, v11
	v_ffbh_u32_e32 v11, v7
	v_min_u32_e32 v11, 32, v11
	v_subrev_u32_e32 v14, 28, v11
	v_lshlrev_b64 v[14:15], v14, v[10:11]
	v_sub_u32_e32 v11, 29, v11
	v_and_b32_e32 v14, 7, v14
	v_cndmask_b32_e32 v11, v25, v11, vcc
	v_cndmask_b32_e32 v7, v7, v14, vcc
	v_lshlrev_b32_e32 v10, 24, v10
	v_bfrev_b32_e32 v14, 60
	v_lshlrev_b32_e32 v7, 20, v7
	v_and_b32_e32 v10, 0x80000000, v10
	v_lshl_add_u32 v11, v11, 23, v14
	v_or3_b32 v7, v10, v11, v7
.LBB6_3206:                             ;   in Loop: Header=BB6_128 Depth=2
	s_or_b64 exec, exec, s[88:89]
.LBB6_3207:                             ;   in Loop: Header=BB6_128 Depth=2
	s_or_b64 exec, exec, s[78:79]
.LBB6_3208:                             ;   in Loop: Header=BB6_128 Depth=2
	s_or_b64 exec, exec, s[20:21]
	v_add_f32_e32 v10, v8, v7
	v_and_b32_e32 v52, 0x7f800000, v10
	v_cmp_ne_u64_e32 vcc, s[56:57], v[52:53]
                                        ; implicit-def: $vgpr7
	s_and_saveexec_b64 s[20:21], vcc
	s_xor_b64 s[78:79], exec, s[20:21]
	s_cbranch_execz .LBB6_3222
; %bb.3209:                             ;   in Loop: Header=BB6_128 Depth=2
	v_and_b32_e32 v52, 0x7fffffff, v10
	v_cmp_gt_u64_e32 vcc, s[58:59], v[52:53]
	v_and_b32_sdwa v8, v10, s53 dst_sel:DWORD dst_unused:UNUSED_PAD src0_sel:BYTE_3 src1_sel:DWORD
                                        ; implicit-def: $vgpr7
	s_and_saveexec_b64 s[20:21], vcc
	s_xor_b64 s[88:89], exec, s[20:21]
	s_cbranch_execz .LBB6_3219
; %bb.3210:                             ;   in Loop: Header=BB6_128 Depth=2
	v_mov_b32_e32 v7, 0
	v_cmp_ne_u32_e32 vcc, 0, v10
	s_and_saveexec_b64 s[90:91], vcc
	s_cbranch_execz .LBB6_3218
; %bb.3211:                             ;   in Loop: Header=BB6_128 Depth=2
	v_bfe_u32 v7, v10, 23, 8
	v_and_b32_e32 v11, 0x7fffff, v10
	v_cmp_gt_u32_e64 s[20:21], s54, v7
	v_sub_u32_e32 v10, 0x79, v7
	v_cmp_eq_u32_e32 vcc, 0, v7
	v_cndmask_b32_e64 v10, 0, v10, s[20:21]
	v_mov_b32_e32 v15, 0x78
	v_cndmask_b32_e32 v25, v10, v15, vcc
	v_or_b32_e32 v14, 0x800000, v11
	v_add_u32_e32 v10, 20, v25
	v_cndmask_b32_e32 v52, v14, v11, vcc
	v_lshlrev_b64 v[10:11], v10, -1
	v_add_u32_e32 v14, 19, v25
	v_lshlrev_b64 v[14:15], v14, 1
	v_bfi_b32 v11, v11, 0, 0
	v_bfi_b32 v10, v10, 0, v52
	v_cmp_eq_u64_e64 s[20:21], v[10:11], v[14:15]
	v_lshrrev_b64 v[10:11], v25, v[52:53]
	v_mov_b32_e32 v15, v11
	v_mov_b32_e32 v14, v10
	s_and_saveexec_b64 s[92:93], s[20:21]
; %bb.3212:                             ;   in Loop: Header=BB6_128 Depth=2
	v_bfe_u32 v11, v10, 20, 1
	v_add_co_u32_e64 v11, s[20:21], v10, v11
	v_add_co_u32_e64 v14, s[20:21], -1, v11
; %bb.3213:                             ;   in Loop: Header=BB6_128 Depth=2
	s_or_b64 exec, exec, s[92:93]
	v_add_u32_e32 v7, 0xffffff81, v7
	v_mov_b32_e32 v11, 0xffffff82
	v_cndmask_b32_e32 v7, v7, v11, vcc
	v_lshrrev_b32_e32 v11, 23, v10
	v_add3_u32 v25, v25, v7, v11
	v_add_u32_e32 v15, 6, v25
	v_and_b32_e32 v7, 0xfffff, v14
	v_add_u32_e32 v52, v7, v10
	v_cmp_ne_u32_e32 vcc, 0, v15
                                        ; implicit-def: $vgpr10_vgpr11
                                        ; implicit-def: $vgpr7
	s_and_saveexec_b64 s[20:21], vcc
	s_xor_b64 s[20:21], exec, s[20:21]
; %bb.3214:                             ;   in Loop: Header=BB6_128 Depth=2
	v_cmp_lt_u64_e32 vcc, s[60:61], v[52:53]
	v_add_u32_e32 v7, 7, v25
	v_cndmask_b32_e64 v10, 0, 1, vcc
	v_lshrrev_b64 v[10:11], v10, v[52:53]
	v_cndmask_b32_e32 v7, v15, v7, vcc
; %bb.3215:                             ;   in Loop: Header=BB6_128 Depth=2
	s_andn2_saveexec_b64 s[20:21], s[20:21]
; %bb.3216:                             ;   in Loop: Header=BB6_128 Depth=2
	v_mov_b32_e32 v10, v52
	v_bfe_u32 v7, v52, 23, 1
	v_mov_b32_e32 v11, v53
; %bb.3217:                             ;   in Loop: Header=BB6_128 Depth=2
	s_or_b64 exec, exec, s[20:21]
	v_lshrrev_b64 v[10:11], 20, v[10:11]
	v_cmp_gt_i32_e32 vcc, 16, v7
	v_cndmask_b32_e32 v11, 0, v11, vcc
	v_cndmask_b32_e32 v10, 7, v10, vcc
	v_cmp_eq_u32_e32 vcc, 0, v7
	v_min_i32_e32 v7, 15, v7
	v_cmp_eq_u64_e64 s[20:21], 0, v[10:11]
	v_lshlrev_b32_e32 v7, 3, v7
	v_and_b32_e32 v7, 0xf8, v7
	v_and_or_b32 v7, v10, 7, v7
	s_and_b64 s[20:21], vcc, s[20:21]
	v_cndmask_b32_e64 v7, v7, 0, s[20:21]
	v_or_b32_e32 v7, v7, v8
.LBB6_3218:                             ;   in Loop: Header=BB6_128 Depth=2
	s_or_b64 exec, exec, s[90:91]
                                        ; implicit-def: $vgpr8
.LBB6_3219:                             ;   in Loop: Header=BB6_128 Depth=2
	s_andn2_saveexec_b64 s[20:21], s[88:89]
; %bb.3220:                             ;   in Loop: Header=BB6_128 Depth=2
	v_or_b32_e32 v7, 0x7e, v8
; %bb.3221:                             ;   in Loop: Header=BB6_128 Depth=2
	s_or_b64 exec, exec, s[20:21]
                                        ; implicit-def: $vgpr10
.LBB6_3222:                             ;   in Loop: Header=BB6_128 Depth=2
	s_andn2_saveexec_b64 s[20:21], s[78:79]
; %bb.3223:                             ;   in Loop: Header=BB6_128 Depth=2
	v_or_b32_sdwa v7, v10, s51 dst_sel:DWORD dst_unused:UNUSED_PAD src0_sel:BYTE_3 src1_sel:DWORD
; %bb.3224:                             ;   in Loop: Header=BB6_128 Depth=2
	s_or_b64 exec, exec, s[20:21]
	buffer_load_dword v8, off, s[0:3], s33 offset:140 ; 4-byte Folded Reload
	v_cmp_ne_u32_e32 vcc, 0, v4
	s_waitcnt vmcnt(0)
	v_lshlrev_b32_e32 v10, 24, v8
	buffer_load_dword v8, off, s[0:3], s33 offset:124 ; 4-byte Folded Reload
	s_waitcnt vmcnt(0)
	v_lshlrev_b32_e32 v11, 16, v8
	buffer_load_dword v8, off, s[0:3], s33 offset:112 ; 4-byte Folded Reload
	s_waitcnt vmcnt(0)
	v_lshl_or_b32 v8, v8, 8, v4
	v_or3_b32 v52, v11, v10, v8
	v_mov_b32_e32 v11, 0
	v_mov_b32_e32 v10, 0
	s_and_saveexec_b64 s[20:21], vcc
	s_cbranch_execz .LBB6_3230
; %bb.3225:                             ;   in Loop: Header=BB6_128 Depth=2
	v_cmp_ne_u32_e32 vcc, s53, v4
	v_bfrev_b32_e32 v10, 1
	s_and_saveexec_b64 s[78:79], vcc
	s_cbranch_execz .LBB6_3229
; %bb.3226:                             ;   in Loop: Header=BB6_128 Depth=2
	v_and_b32_e32 v14, 0x7f, v4
	v_cmp_ne_u32_e32 vcc, s51, v14
	v_mov_b32_e32 v10, 0x7f800001
	s_and_saveexec_b64 s[88:89], vcc
	s_cbranch_execz .LBB6_3228
; %bb.3227:                             ;   in Loop: Header=BB6_128 Depth=2
	v_and_b32_e32 v4, 7, v4
	v_ffbh_u32_e32 v4, v4
	v_min_u32_e32 v4, 32, v4
	v_lshrrev_b32_e32 v10, 3, v14
	v_cmp_gt_u32_e32 vcc, 8, v14
	v_subrev_u32_e32 v14, 28, v4
	v_sub_u32_e32 v4, 29, v4
	v_cndmask_b32_e32 v4, v10, v4, vcc
	v_cndmask_b32_e32 v10, 0, v14, vcc
	v_lshlrev_b64 v[14:15], v10, v[52:53]
	v_bfrev_b32_e32 v15, 60
	v_lshlrev_b32_e32 v10, 20, v14
	v_lshlrev_b32_e32 v14, 24, v52
	v_and_b32_e32 v10, 0x700000, v10
	v_and_b32_e32 v14, 0x80000000, v14
	v_lshl_add_u32 v4, v4, 23, v15
	v_or3_b32 v10, v14, v4, v10
.LBB6_3228:                             ;   in Loop: Header=BB6_128 Depth=2
	s_or_b64 exec, exec, s[88:89]
.LBB6_3229:                             ;   in Loop: Header=BB6_128 Depth=2
	s_or_b64 exec, exec, s[78:79]
.LBB6_3230:                             ;   in Loop: Header=BB6_128 Depth=2
	s_or_b64 exec, exec, s[20:21]
	v_cmp_ne_u16_sdwa s[78:79], v13, v53 src0_sel:BYTE_0 src1_sel:DWORD
	s_and_saveexec_b64 s[20:21], s[78:79]
	s_cbranch_execz .LBB6_3236
; %bb.3231:                             ;   in Loop: Header=BB6_128 Depth=2
	v_cmp_ne_u16_sdwa s[88:89], v13, s53 src0_sel:BYTE_0 src1_sel:DWORD
	v_bfrev_b32_e32 v11, 1
	s_and_saveexec_b64 s[78:79], s[88:89]
	s_cbranch_execz .LBB6_3235
; %bb.3232:                             ;   in Loop: Header=BB6_128 Depth=2
	v_and_b32_e32 v4, 0x7f, v13
	v_cmp_ne_u32_e32 vcc, s51, v4
	v_mov_b32_e32 v11, 0x7f800001
	s_and_saveexec_b64 s[88:89], vcc
	s_cbranch_execz .LBB6_3234
; %bb.3233:                             ;   in Loop: Header=BB6_128 Depth=2
	v_and_b32_e32 v11, 7, v13
	v_lshrrev_b32_e32 v25, 3, v4
	v_cmp_gt_u32_e32 vcc, 8, v4
	v_ffbh_u32_e32 v4, v11
	v_min_u32_e32 v4, 32, v4
	v_subrev_u32_e32 v11, 28, v4
	v_mov_b32_e32 v14, v13
	v_mov_b32_e32 v15, v53
	v_cndmask_b32_e32 v11, 0, v11, vcc
	v_lshlrev_b64 v[31:32], v11, v[14:15]
	v_sub_u32_e32 v4, 29, v4
	v_cndmask_b32_e32 v4, v25, v4, vcc
	v_lshlrev_b32_e32 v11, 20, v31
	v_lshlrev_b32_e32 v14, 24, v14
	v_bfrev_b32_e32 v15, 60
	v_and_b32_e32 v11, 0x700000, v11
	v_and_b32_e32 v14, 0x80000000, v14
	v_lshl_add_u32 v4, v4, 23, v15
	v_or3_b32 v11, v14, v4, v11
.LBB6_3234:                             ;   in Loop: Header=BB6_128 Depth=2
	s_or_b64 exec, exec, s[88:89]
.LBB6_3235:                             ;   in Loop: Header=BB6_128 Depth=2
	s_or_b64 exec, exec, s[78:79]
.LBB6_3236:                             ;   in Loop: Header=BB6_128 Depth=2
	s_or_b64 exec, exec, s[20:21]
	v_add_f32_e32 v10, v10, v11
	v_and_b32_e32 v14, 0x7f800000, v10
	v_mov_b32_e32 v15, v53
	v_cmp_ne_u64_e32 vcc, s[56:57], v[14:15]
                                        ; implicit-def: $vgpr4
	s_and_saveexec_b64 s[20:21], vcc
	s_xor_b64 s[78:79], exec, s[20:21]
	s_cbranch_execz .LBB6_3250
; %bb.3237:                             ;   in Loop: Header=BB6_128 Depth=2
	v_and_b32_e32 v14, 0x7fffffff, v10
	v_mov_b32_e32 v15, v53
	v_cmp_gt_u64_e32 vcc, s[58:59], v[14:15]
	v_and_b32_sdwa v25, v10, s53 dst_sel:DWORD dst_unused:UNUSED_PAD src0_sel:BYTE_3 src1_sel:DWORD
                                        ; implicit-def: $vgpr4
	s_and_saveexec_b64 s[20:21], vcc
	s_xor_b64 s[88:89], exec, s[20:21]
	s_cbranch_execz .LBB6_3247
; %bb.3238:                             ;   in Loop: Header=BB6_128 Depth=2
	v_mov_b32_e32 v4, 0
	v_cmp_ne_u32_e32 vcc, 0, v10
	s_and_saveexec_b64 s[90:91], vcc
	s_cbranch_execz .LBB6_3246
; %bb.3239:                             ;   in Loop: Header=BB6_128 Depth=2
	v_bfe_u32 v4, v10, 23, 8
	v_and_b32_e32 v11, 0x7fffff, v10
	v_cmp_gt_u32_e64 s[20:21], s54, v4
	v_sub_u32_e32 v10, 0x79, v4
	v_cmp_eq_u32_e32 vcc, 0, v4
	v_cndmask_b32_e64 v10, 0, v10, s[20:21]
	v_mov_b32_e32 v15, 0x78
	v_or_b32_e32 v14, 0x800000, v11
	v_cndmask_b32_e32 v31, v10, v15, vcc
	v_cndmask_b32_e32 v10, v14, v11, vcc
	v_add_u32_e32 v14, 20, v31
	v_lshlrev_b64 v[14:15], v14, -1
	v_mov_b32_e32 v11, v53
	v_add_u32_e32 v32, 19, v31
	v_bfi_b32 v14, v14, 0, v10
	v_lshlrev_b64 v[32:33], v32, 1
	v_lshrrev_b64 v[10:11], v31, v[10:11]
	v_bfi_b32 v15, v15, 0, 0
	v_cmp_eq_u64_e64 s[20:21], v[14:15], v[32:33]
	v_mov_b32_e32 v15, v11
	v_mov_b32_e32 v14, v10
	s_and_saveexec_b64 s[92:93], s[20:21]
; %bb.3240:                             ;   in Loop: Header=BB6_128 Depth=2
	v_bfe_u32 v11, v10, 20, 1
	v_add_co_u32_e64 v11, s[20:21], v10, v11
	v_add_co_u32_e64 v14, s[20:21], -1, v11
; %bb.3241:                             ;   in Loop: Header=BB6_128 Depth=2
	s_or_b64 exec, exec, s[92:93]
	v_add_u32_e32 v4, 0xffffff81, v4
	v_mov_b32_e32 v11, 0xffffff82
	v_cndmask_b32_e32 v4, v4, v11, vcc
	v_lshrrev_b32_e32 v11, 23, v10
	v_add3_u32 v31, v31, v4, v11
	v_add_u32_e32 v15, 6, v31
	v_and_b32_e32 v4, 0xfffff, v14
	v_add_u32_e32 v10, v4, v10
	v_mov_b32_e32 v11, v53
	v_cmp_ne_u32_e32 vcc, 0, v15
                                        ; implicit-def: $vgpr4
	s_and_saveexec_b64 s[20:21], vcc
	s_xor_b64 s[20:21], exec, s[20:21]
; %bb.3242:                             ;   in Loop: Header=BB6_128 Depth=2
	v_cmp_lt_u64_e32 vcc, s[60:61], v[10:11]
	v_add_u32_e32 v4, 7, v31
	v_cndmask_b32_e64 v14, 0, 1, vcc
	v_lshrrev_b64 v[10:11], v14, v[10:11]
	v_cndmask_b32_e32 v4, v15, v4, vcc
; %bb.3243:                             ;   in Loop: Header=BB6_128 Depth=2
	s_andn2_saveexec_b64 s[20:21], s[20:21]
; %bb.3244:                             ;   in Loop: Header=BB6_128 Depth=2
	v_bfe_u32 v4, v10, 23, 1
; %bb.3245:                             ;   in Loop: Header=BB6_128 Depth=2
	s_or_b64 exec, exec, s[20:21]
	v_lshrrev_b64 v[10:11], 20, v[10:11]
	v_cmp_gt_i32_e32 vcc, 16, v4
	v_cndmask_b32_e32 v11, 0, v11, vcc
	v_cndmask_b32_e32 v10, 7, v10, vcc
	v_cmp_eq_u32_e32 vcc, 0, v4
	v_min_i32_e32 v4, 15, v4
	v_cmp_eq_u64_e64 s[20:21], 0, v[10:11]
	v_lshlrev_b32_e32 v4, 3, v4
	v_and_b32_e32 v4, 0xf8, v4
	v_and_or_b32 v4, v10, 7, v4
	s_and_b64 s[20:21], vcc, s[20:21]
	v_cndmask_b32_e64 v4, v4, 0, s[20:21]
	v_or_b32_e32 v4, v4, v25
.LBB6_3246:                             ;   in Loop: Header=BB6_128 Depth=2
	s_or_b64 exec, exec, s[90:91]
                                        ; implicit-def: $vgpr25
.LBB6_3247:                             ;   in Loop: Header=BB6_128 Depth=2
	s_andn2_saveexec_b64 s[20:21], s[88:89]
; %bb.3248:                             ;   in Loop: Header=BB6_128 Depth=2
	v_or_b32_e32 v4, 0x7e, v25
; %bb.3249:                             ;   in Loop: Header=BB6_128 Depth=2
	s_or_b64 exec, exec, s[20:21]
                                        ; implicit-def: $vgpr10
.LBB6_3250:                             ;   in Loop: Header=BB6_128 Depth=2
	s_andn2_saveexec_b64 s[20:21], s[78:79]
; %bb.3251:                             ;   in Loop: Header=BB6_128 Depth=2
	v_or_b32_sdwa v4, v10, s51 dst_sel:DWORD dst_unused:UNUSED_PAD src0_sel:BYTE_3 src1_sel:DWORD
; %bb.3252:                             ;   in Loop: Header=BB6_128 Depth=2
	s_or_b64 exec, exec, s[20:21]
	v_lshrrev_b16_e32 v10, 8, v8
	v_cmp_ne_u16_e32 vcc, 0, v10
	v_mov_b32_e32 v11, 0
	v_mov_b32_e32 v14, 0
	s_and_saveexec_b64 s[20:21], vcc
	s_cbranch_execz .LBB6_3258
; %bb.3253:                             ;   in Loop: Header=BB6_128 Depth=2
	v_cmp_ne_u16_e32 vcc, s53, v10
	v_bfrev_b32_e32 v14, 1
	s_and_saveexec_b64 s[78:79], vcc
	s_cbranch_execz .LBB6_3257
; %bb.3254:                             ;   in Loop: Header=BB6_128 Depth=2
	v_and_b32_e32 v15, 0x7f, v10
	v_cmp_ne_u32_e32 vcc, s51, v15
	v_mov_b32_e32 v14, 0x7f800001
	s_and_saveexec_b64 s[88:89], vcc
	s_cbranch_execz .LBB6_3256
; %bb.3255:                             ;   in Loop: Header=BB6_128 Depth=2
	v_and_b32_e32 v25, 7, v10
	v_ffbh_u32_e32 v14, v25
	v_min_u32_e32 v32, 32, v14
	v_subrev_u32_e32 v14, 28, v32
	v_lshrrev_b32_e32 v31, 3, v15
	v_cmp_gt_u32_e32 vcc, 8, v15
	v_lshlrev_b64 v[14:15], v14, v[10:11]
	v_sub_u32_e32 v10, 29, v32
	v_and_b32_e32 v14, 7, v14
	v_cndmask_b32_e32 v10, v31, v10, vcc
	v_cndmask_b32_e32 v14, v25, v14, vcc
	v_lshlrev_b32_e32 v8, 16, v8
	v_bfrev_b32_e32 v15, 60
	v_lshlrev_b32_e32 v14, 20, v14
	v_and_b32_e32 v8, 0x80000000, v8
	v_lshl_add_u32 v10, v10, 23, v15
	v_or3_b32 v14, v8, v10, v14
.LBB6_3256:                             ;   in Loop: Header=BB6_128 Depth=2
	s_or_b64 exec, exec, s[88:89]
.LBB6_3257:                             ;   in Loop: Header=BB6_128 Depth=2
	s_or_b64 exec, exec, s[78:79]
.LBB6_3258:                             ;   in Loop: Header=BB6_128 Depth=2
	s_or_b64 exec, exec, s[20:21]
	v_lshrrev_b16_e32 v10, 8, v13
	v_cmp_ne_u16_e32 vcc, 0, v10
	s_and_saveexec_b64 s[20:21], vcc
	s_cbranch_execz .LBB6_3264
; %bb.3259:                             ;   in Loop: Header=BB6_128 Depth=2
	v_cmp_ne_u16_e32 vcc, s53, v10
	v_bfrev_b32_e32 v11, 1
	s_and_saveexec_b64 s[78:79], vcc
	s_cbranch_execz .LBB6_3263
; %bb.3260:                             ;   in Loop: Header=BB6_128 Depth=2
	v_and_b32_e32 v8, 0x7f, v10
	v_cmp_ne_u32_e32 vcc, s51, v8
	v_mov_b32_e32 v11, 0x7f800001
	s_and_saveexec_b64 s[88:89], vcc
	s_cbranch_execz .LBB6_3262
; %bb.3261:                             ;   in Loop: Header=BB6_128 Depth=2
	v_and_b32_e32 v15, 7, v10
	v_lshrrev_b32_e32 v25, 3, v8
	v_cmp_gt_u32_e32 vcc, 8, v8
	v_ffbh_u32_e32 v8, v15
	v_min_u32_e32 v8, 32, v8
	v_subrev_u32_e32 v11, 28, v8
	v_lshlrev_b64 v[10:11], v11, v[10:11]
	v_sub_u32_e32 v8, 29, v8
	v_and_b32_e32 v10, 7, v10
	v_cndmask_b32_e32 v8, v25, v8, vcc
	v_cndmask_b32_e32 v10, v15, v10, vcc
	v_lshlrev_b32_e32 v11, 16, v13
	v_bfrev_b32_e32 v15, 60
	v_lshlrev_b32_e32 v10, 20, v10
	v_and_b32_e32 v11, 0x80000000, v11
	v_lshl_add_u32 v8, v8, 23, v15
	v_or3_b32 v11, v11, v8, v10
.LBB6_3262:                             ;   in Loop: Header=BB6_128 Depth=2
	s_or_b64 exec, exec, s[88:89]
.LBB6_3263:                             ;   in Loop: Header=BB6_128 Depth=2
	s_or_b64 exec, exec, s[78:79]
.LBB6_3264:                             ;   in Loop: Header=BB6_128 Depth=2
	s_or_b64 exec, exec, s[20:21]
	v_add_f32_e32 v10, v14, v11
	v_and_b32_e32 v14, 0x7f800000, v10
	v_mov_b32_e32 v15, v53
	v_cmp_ne_u64_e32 vcc, s[56:57], v[14:15]
                                        ; implicit-def: $vgpr8
	s_and_saveexec_b64 s[20:21], vcc
	s_xor_b64 s[78:79], exec, s[20:21]
	s_cbranch_execz .LBB6_3278
; %bb.3265:                             ;   in Loop: Header=BB6_128 Depth=2
	v_and_b32_e32 v14, 0x7fffffff, v10
	v_mov_b32_e32 v15, v53
	v_cmp_gt_u64_e32 vcc, s[58:59], v[14:15]
	v_and_b32_sdwa v25, v10, s53 dst_sel:DWORD dst_unused:UNUSED_PAD src0_sel:BYTE_3 src1_sel:DWORD
                                        ; implicit-def: $vgpr8
	s_and_saveexec_b64 s[20:21], vcc
	s_xor_b64 s[88:89], exec, s[20:21]
	s_cbranch_execz .LBB6_3275
; %bb.3266:                             ;   in Loop: Header=BB6_128 Depth=2
	v_mov_b32_e32 v8, 0
	v_cmp_ne_u32_e32 vcc, 0, v10
	s_and_saveexec_b64 s[90:91], vcc
	s_cbranch_execz .LBB6_3274
; %bb.3267:                             ;   in Loop: Header=BB6_128 Depth=2
	v_bfe_u32 v8, v10, 23, 8
	v_and_b32_e32 v11, 0x7fffff, v10
	v_cmp_gt_u32_e64 s[20:21], s54, v8
	v_sub_u32_e32 v10, 0x79, v8
	v_cmp_eq_u32_e32 vcc, 0, v8
	v_cndmask_b32_e64 v10, 0, v10, s[20:21]
	v_mov_b32_e32 v15, 0x78
	v_or_b32_e32 v14, 0x800000, v11
	v_cndmask_b32_e32 v31, v10, v15, vcc
	v_cndmask_b32_e32 v10, v14, v11, vcc
	v_add_u32_e32 v14, 20, v31
	v_lshlrev_b64 v[14:15], v14, -1
	v_mov_b32_e32 v11, v53
	v_add_u32_e32 v32, 19, v31
	v_bfi_b32 v14, v14, 0, v10
	v_lshlrev_b64 v[32:33], v32, 1
	v_lshrrev_b64 v[10:11], v31, v[10:11]
	v_bfi_b32 v15, v15, 0, 0
	v_cmp_eq_u64_e64 s[20:21], v[14:15], v[32:33]
	v_mov_b32_e32 v15, v11
	v_mov_b32_e32 v14, v10
	s_and_saveexec_b64 s[92:93], s[20:21]
; %bb.3268:                             ;   in Loop: Header=BB6_128 Depth=2
	v_bfe_u32 v11, v10, 20, 1
	v_add_co_u32_e64 v11, s[20:21], v10, v11
	v_add_co_u32_e64 v14, s[20:21], -1, v11
; %bb.3269:                             ;   in Loop: Header=BB6_128 Depth=2
	s_or_b64 exec, exec, s[92:93]
	v_add_u32_e32 v8, 0xffffff81, v8
	v_mov_b32_e32 v11, 0xffffff82
	v_cndmask_b32_e32 v8, v8, v11, vcc
	v_lshrrev_b32_e32 v11, 23, v10
	v_add3_u32 v31, v31, v8, v11
	v_add_u32_e32 v15, 6, v31
	v_and_b32_e32 v8, 0xfffff, v14
	v_add_u32_e32 v10, v8, v10
	v_mov_b32_e32 v11, v53
	v_cmp_ne_u32_e32 vcc, 0, v15
                                        ; implicit-def: $vgpr8
	s_and_saveexec_b64 s[20:21], vcc
	s_xor_b64 s[20:21], exec, s[20:21]
; %bb.3270:                             ;   in Loop: Header=BB6_128 Depth=2
	v_cmp_lt_u64_e32 vcc, s[60:61], v[10:11]
	v_add_u32_e32 v8, 7, v31
	v_cndmask_b32_e64 v14, 0, 1, vcc
	v_lshrrev_b64 v[10:11], v14, v[10:11]
	v_cndmask_b32_e32 v8, v15, v8, vcc
; %bb.3271:                             ;   in Loop: Header=BB6_128 Depth=2
	s_andn2_saveexec_b64 s[20:21], s[20:21]
; %bb.3272:                             ;   in Loop: Header=BB6_128 Depth=2
	v_bfe_u32 v8, v10, 23, 1
; %bb.3273:                             ;   in Loop: Header=BB6_128 Depth=2
	s_or_b64 exec, exec, s[20:21]
	v_lshrrev_b64 v[10:11], 20, v[10:11]
	v_cmp_gt_i32_e32 vcc, 16, v8
	v_cndmask_b32_e32 v11, 0, v11, vcc
	v_cndmask_b32_e32 v10, 7, v10, vcc
	v_cmp_eq_u32_e32 vcc, 0, v8
	v_min_i32_e32 v8, 15, v8
	v_cmp_eq_u64_e64 s[20:21], 0, v[10:11]
	v_lshlrev_b32_e32 v8, 3, v8
	v_and_b32_e32 v8, 0xf8, v8
	v_and_or_b32 v8, v10, 7, v8
	s_and_b64 s[20:21], vcc, s[20:21]
	v_cndmask_b32_e64 v8, v8, 0, s[20:21]
	v_or_b32_e32 v8, v8, v25
.LBB6_3274:                             ;   in Loop: Header=BB6_128 Depth=2
	s_or_b64 exec, exec, s[90:91]
                                        ; implicit-def: $vgpr25
.LBB6_3275:                             ;   in Loop: Header=BB6_128 Depth=2
	s_andn2_saveexec_b64 s[20:21], s[88:89]
; %bb.3276:                             ;   in Loop: Header=BB6_128 Depth=2
	v_or_b32_e32 v8, 0x7e, v25
; %bb.3277:                             ;   in Loop: Header=BB6_128 Depth=2
	s_or_b64 exec, exec, s[20:21]
                                        ; implicit-def: $vgpr10
.LBB6_3278:                             ;   in Loop: Header=BB6_128 Depth=2
	s_andn2_saveexec_b64 s[20:21], s[78:79]
; %bb.3279:                             ;   in Loop: Header=BB6_128 Depth=2
	v_or_b32_sdwa v8, v10, s51 dst_sel:DWORD dst_unused:UNUSED_PAD src0_sel:BYTE_3 src1_sel:DWORD
; %bb.3280:                             ;   in Loop: Header=BB6_128 Depth=2
	s_or_b64 exec, exec, s[20:21]
	v_lshrrev_b32_e32 v10, 16, v52
	v_cmp_ne_u16_sdwa s[78:79], v10, v53 src0_sel:BYTE_0 src1_sel:DWORD
	v_mov_b32_e32 v11, 0
	v_mov_b32_e32 v14, 0
	s_and_saveexec_b64 s[20:21], s[78:79]
	s_cbranch_execz .LBB6_3286
; %bb.3281:                             ;   in Loop: Header=BB6_128 Depth=2
	v_cmp_ne_u16_sdwa s[88:89], v10, s53 src0_sel:BYTE_0 src1_sel:DWORD
	v_bfrev_b32_e32 v14, 1
	s_and_saveexec_b64 s[78:79], s[88:89]
	s_cbranch_execz .LBB6_3285
; %bb.3282:                             ;   in Loop: Header=BB6_128 Depth=2
	v_bfe_u32 v15, v52, 16, 7
	v_cmp_ne_u32_e32 vcc, s51, v15
	v_mov_b32_e32 v14, 0x7f800001
	s_and_saveexec_b64 s[88:89], vcc
	s_cbranch_execz .LBB6_3284
; %bb.3283:                             ;   in Loop: Header=BB6_128 Depth=2
	v_and_b32_e32 v25, 7, v10
	v_ffbh_u32_e32 v14, v25
	v_min_u32_e32 v32, 32, v14
	v_subrev_u32_e32 v14, 28, v32
	v_lshrrev_b32_e32 v31, 3, v15
	v_cmp_gt_u32_e32 vcc, 8, v15
	v_lshlrev_b64 v[14:15], v14, v[10:11]
	v_sub_u32_e32 v15, 29, v32
	v_and_b32_e32 v14, 7, v14
	v_cndmask_b32_e32 v15, v31, v15, vcc
	v_cndmask_b32_e32 v14, v25, v14, vcc
	v_lshlrev_b32_e32 v10, 24, v10
	v_bfrev_b32_e32 v25, 60
	v_lshlrev_b32_e32 v14, 20, v14
	v_and_b32_e32 v10, 0x80000000, v10
	v_lshl_add_u32 v15, v15, 23, v25
	v_or3_b32 v14, v10, v15, v14
.LBB6_3284:                             ;   in Loop: Header=BB6_128 Depth=2
	s_or_b64 exec, exec, s[88:89]
.LBB6_3285:                             ;   in Loop: Header=BB6_128 Depth=2
	s_or_b64 exec, exec, s[78:79]
.LBB6_3286:                             ;   in Loop: Header=BB6_128 Depth=2
	s_or_b64 exec, exec, s[20:21]
	v_lshrrev_b32_e32 v10, 16, v13
	v_cmp_ne_u16_sdwa s[78:79], v10, v53 src0_sel:BYTE_0 src1_sel:DWORD
	s_and_saveexec_b64 s[20:21], s[78:79]
	s_cbranch_execz .LBB6_3292
; %bb.3287:                             ;   in Loop: Header=BB6_128 Depth=2
	v_cmp_ne_u16_sdwa s[88:89], v10, s53 src0_sel:BYTE_0 src1_sel:DWORD
	v_bfrev_b32_e32 v11, 1
	s_and_saveexec_b64 s[78:79], s[88:89]
	s_cbranch_execz .LBB6_3291
; %bb.3288:                             ;   in Loop: Header=BB6_128 Depth=2
	v_bfe_u32 v15, v13, 16, 7
	v_cmp_ne_u32_e32 vcc, s51, v15
	v_mov_b32_e32 v11, 0x7f800001
	s_and_saveexec_b64 s[88:89], vcc
	s_cbranch_execz .LBB6_3290
; %bb.3289:                             ;   in Loop: Header=BB6_128 Depth=2
	v_and_b32_e32 v25, 7, v10
	v_ffbh_u32_e32 v11, v25
	v_lshrrev_b32_e32 v31, 3, v15
	v_cmp_gt_u32_e32 vcc, 8, v15
	v_min_u32_e32 v15, 32, v11
	v_subrev_u32_e32 v11, 28, v15
	v_lshlrev_b64 v[10:11], v11, v[10:11]
	v_sub_u32_e32 v11, 29, v15
	v_and_b32_e32 v10, 7, v10
	v_cndmask_b32_e32 v11, v31, v11, vcc
	v_cndmask_b32_e32 v10, v25, v10, vcc
	v_lshlrev_b32_e32 v15, 8, v13
	v_bfrev_b32_e32 v25, 60
	v_lshlrev_b32_e32 v10, 20, v10
	v_and_b32_e32 v15, 0x80000000, v15
	v_lshl_add_u32 v11, v11, 23, v25
	v_or3_b32 v11, v15, v11, v10
.LBB6_3290:                             ;   in Loop: Header=BB6_128 Depth=2
	s_or_b64 exec, exec, s[88:89]
.LBB6_3291:                             ;   in Loop: Header=BB6_128 Depth=2
	s_or_b64 exec, exec, s[78:79]
.LBB6_3292:                             ;   in Loop: Header=BB6_128 Depth=2
	s_or_b64 exec, exec, s[20:21]
	v_add_f32_e32 v10, v14, v11
	v_and_b32_e32 v14, 0x7f800000, v10
	v_mov_b32_e32 v15, v53
	v_cmp_ne_u64_e32 vcc, s[56:57], v[14:15]
                                        ; implicit-def: $vgpr14
	s_and_saveexec_b64 s[20:21], vcc
	s_xor_b64 s[78:79], exec, s[20:21]
	s_cbranch_execz .LBB6_3306
; %bb.3293:                             ;   in Loop: Header=BB6_128 Depth=2
	v_and_b32_e32 v14, 0x7fffffff, v10
	v_mov_b32_e32 v15, v53
	v_cmp_gt_u64_e32 vcc, s[58:59], v[14:15]
	v_and_b32_sdwa v25, v10, s53 dst_sel:DWORD dst_unused:UNUSED_PAD src0_sel:BYTE_3 src1_sel:DWORD
                                        ; implicit-def: $vgpr14
	s_and_saveexec_b64 s[20:21], vcc
	s_xor_b64 s[88:89], exec, s[20:21]
	s_cbranch_execz .LBB6_3303
; %bb.3294:                             ;   in Loop: Header=BB6_128 Depth=2
	v_mov_b32_e32 v14, 0
	v_cmp_ne_u32_e32 vcc, 0, v10
	s_and_saveexec_b64 s[90:91], vcc
	s_cbranch_execz .LBB6_3302
; %bb.3295:                             ;   in Loop: Header=BB6_128 Depth=2
	v_bfe_u32 v31, v10, 23, 8
	v_and_b32_e32 v11, 0x7fffff, v10
	v_cmp_gt_u32_e64 s[20:21], s54, v31
	v_sub_u32_e32 v10, 0x79, v31
	v_cmp_eq_u32_e32 vcc, 0, v31
	v_cndmask_b32_e64 v10, 0, v10, s[20:21]
	v_mov_b32_e32 v15, 0x78
	v_or_b32_e32 v14, 0x800000, v11
	v_cndmask_b32_e32 v32, v10, v15, vcc
	v_cndmask_b32_e32 v10, v14, v11, vcc
	v_add_u32_e32 v14, 20, v32
	v_lshlrev_b64 v[14:15], v14, -1
	v_mov_b32_e32 v11, v53
	v_add_u32_e32 v33, 19, v32
	v_bfi_b32 v14, v14, 0, v10
	v_lshlrev_b64 v[33:34], v33, 1
	v_lshrrev_b64 v[10:11], v32, v[10:11]
	v_bfi_b32 v15, v15, 0, 0
	v_cmp_eq_u64_e64 s[20:21], v[14:15], v[33:34]
	v_mov_b32_e32 v15, v11
	v_mov_b32_e32 v14, v10
	s_and_saveexec_b64 s[92:93], s[20:21]
; %bb.3296:                             ;   in Loop: Header=BB6_128 Depth=2
	v_bfe_u32 v11, v10, 20, 1
	v_add_co_u32_e64 v11, s[20:21], v10, v11
	v_add_co_u32_e64 v14, s[20:21], -1, v11
; %bb.3297:                             ;   in Loop: Header=BB6_128 Depth=2
	s_or_b64 exec, exec, s[92:93]
	v_add_u32_e32 v11, 0xffffff81, v31
	v_mov_b32_e32 v15, 0xffffff82
	v_cndmask_b32_e32 v11, v11, v15, vcc
	v_lshrrev_b32_e32 v15, 23, v10
	v_add3_u32 v31, v32, v11, v15
	v_add_u32_e32 v15, 6, v31
	v_and_b32_e32 v11, 0xfffff, v14
	v_add_u32_e32 v10, v11, v10
	v_mov_b32_e32 v11, v53
	v_cmp_ne_u32_e32 vcc, 0, v15
                                        ; implicit-def: $vgpr14
	s_and_saveexec_b64 s[20:21], vcc
	s_xor_b64 s[20:21], exec, s[20:21]
; %bb.3298:                             ;   in Loop: Header=BB6_128 Depth=2
	v_cmp_lt_u64_e32 vcc, s[60:61], v[10:11]
	v_add_u32_e32 v14, 7, v31
	v_cndmask_b32_e32 v14, v15, v14, vcc
	v_cndmask_b32_e64 v15, 0, 1, vcc
	v_lshrrev_b64 v[10:11], v15, v[10:11]
; %bb.3299:                             ;   in Loop: Header=BB6_128 Depth=2
	s_andn2_saveexec_b64 s[20:21], s[20:21]
; %bb.3300:                             ;   in Loop: Header=BB6_128 Depth=2
	v_bfe_u32 v14, v10, 23, 1
; %bb.3301:                             ;   in Loop: Header=BB6_128 Depth=2
	s_or_b64 exec, exec, s[20:21]
	v_lshrrev_b64 v[10:11], 20, v[10:11]
	v_cmp_gt_i32_e32 vcc, 16, v14
	v_cndmask_b32_e32 v11, 0, v11, vcc
	v_cndmask_b32_e32 v10, 7, v10, vcc
	v_cmp_eq_u64_e64 s[20:21], 0, v[10:11]
	v_min_i32_e32 v11, 15, v14
	v_lshlrev_b32_e32 v11, 3, v11
	v_cmp_eq_u32_e32 vcc, 0, v14
	v_and_b32_e32 v11, 0xf8, v11
	v_and_or_b32 v10, v10, 7, v11
	s_and_b64 s[20:21], vcc, s[20:21]
	v_cndmask_b32_e64 v10, v10, 0, s[20:21]
	v_or_b32_e32 v14, v10, v25
.LBB6_3302:                             ;   in Loop: Header=BB6_128 Depth=2
	s_or_b64 exec, exec, s[90:91]
                                        ; implicit-def: $vgpr25
.LBB6_3303:                             ;   in Loop: Header=BB6_128 Depth=2
	s_andn2_saveexec_b64 s[20:21], s[88:89]
; %bb.3304:                             ;   in Loop: Header=BB6_128 Depth=2
	v_or_b32_e32 v14, 0x7e, v25
; %bb.3305:                             ;   in Loop: Header=BB6_128 Depth=2
	s_or_b64 exec, exec, s[20:21]
                                        ; implicit-def: $vgpr10
.LBB6_3306:                             ;   in Loop: Header=BB6_128 Depth=2
	s_andn2_saveexec_b64 s[20:21], s[78:79]
; %bb.3307:                             ;   in Loop: Header=BB6_128 Depth=2
	v_or_b32_sdwa v14, v10, s51 dst_sel:DWORD dst_unused:UNUSED_PAD src0_sel:BYTE_3 src1_sel:DWORD
; %bb.3308:                             ;   in Loop: Header=BB6_128 Depth=2
	s_or_b64 exec, exec, s[20:21]
	v_cmp_lt_u32_e32 vcc, s63, v52
	v_mov_b32_e32 v11, 0
	v_mov_b32_e32 v15, 0
	s_and_saveexec_b64 s[20:21], vcc
	s_cbranch_execz .LBB6_3314
; %bb.3309:                             ;   in Loop: Header=BB6_128 Depth=2
	v_lshrrev_b32_e32 v10, 24, v52
	v_cmp_ne_u32_sdwa s[88:89], v52, s53 src0_sel:BYTE_3 src1_sel:DWORD
	v_bfrev_b32_e32 v15, 1
	s_and_saveexec_b64 s[78:79], s[88:89]
	s_cbranch_execz .LBB6_3313
; %bb.3310:                             ;   in Loop: Header=BB6_128 Depth=2
	v_bfe_u32 v25, v52, 24, 7
	v_cmp_ne_u32_e32 vcc, s51, v25
	v_mov_b32_e32 v15, 0x7f800001
	s_and_saveexec_b64 s[88:89], vcc
	s_cbranch_execz .LBB6_3312
; %bb.3311:                             ;   in Loop: Header=BB6_128 Depth=2
	v_and_b32_e32 v15, 7, v10
	v_lshrrev_b32_e32 v33, 3, v25
	v_cmp_gt_u32_e32 vcc, 8, v25
	v_ffbh_u32_e32 v25, v15
	v_min_u32_e32 v25, 32, v25
	v_subrev_u32_e32 v31, 28, v25
	v_lshlrev_b64 v[31:32], v31, v[10:11]
	v_sub_u32_e32 v10, 29, v25
	v_and_b32_e32 v25, 7, v31
	v_cndmask_b32_e32 v15, v15, v25, vcc
	v_mov_b32_e32 v25, 24
	v_cndmask_b32_e32 v10, v33, v10, vcc
	v_lshlrev_b32_sdwa v25, v25, v52 dst_sel:DWORD dst_unused:UNUSED_PAD src0_sel:DWORD src1_sel:BYTE_3
	v_bfrev_b32_e32 v26, 60
	v_lshlrev_b32_e32 v15, 20, v15
	v_and_b32_e32 v25, 0x80000000, v25
	v_lshl_add_u32 v10, v10, 23, v26
	v_or3_b32 v15, v25, v10, v15
.LBB6_3312:                             ;   in Loop: Header=BB6_128 Depth=2
	s_or_b64 exec, exec, s[88:89]
.LBB6_3313:                             ;   in Loop: Header=BB6_128 Depth=2
	s_or_b64 exec, exec, s[78:79]
.LBB6_3314:                             ;   in Loop: Header=BB6_128 Depth=2
	s_or_b64 exec, exec, s[20:21]
	v_cmp_lt_u64_e32 vcc, s[62:63], v[12:13]
	s_and_saveexec_b64 s[20:21], vcc
	s_cbranch_execz .LBB6_3320
; %bb.3315:                             ;   in Loop: Header=BB6_128 Depth=2
	v_lshrrev_b32_e32 v10, 24, v13
	v_cmp_ne_u32_e32 vcc, s53, v10
	v_bfrev_b32_e32 v11, 1
	s_and_saveexec_b64 s[78:79], vcc
	s_cbranch_execz .LBB6_3319
; %bb.3316:                             ;   in Loop: Header=BB6_128 Depth=2
	v_bfe_u32 v12, v13, 24, 7
	v_cmp_ne_u32_e32 vcc, s51, v12
	v_mov_b32_e32 v11, 0x7f800001
	s_and_saveexec_b64 s[88:89], vcc
	s_cbranch_execz .LBB6_3318
; %bb.3317:                             ;   in Loop: Header=BB6_128 Depth=2
	v_and_b32_e32 v13, 7, v10
	v_ffbh_u32_e32 v11, v13
	v_min_u32_e32 v31, 32, v11
	v_subrev_u32_e32 v11, 28, v31
	v_lshrrev_b32_e32 v25, 3, v12
	v_cmp_gt_u32_e32 vcc, 8, v12
	v_lshlrev_b64 v[11:12], v11, v[10:11]
	v_sub_u32_e32 v12, 29, v31
	v_and_b32_e32 v11, 7, v11
	v_cndmask_b32_e32 v12, v25, v12, vcc
	v_cndmask_b32_e32 v11, v13, v11, vcc
	v_lshlrev_b32_e32 v10, 24, v10
	v_bfrev_b32_e32 v13, 60
	v_lshlrev_b32_e32 v11, 20, v11
	v_and_b32_e32 v10, 0x80000000, v10
	v_lshl_add_u32 v12, v12, 23, v13
	v_or3_b32 v11, v10, v12, v11
.LBB6_3318:                             ;   in Loop: Header=BB6_128 Depth=2
	s_or_b64 exec, exec, s[88:89]
.LBB6_3319:                             ;   in Loop: Header=BB6_128 Depth=2
	s_or_b64 exec, exec, s[78:79]
.LBB6_3320:                             ;   in Loop: Header=BB6_128 Depth=2
	s_or_b64 exec, exec, s[20:21]
	v_add_f32_e32 v11, v15, v11
	v_and_b32_e32 v52, 0x7f800000, v11
	v_cmp_ne_u64_e32 vcc, s[56:57], v[52:53]
                                        ; implicit-def: $vgpr10
	s_and_saveexec_b64 s[20:21], vcc
	s_xor_b64 s[78:79], exec, s[20:21]
	s_cbranch_execz .LBB6_3334
; %bb.3321:                             ;   in Loop: Header=BB6_128 Depth=2
	v_and_b32_e32 v52, 0x7fffffff, v11
	v_cmp_gt_u64_e32 vcc, s[58:59], v[52:53]
	v_and_b32_sdwa v13, v11, s53 dst_sel:DWORD dst_unused:UNUSED_PAD src0_sel:BYTE_3 src1_sel:DWORD
                                        ; implicit-def: $vgpr10
	s_and_saveexec_b64 s[20:21], vcc
	s_xor_b64 s[88:89], exec, s[20:21]
	s_cbranch_execz .LBB6_3331
; %bb.3322:                             ;   in Loop: Header=BB6_128 Depth=2
	v_mov_b32_e32 v10, 0
	v_cmp_ne_u32_e32 vcc, 0, v11
	s_and_saveexec_b64 s[90:91], vcc
	s_cbranch_execz .LBB6_3330
; %bb.3323:                             ;   in Loop: Header=BB6_128 Depth=2
	v_bfe_u32 v15, v11, 23, 8
	v_and_b32_e32 v10, 0x7fffff, v11
	v_cmp_gt_u32_e64 s[20:21], s54, v15
	v_sub_u32_e32 v11, 0x79, v15
	v_cmp_eq_u32_e32 vcc, 0, v15
	v_cndmask_b32_e64 v11, 0, v11, s[20:21]
	v_mov_b32_e32 v25, 0x78
	v_or_b32_e32 v12, 0x800000, v10
	v_cndmask_b32_e32 v25, v11, v25, vcc
	v_cndmask_b32_e32 v52, v12, v10, vcc
	v_add_u32_e32 v10, 20, v25
	v_lshlrev_b64 v[10:11], v10, -1
	v_add_u32_e32 v12, 19, v25
	v_lshlrev_b64 v[31:32], v12, 1
	v_bfi_b32 v11, v11, 0, 0
	v_bfi_b32 v10, v10, 0, v52
	v_cmp_eq_u64_e64 s[20:21], v[10:11], v[31:32]
	v_lshrrev_b64 v[10:11], v25, v[52:53]
	v_mov_b32_e32 v12, v11
	v_mov_b32_e32 v11, v10
	s_and_saveexec_b64 s[92:93], s[20:21]
; %bb.3324:                             ;   in Loop: Header=BB6_128 Depth=2
	v_bfe_u32 v11, v10, 20, 1
	v_add_co_u32_e64 v11, s[20:21], v10, v11
	v_add_co_u32_e64 v11, s[20:21], -1, v11
; %bb.3325:                             ;   in Loop: Header=BB6_128 Depth=2
	s_or_b64 exec, exec, s[92:93]
	v_add_u32_e32 v12, 0xffffff81, v15
	v_mov_b32_e32 v15, 0xffffff82
	v_cndmask_b32_e32 v12, v12, v15, vcc
	v_lshrrev_b32_e32 v15, 23, v10
	v_add3_u32 v25, v25, v12, v15
	v_add_u32_e32 v15, 6, v25
	v_and_b32_e32 v11, 0xfffff, v11
	v_add_u32_e32 v52, v11, v10
	v_cmp_ne_u32_e32 vcc, 0, v15
                                        ; implicit-def: $vgpr10_vgpr11
                                        ; implicit-def: $vgpr12
	s_and_saveexec_b64 s[20:21], vcc
	s_xor_b64 s[20:21], exec, s[20:21]
; %bb.3326:                             ;   in Loop: Header=BB6_128 Depth=2
	v_cmp_lt_u64_e32 vcc, s[60:61], v[52:53]
	v_add_u32_e32 v10, 7, v25
	v_cndmask_b32_e32 v12, v15, v10, vcc
	v_cndmask_b32_e64 v10, 0, 1, vcc
	v_lshrrev_b64 v[10:11], v10, v[52:53]
; %bb.3327:                             ;   in Loop: Header=BB6_128 Depth=2
	s_andn2_saveexec_b64 s[20:21], s[20:21]
; %bb.3328:                             ;   in Loop: Header=BB6_128 Depth=2
	v_mov_b32_e32 v10, v52
	v_bfe_u32 v12, v52, 23, 1
	v_mov_b32_e32 v11, v53
; %bb.3329:                             ;   in Loop: Header=BB6_128 Depth=2
	s_or_b64 exec, exec, s[20:21]
	v_lshrrev_b64 v[10:11], 20, v[10:11]
	v_cmp_gt_i32_e32 vcc, 16, v12
	v_cndmask_b32_e32 v11, 0, v11, vcc
	v_cndmask_b32_e32 v10, 7, v10, vcc
	v_cmp_eq_u64_e64 s[20:21], 0, v[10:11]
	v_min_i32_e32 v11, 15, v12
	v_lshlrev_b32_e32 v11, 3, v11
	v_cmp_eq_u32_e32 vcc, 0, v12
	v_and_b32_e32 v11, 0xf8, v11
	v_and_or_b32 v10, v10, 7, v11
	s_and_b64 s[20:21], vcc, s[20:21]
	v_cndmask_b32_e64 v10, v10, 0, s[20:21]
	v_or_b32_e32 v10, v10, v13
.LBB6_3330:                             ;   in Loop: Header=BB6_128 Depth=2
	s_or_b64 exec, exec, s[90:91]
                                        ; implicit-def: $vgpr13
.LBB6_3331:                             ;   in Loop: Header=BB6_128 Depth=2
	s_andn2_saveexec_b64 s[20:21], s[88:89]
; %bb.3332:                             ;   in Loop: Header=BB6_128 Depth=2
	v_or_b32_e32 v10, 0x7e, v13
; %bb.3333:                             ;   in Loop: Header=BB6_128 Depth=2
	s_or_b64 exec, exec, s[20:21]
                                        ; implicit-def: $vgpr11
.LBB6_3334:                             ;   in Loop: Header=BB6_128 Depth=2
	s_andn2_saveexec_b64 s[20:21], s[78:79]
	s_cbranch_execz .LBB6_127
; %bb.3335:                             ;   in Loop: Header=BB6_128 Depth=2
	v_or_b32_sdwa v10, v11, s51 dst_sel:DWORD dst_unused:UNUSED_PAD src0_sel:BYTE_3 src1_sel:DWORD
	s_branch .LBB6_127
.LBB6_3336:                             ;   in Loop: Header=BB6_49 Depth=1
	s_or_b64 exec, exec, s[76:77]
	buffer_load_dword v48, off, s[0:3], s33 offset:384 ; 4-byte Folded Reload
	buffer_load_dword v49, off, s[0:3], s33 offset:388 ; 4-byte Folded Reload
	;; [unrolled: 1-line block ×4, first 2 shown]
.LBB6_3337:                             ;   in Loop: Header=BB6_49 Depth=1
	s_or_b64 exec, exec, s[22:23]
	buffer_load_dword v1, off, s[0:3], s33 offset:352 ; 4-byte Folded Reload
	s_mov_b64 s[20:21], 0
	v_mov_b32_e32 v7, 0
                                        ; implicit-def: $vgpr3
                                        ; implicit-def: $vgpr4
	s_waitcnt vmcnt(0)
	v_and_b32_e32 v0, 0x3ffff000, v1
	v_cmp_ne_u32_e32 vcc, v1, v0
	s_and_saveexec_b64 s[76:77], vcc
	s_cbranch_execz .LBB6_4151
; %bb.3338:                             ;   in Loop: Header=BB6_49 Depth=1
	buffer_load_dword v7, off, s[0:3], s33 offset:352 ; 4-byte Folded Reload
	v_lshlrev_b32_e32 v1, 6, v2
	buffer_load_dword v2, off, s[0:3], s33 offset:400 ; 4-byte Folded Reload
	s_waitcnt vmcnt(1)
	v_and_b32_e32 v3, 0xfff, v7
	v_bfe_u32 v6, v7, 10, 2
	s_waitcnt vmcnt(0)
	v_sub_u32_e32 v1, v2, v1
	v_ashrrev_i32_e32 v2, 31, v1
	v_lshrrev_b32_e32 v2, 26, v2
	v_add_u32_e32 v2, v1, v2
	v_ashrrev_i32_e32 v5, 6, v2
	v_and_b32_e32 v2, 0xffffffc0, v2
	v_sub_u32_e32 v1, v1, v2
	v_lshlrev_b32_e32 v2, 4, v1
	v_lshl_add_u32 v4, v5, 10, v2
	v_and_b32_e32 v2, 0x3ff, v7
	v_cmp_lt_u32_e64 s[20:21], 15, v2
	v_sub_u32_e32 v3, v3, v4
	v_addc_co_u32_e64 v6, vcc, 0, v6, s[20:21]
	v_sub_u32_e32 v5, v6, v5
	v_cmp_lt_i32_e32 vcc, 15, v3
	s_and_saveexec_b64 s[78:79], vcc
	s_cbranch_execz .LBB6_4150
; %bb.3339:                             ;   in Loop: Header=BB6_49 Depth=1
	v_add_u32_e32 v0, v4, v0
	s_trap 2
	ds_read_b64 v[6:7], v0
	v_ashrrev_i32_e32 v4, 31, v0
	v_add_co_u32_e32 v14, vcc, v0, v50
	v_addc_co_u32_e32 v15, vcc, v4, v51, vcc
	s_waitcnt lgkmcnt(0)
	v_readfirstlane_b32 s22, v6
	s_and_b32 s23, s22, 7
	s_flbit_i32_b32 s23, s23
	s_min_u32 s23, s23, 32
	s_and_b32 s88, s22, 0x7f
	s_bfe_u32 s89, s22, 0x40003
	s_sub_i32 s90, s23, 28
	s_sub_i32 s23, 29, s23
	s_cmp_lt_u32 s88, 8
	v_add_co_u32_e32 v16, vcc, v6, v0
	s_cselect_b32 s90, s90, 0
	s_cselect_b32 s23, s23, s89
	v_addc_co_u32_e32 v17, vcc, v7, v4, vcc
	v_lshlrev_b64 v[6:7], s90, v[6:7]
	s_lshl_b32 s89, s22, 24
	s_lshl_b32 s23, s23, 23
	s_and_b32 s89, s89, 0x80000000
	s_add_i32 s23, s23, 0x3c000000
	v_add_co_u32_e32 v18, vcc, v0, v48
	v_lshlrev_b32_e32 v0, 20, v6
	s_or_b32 s23, s89, s23
	v_addc_co_u32_e32 v19, vcc, v4, v49, vcc
	v_and_b32_e32 v0, 0x700000, v0
	s_cmpk_lg_i32 s88, 0x7f
	v_or_b32_e32 v0, s23, v0
	s_cselect_b64 vcc, -1, 0
	v_mov_b32_e32 v4, 0x7f800001
	v_cndmask_b32_e32 v4, v4, v0, vcc
	s_mov_b64 s[88:89], 0
	s_and_b32 s34, s22, 0xff
	s_branch .LBB6_3341
.LBB6_3340:                             ;   in Loop: Header=BB6_3341 Depth=2
	s_or_b64 exec, exec, s[22:23]
	v_lshl_or_b32 v11, v31, 8, v23
	v_lshlrev_b32_e32 v12, 16, v33
	v_lshlrev_b32_e32 v13, 24, v34
	v_or3_b32 v22, v11, v12, v13
	v_lshl_or_b32 v6, v7, 8, v6
	v_lshlrev_b32_e32 v7, 16, v24
	v_lshlrev_b32_e32 v11, 24, v29
	v_or3_b32 v21, v6, v7, v11
	;; [unrolled: 4-line block ×3, first 2 shown]
	v_lshlrev_b32_e32 v6, 24, v10
	v_lshlrev_b32_e32 v7, 16, v20
	v_lshl_or_b32 v0, v9, 8, v0
	v_or3_b32 v24, v0, v7, v6
	buffer_load_dword v0, off, s[0:3], s33 offset:348 ; 4-byte Folded Reload
	s_waitcnt vmcnt(0)
	v_add_co_u32_e32 v14, vcc, v14, v0
	v_addc_co_u32_e32 v15, vcc, 0, v15, vcc
	v_add_co_u32_e32 v16, vcc, v16, v0
	v_addc_co_u32_e32 v17, vcc, 0, v17, vcc
	global_store_dwordx4 v[18:19], v[21:24], off glc slc
	v_add_co_u32_e32 v18, vcc, v18, v0
	v_sub_u32_e32 v3, v3, v0
	buffer_load_dword v0, off, s[0:3], s33 offset:156 ; 4-byte Folded Reload
	v_addc_co_u32_e32 v19, vcc, 0, v19, vcc
	v_cmp_gt_i32_e32 vcc, 16, v3
	s_or_b64 s[88:89], vcc, s[88:89]
	s_waitcnt vmcnt(0)
	v_sub_u32_e32 v5, v5, v0
	s_andn2_b64 exec, exec, s[88:89]
	s_cbranch_execz .LBB6_4149
.LBB6_3341:                             ;   Parent Loop BB6_49 Depth=1
                                        ; =>  This Inner Loop Header: Depth=2
	s_cmpk_lt_i32 s34, 0x80
	s_cbranch_scc1 .LBB6_3345
; %bb.3342:                             ;   in Loop: Header=BB6_3341 Depth=2
	s_and_b32 s90, 0xffff, s34
	s_mov_b64 s[22:23], -1
	s_cmpk_eq_i32 s90, 0x80
	s_cbranch_scc0 .LBB6_3344
; %bb.3343:                             ;   in Loop: Header=BB6_3341 Depth=2
	s_mov_b64 s[22:23], 0
.LBB6_3344:                             ;   in Loop: Header=BB6_3341 Depth=2
	s_brev_b32 s92, 1
	s_branch .LBB6_3347
.LBB6_3345:                             ;   in Loop: Header=BB6_3341 Depth=2
	s_mov_b64 s[22:23], 0
	s_brev_b32 s92, 1
	s_cbranch_execz .LBB6_3347
; %bb.3346:                             ;   in Loop: Header=BB6_3341 Depth=2
	s_and_b32 s22, 0xffff, s34
	s_cmp_lg_u32 s22, 0
	s_mov_b32 s92, 0
	s_cselect_b64 s[22:23], -1, 0
.LBB6_3347:                             ;   in Loop: Header=BB6_3341 Depth=2
	s_andn2_b64 vcc, exec, s[22:23]
	v_mov_b32_e32 v7, s92
	s_cbranch_vccnz .LBB6_3349
; %bb.3348:                             ;   in Loop: Header=BB6_3341 Depth=2
	v_mov_b32_e32 v7, v4
.LBB6_3349:                             ;   in Loop: Header=BB6_3341 Depth=2
	global_load_dwordx4 v[10:13], v[14:15], off glc slc
	v_mov_b32_e32 v0, 0
	s_waitcnt vmcnt(0)
	v_cmp_ne_u16_sdwa s[90:91], v10, v53 src0_sel:BYTE_0 src1_sel:DWORD
	s_and_saveexec_b64 s[22:23], s[90:91]
	s_cbranch_execz .LBB6_3355
; %bb.3350:                             ;   in Loop: Header=BB6_3341 Depth=2
	v_cmp_ne_u16_sdwa s[92:93], v10, s53 src0_sel:BYTE_0 src1_sel:DWORD
	v_bfrev_b32_e32 v0, 1
	s_and_saveexec_b64 s[90:91], s[92:93]
	s_cbranch_execz .LBB6_3354
; %bb.3351:                             ;   in Loop: Header=BB6_3341 Depth=2
	v_and_b32_e32 v6, 0x7f, v10
	v_cmp_ne_u32_e32 vcc, s51, v6
	v_mov_b32_e32 v0, 0x7f800001
	s_and_saveexec_b64 s[92:93], vcc
	s_cbranch_execz .LBB6_3353
; %bb.3352:                             ;   in Loop: Header=BB6_3341 Depth=2
	v_and_b32_e32 v0, 7, v10
	v_ffbh_u32_e32 v0, v0
	v_min_u32_e32 v0, 32, v0
	v_lshrrev_b32_e32 v8, 3, v6
	v_cmp_gt_u32_e32 vcc, 8, v6
	v_subrev_u32_e32 v6, 28, v0
	v_sub_u32_e32 v0, 29, v0
	v_cndmask_b32_e32 v6, 0, v6, vcc
	v_cndmask_b32_e32 v0, v8, v0, vcc
	v_lshlrev_b64 v[8:9], v6, v[10:11]
	v_bfrev_b32_e32 v9, 60
	v_lshlrev_b32_e32 v6, 20, v8
	v_lshlrev_b32_e32 v8, 24, v10
	v_and_b32_e32 v6, 0x700000, v6
	v_and_b32_e32 v8, 0x80000000, v8
	v_lshl_add_u32 v0, v0, 23, v9
	v_or3_b32 v0, v8, v0, v6
.LBB6_3353:                             ;   in Loop: Header=BB6_3341 Depth=2
	s_or_b64 exec, exec, s[92:93]
.LBB6_3354:                             ;   in Loop: Header=BB6_3341 Depth=2
	s_or_b64 exec, exec, s[90:91]
.LBB6_3355:                             ;   in Loop: Header=BB6_3341 Depth=2
	s_or_b64 exec, exec, s[22:23]
	v_mul_f32_e32 v8, v7, v0
	v_and_b32_e32 v52, 0x7f800000, v8
	v_cmp_ne_u64_e32 vcc, s[56:57], v[52:53]
                                        ; implicit-def: $vgpr6
	s_and_saveexec_b64 s[22:23], vcc
	s_xor_b64 s[90:91], exec, s[22:23]
	s_cbranch_execz .LBB6_3369
; %bb.3356:                             ;   in Loop: Header=BB6_3341 Depth=2
	v_and_b32_e32 v52, 0x7fffffff, v8
	v_cmp_gt_u64_e32 vcc, s[58:59], v[52:53]
	v_and_b32_sdwa v0, v8, s53 dst_sel:DWORD dst_unused:UNUSED_PAD src0_sel:BYTE_3 src1_sel:DWORD
                                        ; implicit-def: $vgpr6
	s_and_saveexec_b64 s[22:23], vcc
	s_xor_b64 s[92:93], exec, s[22:23]
	s_cbranch_execz .LBB6_3366
; %bb.3357:                             ;   in Loop: Header=BB6_3341 Depth=2
	v_mov_b32_e32 v6, 0
	v_cmp_ne_u32_e32 vcc, 0, v8
	s_and_saveexec_b64 s[94:95], vcc
	s_cbranch_execz .LBB6_3365
; %bb.3358:                             ;   in Loop: Header=BB6_3341 Depth=2
	v_bfe_u32 v6, v8, 23, 8
	v_and_b32_e32 v9, 0x7fffff, v8
	v_cmp_gt_u32_e64 s[22:23], s54, v6
	v_sub_u32_e32 v8, 0x79, v6
	v_cmp_eq_u32_e32 vcc, 0, v6
	v_cndmask_b32_e64 v8, 0, v8, s[22:23]
	v_mov_b32_e32 v21, 0x78
	v_or_b32_e32 v20, 0x800000, v9
	v_cndmask_b32_e32 v8, v8, v21, vcc
	v_cndmask_b32_e32 v52, v20, v9, vcc
	v_add_u32_e32 v9, 20, v8
	v_lshlrev_b64 v[20:21], v9, -1
	v_add_u32_e32 v9, 19, v8
	v_lshlrev_b64 v[22:23], v9, 1
	v_bfi_b32 v21, v21, 0, 0
	v_bfi_b32 v20, v20, 0, v52
	v_cmp_eq_u64_e64 s[22:23], v[20:21], v[22:23]
	v_lshrrev_b64 v[20:21], v8, v[52:53]
	v_mov_b32_e32 v22, v21
	v_mov_b32_e32 v21, v20
	s_and_saveexec_b64 s[30:31], s[22:23]
; %bb.3359:                             ;   in Loop: Header=BB6_3341 Depth=2
	v_bfe_u32 v9, v20, 20, 1
	v_add_co_u32_e64 v9, s[22:23], v20, v9
	v_add_co_u32_e64 v21, s[22:23], -1, v9
; %bb.3360:                             ;   in Loop: Header=BB6_3341 Depth=2
	s_or_b64 exec, exec, s[30:31]
	v_add_u32_e32 v6, 0xffffff81, v6
	v_mov_b32_e32 v9, 0xffffff82
	v_cndmask_b32_e32 v6, v6, v9, vcc
	v_lshrrev_b32_e32 v9, 23, v20
	v_add3_u32 v9, v8, v6, v9
	v_add_u32_e32 v8, 6, v9
	v_and_b32_e32 v6, 0xfffff, v21
	v_add_u32_e32 v52, v6, v20
	v_cmp_ne_u32_e32 vcc, 0, v8
                                        ; implicit-def: $vgpr20_vgpr21
                                        ; implicit-def: $vgpr6
	s_and_saveexec_b64 s[22:23], vcc
	s_xor_b64 s[22:23], exec, s[22:23]
; %bb.3361:                             ;   in Loop: Header=BB6_3341 Depth=2
	v_cmp_lt_u64_e32 vcc, s[60:61], v[52:53]
	v_add_u32_e32 v6, 7, v9
	v_cndmask_b32_e32 v6, v8, v6, vcc
	v_cndmask_b32_e64 v8, 0, 1, vcc
	v_lshrrev_b64 v[20:21], v8, v[52:53]
; %bb.3362:                             ;   in Loop: Header=BB6_3341 Depth=2
	s_andn2_saveexec_b64 s[22:23], s[22:23]
; %bb.3363:                             ;   in Loop: Header=BB6_3341 Depth=2
	v_mov_b32_e32 v20, v52
	v_bfe_u32 v6, v52, 23, 1
	v_mov_b32_e32 v21, v53
; %bb.3364:                             ;   in Loop: Header=BB6_3341 Depth=2
	s_or_b64 exec, exec, s[22:23]
	v_lshrrev_b64 v[8:9], 20, v[20:21]
	v_cmp_gt_i32_e32 vcc, 16, v6
	v_cndmask_b32_e32 v9, 0, v9, vcc
	v_cndmask_b32_e32 v8, 7, v8, vcc
	v_cmp_eq_u32_e32 vcc, 0, v6
	v_min_i32_e32 v6, 15, v6
	v_cmp_eq_u64_e64 s[22:23], 0, v[8:9]
	v_lshlrev_b32_e32 v6, 3, v6
	v_and_b32_e32 v6, 0xf8, v6
	v_and_or_b32 v6, v8, 7, v6
	s_and_b64 s[22:23], vcc, s[22:23]
	v_cndmask_b32_e64 v6, v6, 0, s[22:23]
	v_or_b32_e32 v6, v6, v0
.LBB6_3365:                             ;   in Loop: Header=BB6_3341 Depth=2
	s_or_b64 exec, exec, s[94:95]
                                        ; implicit-def: $vgpr0
.LBB6_3366:                             ;   in Loop: Header=BB6_3341 Depth=2
	s_andn2_saveexec_b64 s[22:23], s[92:93]
; %bb.3367:                             ;   in Loop: Header=BB6_3341 Depth=2
	v_or_b32_e32 v6, 0x7e, v0
; %bb.3368:                             ;   in Loop: Header=BB6_3341 Depth=2
	s_or_b64 exec, exec, s[22:23]
                                        ; implicit-def: $vgpr8
.LBB6_3369:                             ;   in Loop: Header=BB6_3341 Depth=2
	s_andn2_saveexec_b64 s[22:23], s[90:91]
; %bb.3370:                             ;   in Loop: Header=BB6_3341 Depth=2
	v_or_b32_sdwa v6, v8, s51 dst_sel:DWORD dst_unused:UNUSED_PAD src0_sel:BYTE_3 src1_sel:DWORD
; %bb.3371:                             ;   in Loop: Header=BB6_3341 Depth=2
	s_or_b64 exec, exec, s[22:23]
	v_lshrrev_b16_e32 v20, 8, v10
	v_cmp_ne_u16_e32 vcc, 0, v20
	v_mov_b32_e32 v0, 0
	s_and_saveexec_b64 s[22:23], vcc
	s_cbranch_execz .LBB6_3377
; %bb.3372:                             ;   in Loop: Header=BB6_3341 Depth=2
	v_cmp_ne_u16_e32 vcc, s53, v20
	v_bfrev_b32_e32 v0, 1
	s_and_saveexec_b64 s[90:91], vcc
	s_cbranch_execz .LBB6_3376
; %bb.3373:                             ;   in Loop: Header=BB6_3341 Depth=2
	v_and_b32_e32 v8, 0x7f, v20
	v_cmp_ne_u32_e32 vcc, s51, v8
	v_mov_b32_e32 v0, 0x7f800001
	s_and_saveexec_b64 s[92:93], vcc
	s_cbranch_execz .LBB6_3375
; %bb.3374:                             ;   in Loop: Header=BB6_3341 Depth=2
	v_and_b32_e32 v0, 7, v20
	v_lshrrev_b32_e32 v21, 3, v8
	v_cmp_gt_u32_e32 vcc, 8, v8
	v_ffbh_u32_e32 v8, v0
	v_min_u32_e32 v22, 32, v8
	v_subrev_u32_e32 v8, 28, v22
	v_lshlrev_b64 v[8:9], v8, v[20:21]
	v_sub_u32_e32 v9, 29, v22
	v_and_b32_e32 v8, 7, v8
	v_cndmask_b32_e32 v9, v21, v9, vcc
	v_cndmask_b32_e32 v0, v0, v8, vcc
	v_lshlrev_b32_e32 v8, 16, v10
	v_bfrev_b32_e32 v20, 60
	v_lshlrev_b32_e32 v0, 20, v0
	v_and_b32_e32 v8, 0x80000000, v8
	v_lshl_add_u32 v9, v9, 23, v20
	v_or3_b32 v0, v8, v9, v0
.LBB6_3375:                             ;   in Loop: Header=BB6_3341 Depth=2
	s_or_b64 exec, exec, s[92:93]
.LBB6_3376:                             ;   in Loop: Header=BB6_3341 Depth=2
	s_or_b64 exec, exec, s[90:91]
.LBB6_3377:                             ;   in Loop: Header=BB6_3341 Depth=2
	s_or_b64 exec, exec, s[22:23]
	v_mul_f32_e32 v8, v7, v0
	v_and_b32_e32 v52, 0x7f800000, v8
	v_cmp_ne_u64_e32 vcc, s[56:57], v[52:53]
                                        ; implicit-def: $vgpr24
	s_and_saveexec_b64 s[22:23], vcc
	s_xor_b64 s[90:91], exec, s[22:23]
	s_cbranch_execz .LBB6_3391
; %bb.3378:                             ;   in Loop: Header=BB6_3341 Depth=2
	v_and_b32_e32 v52, 0x7fffffff, v8
	v_cmp_gt_u64_e32 vcc, s[58:59], v[52:53]
	v_and_b32_sdwa v0, v8, s53 dst_sel:DWORD dst_unused:UNUSED_PAD src0_sel:BYTE_3 src1_sel:DWORD
                                        ; implicit-def: $vgpr24
	s_and_saveexec_b64 s[22:23], vcc
	s_xor_b64 s[92:93], exec, s[22:23]
	s_cbranch_execz .LBB6_3388
; %bb.3379:                             ;   in Loop: Header=BB6_3341 Depth=2
	v_mov_b32_e32 v24, 0
	v_cmp_ne_u32_e32 vcc, 0, v8
	s_and_saveexec_b64 s[94:95], vcc
	s_cbranch_execz .LBB6_3387
; %bb.3380:                             ;   in Loop: Header=BB6_3341 Depth=2
	v_and_b32_e32 v20, 0x7fffff, v8
	v_bfe_u32 v8, v8, 23, 8
	v_cmp_gt_u32_e64 s[22:23], s54, v8
	v_sub_u32_e32 v9, 0x79, v8
	v_cmp_eq_u32_e32 vcc, 0, v8
	v_cndmask_b32_e64 v9, 0, v9, s[22:23]
	v_mov_b32_e32 v22, 0x78
	v_or_b32_e32 v21, 0x800000, v20
	v_cndmask_b32_e32 v9, v9, v22, vcc
	v_cndmask_b32_e32 v52, v21, v20, vcc
	v_add_u32_e32 v20, 20, v9
	v_lshlrev_b64 v[20:21], v20, -1
	v_add_u32_e32 v22, 19, v9
	v_lshlrev_b64 v[22:23], v22, 1
	v_bfi_b32 v21, v21, 0, 0
	v_bfi_b32 v20, v20, 0, v52
	v_cmp_eq_u64_e64 s[22:23], v[20:21], v[22:23]
	v_lshrrev_b64 v[20:21], v9, v[52:53]
	v_mov_b32_e32 v22, v21
	v_mov_b32_e32 v21, v20
	s_and_saveexec_b64 s[30:31], s[22:23]
; %bb.3381:                             ;   in Loop: Header=BB6_3341 Depth=2
	v_bfe_u32 v21, v20, 20, 1
	v_add_co_u32_e64 v21, s[22:23], v20, v21
	v_add_co_u32_e64 v21, s[22:23], -1, v21
; %bb.3382:                             ;   in Loop: Header=BB6_3341 Depth=2
	s_or_b64 exec, exec, s[30:31]
	v_add_u32_e32 v8, 0xffffff81, v8
	v_mov_b32_e32 v22, 0xffffff82
	v_cndmask_b32_e32 v8, v8, v22, vcc
	v_lshrrev_b32_e32 v22, 23, v20
	v_add3_u32 v22, v9, v8, v22
	v_add_u32_e32 v9, 6, v22
	v_and_b32_e32 v8, 0xfffff, v21
	v_add_u32_e32 v52, v8, v20
	v_cmp_ne_u32_e32 vcc, 0, v9
                                        ; implicit-def: $vgpr20_vgpr21
                                        ; implicit-def: $vgpr8
	s_and_saveexec_b64 s[22:23], vcc
	s_xor_b64 s[22:23], exec, s[22:23]
; %bb.3383:                             ;   in Loop: Header=BB6_3341 Depth=2
	v_cmp_lt_u64_e32 vcc, s[60:61], v[52:53]
	v_add_u32_e32 v8, 7, v22
	v_cndmask_b32_e32 v8, v9, v8, vcc
	v_cndmask_b32_e64 v9, 0, 1, vcc
	v_lshrrev_b64 v[20:21], v9, v[52:53]
; %bb.3384:                             ;   in Loop: Header=BB6_3341 Depth=2
	s_andn2_saveexec_b64 s[22:23], s[22:23]
; %bb.3385:                             ;   in Loop: Header=BB6_3341 Depth=2
	v_mov_b32_e32 v20, v52
	v_bfe_u32 v8, v52, 23, 1
	v_mov_b32_e32 v21, v53
; %bb.3386:                             ;   in Loop: Header=BB6_3341 Depth=2
	s_or_b64 exec, exec, s[22:23]
	v_lshrrev_b64 v[20:21], 20, v[20:21]
	v_cmp_gt_i32_e32 vcc, 16, v8
	v_cndmask_b32_e32 v21, 0, v21, vcc
	v_cndmask_b32_e32 v20, 7, v20, vcc
	v_cmp_eq_u32_e32 vcc, 0, v8
	v_min_i32_e32 v8, 15, v8
	v_cmp_eq_u64_e64 s[22:23], 0, v[20:21]
	v_lshlrev_b32_e32 v8, 3, v8
	v_and_b32_e32 v8, 0xf8, v8
	v_and_or_b32 v8, v20, 7, v8
	s_and_b64 s[22:23], vcc, s[22:23]
	v_cndmask_b32_e64 v8, v8, 0, s[22:23]
	v_or_b32_e32 v24, v8, v0
.LBB6_3387:                             ;   in Loop: Header=BB6_3341 Depth=2
	s_or_b64 exec, exec, s[94:95]
                                        ; implicit-def: $vgpr0
.LBB6_3388:                             ;   in Loop: Header=BB6_3341 Depth=2
	s_andn2_saveexec_b64 s[22:23], s[92:93]
; %bb.3389:                             ;   in Loop: Header=BB6_3341 Depth=2
	v_or_b32_e32 v24, 0x7e, v0
; %bb.3390:                             ;   in Loop: Header=BB6_3341 Depth=2
	s_or_b64 exec, exec, s[22:23]
                                        ; implicit-def: $vgpr8
.LBB6_3391:                             ;   in Loop: Header=BB6_3341 Depth=2
	s_andn2_saveexec_b64 s[22:23], s[90:91]
; %bb.3392:                             ;   in Loop: Header=BB6_3341 Depth=2
	v_or_b32_sdwa v24, v8, s51 dst_sel:DWORD dst_unused:UNUSED_PAD src0_sel:BYTE_3 src1_sel:DWORD
; %bb.3393:                             ;   in Loop: Header=BB6_3341 Depth=2
	s_or_b64 exec, exec, s[22:23]
	v_lshrrev_b32_e32 v20, 16, v10
	v_cmp_ne_u16_sdwa s[90:91], v20, v53 src0_sel:BYTE_0 src1_sel:DWORD
	v_mov_b32_e32 v0, 0
	s_and_saveexec_b64 s[22:23], s[90:91]
	s_cbranch_execz .LBB6_3399
; %bb.3394:                             ;   in Loop: Header=BB6_3341 Depth=2
	v_cmp_ne_u16_sdwa s[92:93], v20, s53 src0_sel:BYTE_0 src1_sel:DWORD
	v_bfrev_b32_e32 v0, 1
	s_and_saveexec_b64 s[90:91], s[92:93]
	s_cbranch_execz .LBB6_3398
; %bb.3395:                             ;   in Loop: Header=BB6_3341 Depth=2
	v_bfe_u32 v8, v10, 16, 7
	v_cmp_ne_u32_e32 vcc, s51, v8
	v_mov_b32_e32 v0, 0x7f800001
	s_and_saveexec_b64 s[92:93], vcc
	s_cbranch_execz .LBB6_3397
; %bb.3396:                             ;   in Loop: Header=BB6_3341 Depth=2
	v_and_b32_e32 v0, 7, v20
	v_lshrrev_b32_e32 v21, 3, v8
	v_cmp_gt_u32_e32 vcc, 8, v8
	v_ffbh_u32_e32 v8, v0
	v_min_u32_e32 v22, 32, v8
	v_subrev_u32_e32 v8, 28, v22
	v_lshlrev_b64 v[8:9], v8, v[20:21]
	v_sub_u32_e32 v9, 29, v22
	v_and_b32_e32 v8, 7, v8
	v_cndmask_b32_e32 v9, v21, v9, vcc
	v_cndmask_b32_e32 v0, v0, v8, vcc
	v_lshlrev_b32_e32 v8, 24, v20
	v_bfrev_b32_e32 v20, 60
	v_lshlrev_b32_e32 v0, 20, v0
	v_and_b32_e32 v8, 0x80000000, v8
	v_lshl_add_u32 v9, v9, 23, v20
	v_or3_b32 v0, v8, v9, v0
.LBB6_3397:                             ;   in Loop: Header=BB6_3341 Depth=2
	s_or_b64 exec, exec, s[92:93]
.LBB6_3398:                             ;   in Loop: Header=BB6_3341 Depth=2
	s_or_b64 exec, exec, s[90:91]
.LBB6_3399:                             ;   in Loop: Header=BB6_3341 Depth=2
	s_or_b64 exec, exec, s[22:23]
	v_mul_f32_e32 v8, v7, v0
	v_and_b32_e32 v52, 0x7f800000, v8
	v_cmp_ne_u64_e32 vcc, s[56:57], v[52:53]
                                        ; implicit-def: $vgpr29
	s_and_saveexec_b64 s[22:23], vcc
	s_xor_b64 s[90:91], exec, s[22:23]
	s_cbranch_execz .LBB6_3413
; %bb.3400:                             ;   in Loop: Header=BB6_3341 Depth=2
	v_and_b32_e32 v52, 0x7fffffff, v8
	v_cmp_gt_u64_e32 vcc, s[58:59], v[52:53]
	v_and_b32_sdwa v0, v8, s53 dst_sel:DWORD dst_unused:UNUSED_PAD src0_sel:BYTE_3 src1_sel:DWORD
                                        ; implicit-def: $vgpr29
	s_and_saveexec_b64 s[22:23], vcc
	s_xor_b64 s[92:93], exec, s[22:23]
	s_cbranch_execz .LBB6_3410
; %bb.3401:                             ;   in Loop: Header=BB6_3341 Depth=2
	v_mov_b32_e32 v29, 0
	v_cmp_ne_u32_e32 vcc, 0, v8
	s_and_saveexec_b64 s[94:95], vcc
	s_cbranch_execz .LBB6_3409
; %bb.3402:                             ;   in Loop: Header=BB6_3341 Depth=2
	v_and_b32_e32 v20, 0x7fffff, v8
	v_bfe_u32 v8, v8, 23, 8
	v_cmp_gt_u32_e64 s[22:23], s54, v8
	v_sub_u32_e32 v9, 0x79, v8
	v_cmp_eq_u32_e32 vcc, 0, v8
	v_cndmask_b32_e64 v9, 0, v9, s[22:23]
	v_mov_b32_e32 v22, 0x78
	v_or_b32_e32 v21, 0x800000, v20
	v_cndmask_b32_e32 v9, v9, v22, vcc
	v_cndmask_b32_e32 v52, v21, v20, vcc
	v_add_u32_e32 v20, 20, v9
	v_lshlrev_b64 v[20:21], v20, -1
	v_add_u32_e32 v22, 19, v9
	v_lshlrev_b64 v[22:23], v22, 1
	v_bfi_b32 v21, v21, 0, 0
	v_bfi_b32 v20, v20, 0, v52
	v_cmp_eq_u64_e64 s[22:23], v[20:21], v[22:23]
	v_lshrrev_b64 v[20:21], v9, v[52:53]
	v_mov_b32_e32 v22, v21
	v_mov_b32_e32 v21, v20
	s_and_saveexec_b64 s[30:31], s[22:23]
; %bb.3403:                             ;   in Loop: Header=BB6_3341 Depth=2
	v_bfe_u32 v21, v20, 20, 1
	v_add_co_u32_e64 v21, s[22:23], v20, v21
	v_add_co_u32_e64 v21, s[22:23], -1, v21
; %bb.3404:                             ;   in Loop: Header=BB6_3341 Depth=2
	s_or_b64 exec, exec, s[30:31]
	v_add_u32_e32 v8, 0xffffff81, v8
	v_mov_b32_e32 v22, 0xffffff82
	v_cndmask_b32_e32 v8, v8, v22, vcc
	v_lshrrev_b32_e32 v22, 23, v20
	v_add3_u32 v22, v9, v8, v22
	v_add_u32_e32 v9, 6, v22
	v_and_b32_e32 v8, 0xfffff, v21
	v_add_u32_e32 v52, v8, v20
	v_cmp_ne_u32_e32 vcc, 0, v9
                                        ; implicit-def: $vgpr20_vgpr21
                                        ; implicit-def: $vgpr8
	s_and_saveexec_b64 s[22:23], vcc
	s_xor_b64 s[22:23], exec, s[22:23]
; %bb.3405:                             ;   in Loop: Header=BB6_3341 Depth=2
	v_cmp_lt_u64_e32 vcc, s[60:61], v[52:53]
	v_add_u32_e32 v8, 7, v22
	v_cndmask_b32_e32 v8, v9, v8, vcc
	v_cndmask_b32_e64 v9, 0, 1, vcc
	v_lshrrev_b64 v[20:21], v9, v[52:53]
; %bb.3406:                             ;   in Loop: Header=BB6_3341 Depth=2
	s_andn2_saveexec_b64 s[22:23], s[22:23]
; %bb.3407:                             ;   in Loop: Header=BB6_3341 Depth=2
	v_mov_b32_e32 v20, v52
	v_bfe_u32 v8, v52, 23, 1
	v_mov_b32_e32 v21, v53
; %bb.3408:                             ;   in Loop: Header=BB6_3341 Depth=2
	s_or_b64 exec, exec, s[22:23]
	v_lshrrev_b64 v[20:21], 20, v[20:21]
	v_cmp_gt_i32_e32 vcc, 16, v8
	v_cndmask_b32_e32 v21, 0, v21, vcc
	v_cndmask_b32_e32 v20, 7, v20, vcc
	v_cmp_eq_u32_e32 vcc, 0, v8
	v_min_i32_e32 v8, 15, v8
	v_cmp_eq_u64_e64 s[22:23], 0, v[20:21]
	v_lshlrev_b32_e32 v8, 3, v8
	v_and_b32_e32 v8, 0xf8, v8
	v_and_or_b32 v8, v20, 7, v8
	s_and_b64 s[22:23], vcc, s[22:23]
	v_cndmask_b32_e64 v8, v8, 0, s[22:23]
	v_or_b32_e32 v29, v8, v0
.LBB6_3409:                             ;   in Loop: Header=BB6_3341 Depth=2
	s_or_b64 exec, exec, s[94:95]
                                        ; implicit-def: $vgpr0
.LBB6_3410:                             ;   in Loop: Header=BB6_3341 Depth=2
	s_andn2_saveexec_b64 s[22:23], s[92:93]
; %bb.3411:                             ;   in Loop: Header=BB6_3341 Depth=2
	v_or_b32_e32 v29, 0x7e, v0
; %bb.3412:                             ;   in Loop: Header=BB6_3341 Depth=2
	s_or_b64 exec, exec, s[22:23]
                                        ; implicit-def: $vgpr8
.LBB6_3413:                             ;   in Loop: Header=BB6_3341 Depth=2
	s_andn2_saveexec_b64 s[22:23], s[90:91]
; %bb.3414:                             ;   in Loop: Header=BB6_3341 Depth=2
	v_or_b32_sdwa v29, v8, s51 dst_sel:DWORD dst_unused:UNUSED_PAD src0_sel:BYTE_3 src1_sel:DWORD
; %bb.3415:                             ;   in Loop: Header=BB6_3341 Depth=2
	s_or_b64 exec, exec, s[22:23]
	v_cmp_lt_u32_e32 vcc, s63, v10
	v_mov_b32_e32 v0, 0
	s_and_saveexec_b64 s[22:23], vcc
	s_cbranch_execz .LBB6_3421
; %bb.3416:                             ;   in Loop: Header=BB6_3341 Depth=2
	v_lshrrev_b32_e32 v20, 24, v10
	v_cmp_ne_u32_e32 vcc, s53, v20
	v_bfrev_b32_e32 v0, 1
	s_and_saveexec_b64 s[90:91], vcc
	s_cbranch_execz .LBB6_3420
; %bb.3417:                             ;   in Loop: Header=BB6_3341 Depth=2
	v_bfe_u32 v8, v10, 24, 7
	v_cmp_ne_u32_e32 vcc, s51, v8
	v_mov_b32_e32 v0, 0x7f800001
	s_and_saveexec_b64 s[92:93], vcc
	s_cbranch_execz .LBB6_3419
; %bb.3418:                             ;   in Loop: Header=BB6_3341 Depth=2
	v_and_b32_e32 v0, 7, v20
	v_lshrrev_b32_e32 v21, 3, v8
	v_cmp_gt_u32_e32 vcc, 8, v8
	v_ffbh_u32_e32 v8, v0
	v_min_u32_e32 v22, 32, v8
	v_subrev_u32_e32 v8, 28, v22
	v_lshlrev_b64 v[8:9], v8, v[20:21]
	v_sub_u32_e32 v9, 29, v22
	v_and_b32_e32 v8, 7, v8
	v_cndmask_b32_e32 v9, v21, v9, vcc
	v_cndmask_b32_e32 v0, v0, v8, vcc
	v_lshlrev_b32_e32 v8, 24, v20
	v_bfrev_b32_e32 v20, 60
	v_lshlrev_b32_e32 v0, 20, v0
	v_and_b32_e32 v8, 0x80000000, v8
	v_lshl_add_u32 v9, v9, 23, v20
	v_or3_b32 v0, v8, v9, v0
.LBB6_3419:                             ;   in Loop: Header=BB6_3341 Depth=2
	s_or_b64 exec, exec, s[92:93]
.LBB6_3420:                             ;   in Loop: Header=BB6_3341 Depth=2
	s_or_b64 exec, exec, s[90:91]
.LBB6_3421:                             ;   in Loop: Header=BB6_3341 Depth=2
	s_or_b64 exec, exec, s[22:23]
	v_mul_f32_e32 v8, v7, v0
	v_and_b32_e32 v52, 0x7f800000, v8
	v_cmp_ne_u64_e32 vcc, s[56:57], v[52:53]
                                        ; implicit-def: $vgpr35
	s_and_saveexec_b64 s[22:23], vcc
	s_xor_b64 s[90:91], exec, s[22:23]
	s_cbranch_execz .LBB6_3435
; %bb.3422:                             ;   in Loop: Header=BB6_3341 Depth=2
	v_and_b32_e32 v52, 0x7fffffff, v8
	v_cmp_gt_u64_e32 vcc, s[58:59], v[52:53]
	v_and_b32_sdwa v0, v8, s53 dst_sel:DWORD dst_unused:UNUSED_PAD src0_sel:BYTE_3 src1_sel:DWORD
                                        ; implicit-def: $vgpr35
	s_and_saveexec_b64 s[22:23], vcc
	s_xor_b64 s[92:93], exec, s[22:23]
	s_cbranch_execz .LBB6_3432
; %bb.3423:                             ;   in Loop: Header=BB6_3341 Depth=2
	v_mov_b32_e32 v35, 0
	v_cmp_ne_u32_e32 vcc, 0, v8
	s_and_saveexec_b64 s[94:95], vcc
	s_cbranch_execz .LBB6_3431
; %bb.3424:                             ;   in Loop: Header=BB6_3341 Depth=2
	v_and_b32_e32 v20, 0x7fffff, v8
	v_bfe_u32 v8, v8, 23, 8
	v_cmp_gt_u32_e64 s[22:23], s54, v8
	v_sub_u32_e32 v9, 0x79, v8
	v_cmp_eq_u32_e32 vcc, 0, v8
	v_cndmask_b32_e64 v9, 0, v9, s[22:23]
	v_mov_b32_e32 v22, 0x78
	v_or_b32_e32 v21, 0x800000, v20
	v_cndmask_b32_e32 v9, v9, v22, vcc
	v_cndmask_b32_e32 v52, v21, v20, vcc
	v_add_u32_e32 v20, 20, v9
	v_lshlrev_b64 v[20:21], v20, -1
	v_add_u32_e32 v22, 19, v9
	v_lshlrev_b64 v[22:23], v22, 1
	v_bfi_b32 v21, v21, 0, 0
	v_bfi_b32 v20, v20, 0, v52
	v_cmp_eq_u64_e64 s[22:23], v[20:21], v[22:23]
	v_lshrrev_b64 v[20:21], v9, v[52:53]
	v_mov_b32_e32 v22, v21
	v_mov_b32_e32 v21, v20
	s_and_saveexec_b64 s[30:31], s[22:23]
; %bb.3425:                             ;   in Loop: Header=BB6_3341 Depth=2
	v_bfe_u32 v21, v20, 20, 1
	v_add_co_u32_e64 v21, s[22:23], v20, v21
	v_add_co_u32_e64 v21, s[22:23], -1, v21
; %bb.3426:                             ;   in Loop: Header=BB6_3341 Depth=2
	s_or_b64 exec, exec, s[30:31]
	v_add_u32_e32 v8, 0xffffff81, v8
	v_mov_b32_e32 v22, 0xffffff82
	v_cndmask_b32_e32 v8, v8, v22, vcc
	v_lshrrev_b32_e32 v22, 23, v20
	v_add3_u32 v22, v9, v8, v22
	v_add_u32_e32 v9, 6, v22
	v_and_b32_e32 v8, 0xfffff, v21
	v_add_u32_e32 v52, v8, v20
	v_cmp_ne_u32_e32 vcc, 0, v9
                                        ; implicit-def: $vgpr20_vgpr21
                                        ; implicit-def: $vgpr8
	s_and_saveexec_b64 s[22:23], vcc
	s_xor_b64 s[22:23], exec, s[22:23]
; %bb.3427:                             ;   in Loop: Header=BB6_3341 Depth=2
	v_cmp_lt_u64_e32 vcc, s[60:61], v[52:53]
	v_add_u32_e32 v8, 7, v22
	v_cndmask_b32_e32 v8, v9, v8, vcc
	v_cndmask_b32_e64 v9, 0, 1, vcc
	v_lshrrev_b64 v[20:21], v9, v[52:53]
; %bb.3428:                             ;   in Loop: Header=BB6_3341 Depth=2
	s_andn2_saveexec_b64 s[22:23], s[22:23]
; %bb.3429:                             ;   in Loop: Header=BB6_3341 Depth=2
	v_mov_b32_e32 v20, v52
	v_bfe_u32 v8, v52, 23, 1
	v_mov_b32_e32 v21, v53
; %bb.3430:                             ;   in Loop: Header=BB6_3341 Depth=2
	s_or_b64 exec, exec, s[22:23]
	v_lshrrev_b64 v[20:21], 20, v[20:21]
	v_cmp_gt_i32_e32 vcc, 16, v8
	v_cndmask_b32_e32 v21, 0, v21, vcc
	v_cndmask_b32_e32 v20, 7, v20, vcc
	v_cmp_eq_u32_e32 vcc, 0, v8
	v_min_i32_e32 v8, 15, v8
	v_cmp_eq_u64_e64 s[22:23], 0, v[20:21]
	v_lshlrev_b32_e32 v8, 3, v8
	v_and_b32_e32 v8, 0xf8, v8
	v_and_or_b32 v8, v20, 7, v8
	s_and_b64 s[22:23], vcc, s[22:23]
	v_cndmask_b32_e64 v8, v8, 0, s[22:23]
	v_or_b32_e32 v35, v8, v0
.LBB6_3431:                             ;   in Loop: Header=BB6_3341 Depth=2
	s_or_b64 exec, exec, s[94:95]
                                        ; implicit-def: $vgpr0
.LBB6_3432:                             ;   in Loop: Header=BB6_3341 Depth=2
	s_andn2_saveexec_b64 s[22:23], s[92:93]
; %bb.3433:                             ;   in Loop: Header=BB6_3341 Depth=2
	v_or_b32_e32 v35, 0x7e, v0
; %bb.3434:                             ;   in Loop: Header=BB6_3341 Depth=2
	s_or_b64 exec, exec, s[22:23]
                                        ; implicit-def: $vgpr8
.LBB6_3435:                             ;   in Loop: Header=BB6_3341 Depth=2
	s_andn2_saveexec_b64 s[22:23], s[90:91]
; %bb.3436:                             ;   in Loop: Header=BB6_3341 Depth=2
	v_or_b32_sdwa v35, v8, s51 dst_sel:DWORD dst_unused:UNUSED_PAD src0_sel:BYTE_3 src1_sel:DWORD
; %bb.3437:                             ;   in Loop: Header=BB6_3341 Depth=2
	s_or_b64 exec, exec, s[22:23]
	v_mov_b32_e32 v52, v11
	v_cmp_ne_u16_sdwa s[90:91], v11, v53 src0_sel:BYTE_0 src1_sel:DWORD
	v_mov_b32_e32 v0, 0
	s_and_saveexec_b64 s[22:23], s[90:91]
	s_cbranch_execz .LBB6_3443
; %bb.3438:                             ;   in Loop: Header=BB6_3341 Depth=2
	v_cmp_ne_u16_sdwa s[92:93], v11, s53 src0_sel:BYTE_0 src1_sel:DWORD
	v_bfrev_b32_e32 v0, 1
	s_and_saveexec_b64 s[90:91], s[92:93]
	s_cbranch_execz .LBB6_3442
; %bb.3439:                             ;   in Loop: Header=BB6_3341 Depth=2
	v_and_b32_e32 v8, 0x7f, v11
	v_cmp_ne_u32_e32 vcc, s51, v8
	v_mov_b32_e32 v0, 0x7f800001
	s_and_saveexec_b64 s[92:93], vcc
	s_cbranch_execz .LBB6_3441
; %bb.3440:                             ;   in Loop: Header=BB6_3341 Depth=2
	v_and_b32_e32 v0, 7, v11
	v_ffbh_u32_e32 v0, v0
	v_min_u32_e32 v0, 32, v0
	v_lshrrev_b32_e32 v9, 3, v8
	v_cmp_gt_u32_e32 vcc, 8, v8
	v_subrev_u32_e32 v8, 28, v0
	v_sub_u32_e32 v0, 29, v0
	v_cndmask_b32_e32 v8, 0, v8, vcc
	v_cndmask_b32_e32 v0, v9, v0, vcc
	v_lshlrev_b64 v[8:9], v8, v[52:53]
	v_lshlrev_b32_e32 v9, 24, v52
	v_lshlrev_b32_e32 v8, 20, v8
	v_bfrev_b32_e32 v20, 60
	v_and_b32_e32 v8, 0x700000, v8
	v_and_b32_e32 v9, 0x80000000, v9
	v_lshl_add_u32 v0, v0, 23, v20
	v_or3_b32 v0, v9, v0, v8
.LBB6_3441:                             ;   in Loop: Header=BB6_3341 Depth=2
	s_or_b64 exec, exec, s[92:93]
.LBB6_3442:                             ;   in Loop: Header=BB6_3341 Depth=2
	s_or_b64 exec, exec, s[90:91]
.LBB6_3443:                             ;   in Loop: Header=BB6_3341 Depth=2
	s_or_b64 exec, exec, s[22:23]
	v_mul_f32_e32 v8, v7, v0
	v_and_b32_e32 v20, 0x7f800000, v8
	v_mov_b32_e32 v21, v53
	v_cmp_ne_u64_e32 vcc, s[56:57], v[20:21]
                                        ; implicit-def: $vgpr23
	s_and_saveexec_b64 s[22:23], vcc
	s_xor_b64 s[90:91], exec, s[22:23]
	s_cbranch_execz .LBB6_3457
; %bb.3444:                             ;   in Loop: Header=BB6_3341 Depth=2
	v_and_b32_e32 v20, 0x7fffffff, v8
	v_mov_b32_e32 v21, v53
	v_cmp_gt_u64_e32 vcc, s[58:59], v[20:21]
	v_and_b32_sdwa v0, v8, s53 dst_sel:DWORD dst_unused:UNUSED_PAD src0_sel:BYTE_3 src1_sel:DWORD
                                        ; implicit-def: $vgpr23
	s_and_saveexec_b64 s[22:23], vcc
	s_xor_b64 s[92:93], exec, s[22:23]
	s_cbranch_execz .LBB6_3454
; %bb.3445:                             ;   in Loop: Header=BB6_3341 Depth=2
	v_mov_b32_e32 v23, 0
	v_cmp_ne_u32_e32 vcc, 0, v8
	s_and_saveexec_b64 s[94:95], vcc
	s_cbranch_execz .LBB6_3453
; %bb.3446:                             ;   in Loop: Header=BB6_3341 Depth=2
	v_and_b32_e32 v20, 0x7fffff, v8
	v_bfe_u32 v8, v8, 23, 8
	v_cmp_gt_u32_e64 s[22:23], s54, v8
	v_sub_u32_e32 v9, 0x79, v8
	v_cmp_eq_u32_e32 vcc, 0, v8
	v_cndmask_b32_e64 v9, 0, v9, s[22:23]
	v_mov_b32_e32 v22, 0x78
	v_cndmask_b32_e32 v9, v9, v22, vcc
	v_add_u32_e32 v22, 20, v9
	v_or_b32_e32 v21, 0x800000, v20
	v_lshlrev_b64 v[22:23], v22, -1
	v_cndmask_b32_e32 v20, v21, v20, vcc
	v_mov_b32_e32 v21, v53
	v_add_u32_e32 v25, 19, v9
	v_bfi_b32 v22, v22, 0, v20
	v_lshlrev_b64 v[27:28], v25, 1
	v_lshrrev_b64 v[20:21], v9, v[20:21]
	v_bfi_b32 v23, v23, 0, 0
	v_cmp_eq_u64_e64 s[22:23], v[22:23], v[27:28]
	v_mov_b32_e32 v22, v21
	v_mov_b32_e32 v21, v20
	s_and_saveexec_b64 s[30:31], s[22:23]
; %bb.3447:                             ;   in Loop: Header=BB6_3341 Depth=2
	v_bfe_u32 v21, v20, 20, 1
	v_add_co_u32_e64 v21, s[22:23], v20, v21
	v_add_co_u32_e64 v21, s[22:23], -1, v21
; %bb.3448:                             ;   in Loop: Header=BB6_3341 Depth=2
	s_or_b64 exec, exec, s[30:31]
	v_add_u32_e32 v8, 0xffffff81, v8
	v_mov_b32_e32 v22, 0xffffff82
	v_cndmask_b32_e32 v8, v8, v22, vcc
	v_lshrrev_b32_e32 v22, 23, v20
	v_add3_u32 v22, v9, v8, v22
	v_add_u32_e32 v9, 6, v22
	v_and_b32_e32 v8, 0xfffff, v21
	v_add_u32_e32 v20, v8, v20
	v_mov_b32_e32 v21, v53
	v_cmp_ne_u32_e32 vcc, 0, v9
                                        ; implicit-def: $vgpr8
	s_and_saveexec_b64 s[22:23], vcc
	s_xor_b64 s[22:23], exec, s[22:23]
; %bb.3449:                             ;   in Loop: Header=BB6_3341 Depth=2
	v_cmp_lt_u64_e32 vcc, s[60:61], v[20:21]
	v_add_u32_e32 v8, 7, v22
	v_cndmask_b32_e32 v8, v9, v8, vcc
	v_cndmask_b32_e64 v9, 0, 1, vcc
	v_lshrrev_b64 v[20:21], v9, v[20:21]
; %bb.3450:                             ;   in Loop: Header=BB6_3341 Depth=2
	s_andn2_saveexec_b64 s[22:23], s[22:23]
; %bb.3451:                             ;   in Loop: Header=BB6_3341 Depth=2
	v_bfe_u32 v8, v20, 23, 1
; %bb.3452:                             ;   in Loop: Header=BB6_3341 Depth=2
	s_or_b64 exec, exec, s[22:23]
	v_lshrrev_b64 v[20:21], 20, v[20:21]
	v_cmp_gt_i32_e32 vcc, 16, v8
	v_cndmask_b32_e32 v21, 0, v21, vcc
	v_cndmask_b32_e32 v20, 7, v20, vcc
	v_cmp_eq_u32_e32 vcc, 0, v8
	v_min_i32_e32 v8, 15, v8
	v_cmp_eq_u64_e64 s[22:23], 0, v[20:21]
	v_lshlrev_b32_e32 v8, 3, v8
	v_and_b32_e32 v8, 0xf8, v8
	v_and_or_b32 v8, v20, 7, v8
	s_and_b64 s[22:23], vcc, s[22:23]
	v_cndmask_b32_e64 v8, v8, 0, s[22:23]
	v_or_b32_e32 v23, v8, v0
.LBB6_3453:                             ;   in Loop: Header=BB6_3341 Depth=2
	s_or_b64 exec, exec, s[94:95]
                                        ; implicit-def: $vgpr0
.LBB6_3454:                             ;   in Loop: Header=BB6_3341 Depth=2
	s_andn2_saveexec_b64 s[22:23], s[92:93]
; %bb.3455:                             ;   in Loop: Header=BB6_3341 Depth=2
	v_or_b32_e32 v23, 0x7e, v0
; %bb.3456:                             ;   in Loop: Header=BB6_3341 Depth=2
	s_or_b64 exec, exec, s[22:23]
                                        ; implicit-def: $vgpr8
.LBB6_3457:                             ;   in Loop: Header=BB6_3341 Depth=2
	s_andn2_saveexec_b64 s[22:23], s[90:91]
; %bb.3458:                             ;   in Loop: Header=BB6_3341 Depth=2
	v_or_b32_sdwa v23, v8, s51 dst_sel:DWORD dst_unused:UNUSED_PAD src0_sel:BYTE_3 src1_sel:DWORD
; %bb.3459:                             ;   in Loop: Header=BB6_3341 Depth=2
	s_or_b64 exec, exec, s[22:23]
	v_lshrrev_b16_e32 v20, 8, v52
	v_cmp_ne_u16_e32 vcc, 0, v20
	v_mov_b32_e32 v0, 0
	s_and_saveexec_b64 s[22:23], vcc
	s_cbranch_execz .LBB6_3465
; %bb.3460:                             ;   in Loop: Header=BB6_3341 Depth=2
	v_cmp_ne_u16_e32 vcc, s53, v20
	v_bfrev_b32_e32 v0, 1
	s_and_saveexec_b64 s[90:91], vcc
	s_cbranch_execz .LBB6_3464
; %bb.3461:                             ;   in Loop: Header=BB6_3341 Depth=2
	v_and_b32_e32 v8, 0x7f, v20
	v_cmp_ne_u32_e32 vcc, s51, v8
	v_mov_b32_e32 v0, 0x7f800001
	s_and_saveexec_b64 s[92:93], vcc
	s_cbranch_execz .LBB6_3463
; %bb.3462:                             ;   in Loop: Header=BB6_3341 Depth=2
	v_and_b32_e32 v0, 7, v20
	v_lshrrev_b32_e32 v21, 3, v8
	v_cmp_gt_u32_e32 vcc, 8, v8
	v_ffbh_u32_e32 v8, v0
	v_min_u32_e32 v22, 32, v8
	v_subrev_u32_e32 v8, 28, v22
	v_lshlrev_b64 v[8:9], v8, v[20:21]
	v_sub_u32_e32 v9, 29, v22
	v_and_b32_e32 v8, 7, v8
	v_cndmask_b32_e32 v9, v21, v9, vcc
	v_cndmask_b32_e32 v0, v0, v8, vcc
	v_lshlrev_b32_e32 v8, 16, v52
	v_bfrev_b32_e32 v20, 60
	v_lshlrev_b32_e32 v0, 20, v0
	v_and_b32_e32 v8, 0x80000000, v8
	v_lshl_add_u32 v9, v9, 23, v20
	v_or3_b32 v0, v8, v9, v0
.LBB6_3463:                             ;   in Loop: Header=BB6_3341 Depth=2
	s_or_b64 exec, exec, s[92:93]
.LBB6_3464:                             ;   in Loop: Header=BB6_3341 Depth=2
	s_or_b64 exec, exec, s[90:91]
.LBB6_3465:                             ;   in Loop: Header=BB6_3341 Depth=2
	s_or_b64 exec, exec, s[22:23]
	v_mul_f32_e32 v8, v7, v0
	v_and_b32_e32 v52, 0x7f800000, v8
	v_cmp_ne_u64_e32 vcc, s[56:57], v[52:53]
                                        ; implicit-def: $vgpr31
	s_and_saveexec_b64 s[22:23], vcc
	s_xor_b64 s[90:91], exec, s[22:23]
	s_cbranch_execz .LBB6_3479
; %bb.3466:                             ;   in Loop: Header=BB6_3341 Depth=2
	v_and_b32_e32 v52, 0x7fffffff, v8
	v_cmp_gt_u64_e32 vcc, s[58:59], v[52:53]
	v_and_b32_sdwa v0, v8, s53 dst_sel:DWORD dst_unused:UNUSED_PAD src0_sel:BYTE_3 src1_sel:DWORD
                                        ; implicit-def: $vgpr31
	s_and_saveexec_b64 s[22:23], vcc
	s_xor_b64 s[92:93], exec, s[22:23]
	s_cbranch_execz .LBB6_3476
; %bb.3467:                             ;   in Loop: Header=BB6_3341 Depth=2
	v_mov_b32_e32 v31, 0
	v_cmp_ne_u32_e32 vcc, 0, v8
	s_and_saveexec_b64 s[94:95], vcc
	s_cbranch_execz .LBB6_3475
; %bb.3468:                             ;   in Loop: Header=BB6_3341 Depth=2
	v_and_b32_e32 v20, 0x7fffff, v8
	v_bfe_u32 v8, v8, 23, 8
	v_cmp_gt_u32_e64 s[22:23], s54, v8
	v_sub_u32_e32 v9, 0x79, v8
	v_cmp_eq_u32_e32 vcc, 0, v8
	v_cndmask_b32_e64 v9, 0, v9, s[22:23]
	v_mov_b32_e32 v22, 0x78
	v_or_b32_e32 v21, 0x800000, v20
	v_cndmask_b32_e32 v9, v9, v22, vcc
	v_cndmask_b32_e32 v52, v21, v20, vcc
	v_add_u32_e32 v20, 20, v9
	v_lshlrev_b64 v[20:21], v20, -1
	v_add_u32_e32 v22, 19, v9
	v_lshlrev_b64 v[27:28], v22, 1
	v_bfi_b32 v21, v21, 0, 0
	v_bfi_b32 v20, v20, 0, v52
	v_cmp_eq_u64_e64 s[22:23], v[20:21], v[27:28]
	v_lshrrev_b64 v[20:21], v9, v[52:53]
	v_mov_b32_e32 v22, v21
	v_mov_b32_e32 v21, v20
	s_and_saveexec_b64 s[30:31], s[22:23]
; %bb.3469:                             ;   in Loop: Header=BB6_3341 Depth=2
	v_bfe_u32 v21, v20, 20, 1
	v_add_co_u32_e64 v21, s[22:23], v20, v21
	v_add_co_u32_e64 v21, s[22:23], -1, v21
; %bb.3470:                             ;   in Loop: Header=BB6_3341 Depth=2
	s_or_b64 exec, exec, s[30:31]
	v_add_u32_e32 v8, 0xffffff81, v8
	v_mov_b32_e32 v22, 0xffffff82
	v_cndmask_b32_e32 v8, v8, v22, vcc
	v_lshrrev_b32_e32 v22, 23, v20
	v_add3_u32 v22, v9, v8, v22
	v_add_u32_e32 v9, 6, v22
	v_and_b32_e32 v8, 0xfffff, v21
	v_add_u32_e32 v52, v8, v20
	v_cmp_ne_u32_e32 vcc, 0, v9
                                        ; implicit-def: $vgpr20_vgpr21
                                        ; implicit-def: $vgpr8
	s_and_saveexec_b64 s[22:23], vcc
	s_xor_b64 s[22:23], exec, s[22:23]
; %bb.3471:                             ;   in Loop: Header=BB6_3341 Depth=2
	v_cmp_lt_u64_e32 vcc, s[60:61], v[52:53]
	v_add_u32_e32 v8, 7, v22
	v_cndmask_b32_e32 v8, v9, v8, vcc
	v_cndmask_b32_e64 v9, 0, 1, vcc
	v_lshrrev_b64 v[20:21], v9, v[52:53]
; %bb.3472:                             ;   in Loop: Header=BB6_3341 Depth=2
	s_andn2_saveexec_b64 s[22:23], s[22:23]
; %bb.3473:                             ;   in Loop: Header=BB6_3341 Depth=2
	v_mov_b32_e32 v20, v52
	v_bfe_u32 v8, v52, 23, 1
	v_mov_b32_e32 v21, v53
; %bb.3474:                             ;   in Loop: Header=BB6_3341 Depth=2
	s_or_b64 exec, exec, s[22:23]
	v_lshrrev_b64 v[20:21], 20, v[20:21]
	v_cmp_gt_i32_e32 vcc, 16, v8
	v_cndmask_b32_e32 v21, 0, v21, vcc
	v_cndmask_b32_e32 v20, 7, v20, vcc
	v_cmp_eq_u32_e32 vcc, 0, v8
	v_min_i32_e32 v8, 15, v8
	v_cmp_eq_u64_e64 s[22:23], 0, v[20:21]
	v_lshlrev_b32_e32 v8, 3, v8
	v_and_b32_e32 v8, 0xf8, v8
	v_and_or_b32 v8, v20, 7, v8
	s_and_b64 s[22:23], vcc, s[22:23]
	v_cndmask_b32_e64 v8, v8, 0, s[22:23]
	v_or_b32_e32 v31, v8, v0
.LBB6_3475:                             ;   in Loop: Header=BB6_3341 Depth=2
	s_or_b64 exec, exec, s[94:95]
                                        ; implicit-def: $vgpr0
.LBB6_3476:                             ;   in Loop: Header=BB6_3341 Depth=2
	s_andn2_saveexec_b64 s[22:23], s[92:93]
; %bb.3477:                             ;   in Loop: Header=BB6_3341 Depth=2
	v_or_b32_e32 v31, 0x7e, v0
; %bb.3478:                             ;   in Loop: Header=BB6_3341 Depth=2
	s_or_b64 exec, exec, s[22:23]
                                        ; implicit-def: $vgpr8
.LBB6_3479:                             ;   in Loop: Header=BB6_3341 Depth=2
	s_andn2_saveexec_b64 s[22:23], s[90:91]
; %bb.3480:                             ;   in Loop: Header=BB6_3341 Depth=2
	v_or_b32_sdwa v31, v8, s51 dst_sel:DWORD dst_unused:UNUSED_PAD src0_sel:BYTE_3 src1_sel:DWORD
; %bb.3481:                             ;   in Loop: Header=BB6_3341 Depth=2
	s_or_b64 exec, exec, s[22:23]
	v_lshrrev_b32_e32 v20, 16, v11
	v_cmp_ne_u16_sdwa s[90:91], v20, v53 src0_sel:BYTE_0 src1_sel:DWORD
	v_mov_b32_e32 v0, 0
	s_and_saveexec_b64 s[22:23], s[90:91]
	s_cbranch_execz .LBB6_3487
; %bb.3482:                             ;   in Loop: Header=BB6_3341 Depth=2
	v_cmp_ne_u16_sdwa s[92:93], v20, s53 src0_sel:BYTE_0 src1_sel:DWORD
	v_bfrev_b32_e32 v0, 1
	s_and_saveexec_b64 s[90:91], s[92:93]
	s_cbranch_execz .LBB6_3486
; %bb.3483:                             ;   in Loop: Header=BB6_3341 Depth=2
	v_bfe_u32 v8, v11, 16, 7
	v_cmp_ne_u32_e32 vcc, s51, v8
	v_mov_b32_e32 v0, 0x7f800001
	s_and_saveexec_b64 s[92:93], vcc
	s_cbranch_execz .LBB6_3485
; %bb.3484:                             ;   in Loop: Header=BB6_3341 Depth=2
	v_and_b32_e32 v0, 7, v20
	v_lshrrev_b32_e32 v21, 3, v8
	v_cmp_gt_u32_e32 vcc, 8, v8
	v_ffbh_u32_e32 v8, v0
	v_min_u32_e32 v22, 32, v8
	v_subrev_u32_e32 v8, 28, v22
	v_lshlrev_b64 v[8:9], v8, v[20:21]
	v_sub_u32_e32 v9, 29, v22
	v_and_b32_e32 v8, 7, v8
	v_cndmask_b32_e32 v9, v21, v9, vcc
	v_cndmask_b32_e32 v0, v0, v8, vcc
	v_lshlrev_b32_e32 v8, 24, v20
	v_bfrev_b32_e32 v20, 60
	v_lshlrev_b32_e32 v0, 20, v0
	v_and_b32_e32 v8, 0x80000000, v8
	v_lshl_add_u32 v9, v9, 23, v20
	v_or3_b32 v0, v8, v9, v0
.LBB6_3485:                             ;   in Loop: Header=BB6_3341 Depth=2
	s_or_b64 exec, exec, s[92:93]
.LBB6_3486:                             ;   in Loop: Header=BB6_3341 Depth=2
	s_or_b64 exec, exec, s[90:91]
.LBB6_3487:                             ;   in Loop: Header=BB6_3341 Depth=2
	s_or_b64 exec, exec, s[22:23]
	v_mul_f32_e32 v8, v7, v0
	v_and_b32_e32 v52, 0x7f800000, v8
	v_cmp_ne_u64_e32 vcc, s[56:57], v[52:53]
                                        ; implicit-def: $vgpr33
	s_and_saveexec_b64 s[22:23], vcc
	s_xor_b64 s[90:91], exec, s[22:23]
	s_cbranch_execz .LBB6_3501
; %bb.3488:                             ;   in Loop: Header=BB6_3341 Depth=2
	v_and_b32_e32 v52, 0x7fffffff, v8
	v_cmp_gt_u64_e32 vcc, s[58:59], v[52:53]
	v_and_b32_sdwa v0, v8, s53 dst_sel:DWORD dst_unused:UNUSED_PAD src0_sel:BYTE_3 src1_sel:DWORD
                                        ; implicit-def: $vgpr33
	s_and_saveexec_b64 s[22:23], vcc
	s_xor_b64 s[92:93], exec, s[22:23]
	s_cbranch_execz .LBB6_3498
; %bb.3489:                             ;   in Loop: Header=BB6_3341 Depth=2
	v_mov_b32_e32 v33, 0
	v_cmp_ne_u32_e32 vcc, 0, v8
	s_and_saveexec_b64 s[94:95], vcc
	s_cbranch_execz .LBB6_3497
; %bb.3490:                             ;   in Loop: Header=BB6_3341 Depth=2
	v_and_b32_e32 v20, 0x7fffff, v8
	v_bfe_u32 v8, v8, 23, 8
	v_cmp_gt_u32_e64 s[22:23], s54, v8
	v_sub_u32_e32 v9, 0x79, v8
	v_cmp_eq_u32_e32 vcc, 0, v8
	v_cndmask_b32_e64 v9, 0, v9, s[22:23]
	v_mov_b32_e32 v22, 0x78
	v_or_b32_e32 v21, 0x800000, v20
	v_cndmask_b32_e32 v9, v9, v22, vcc
	v_cndmask_b32_e32 v52, v21, v20, vcc
	v_add_u32_e32 v20, 20, v9
	v_lshlrev_b64 v[20:21], v20, -1
	v_add_u32_e32 v22, 19, v9
	v_lshlrev_b64 v[27:28], v22, 1
	v_bfi_b32 v21, v21, 0, 0
	v_bfi_b32 v20, v20, 0, v52
	v_cmp_eq_u64_e64 s[22:23], v[20:21], v[27:28]
	v_lshrrev_b64 v[20:21], v9, v[52:53]
	v_mov_b32_e32 v22, v21
	v_mov_b32_e32 v21, v20
	s_and_saveexec_b64 s[30:31], s[22:23]
; %bb.3491:                             ;   in Loop: Header=BB6_3341 Depth=2
	v_bfe_u32 v21, v20, 20, 1
	v_add_co_u32_e64 v21, s[22:23], v20, v21
	v_add_co_u32_e64 v21, s[22:23], -1, v21
; %bb.3492:                             ;   in Loop: Header=BB6_3341 Depth=2
	s_or_b64 exec, exec, s[30:31]
	v_add_u32_e32 v8, 0xffffff81, v8
	v_mov_b32_e32 v22, 0xffffff82
	v_cndmask_b32_e32 v8, v8, v22, vcc
	v_lshrrev_b32_e32 v22, 23, v20
	v_add3_u32 v22, v9, v8, v22
	v_add_u32_e32 v9, 6, v22
	v_and_b32_e32 v8, 0xfffff, v21
	v_add_u32_e32 v52, v8, v20
	v_cmp_ne_u32_e32 vcc, 0, v9
                                        ; implicit-def: $vgpr20_vgpr21
                                        ; implicit-def: $vgpr8
	s_and_saveexec_b64 s[22:23], vcc
	s_xor_b64 s[22:23], exec, s[22:23]
; %bb.3493:                             ;   in Loop: Header=BB6_3341 Depth=2
	v_cmp_lt_u64_e32 vcc, s[60:61], v[52:53]
	v_add_u32_e32 v8, 7, v22
	v_cndmask_b32_e32 v8, v9, v8, vcc
	v_cndmask_b32_e64 v9, 0, 1, vcc
	v_lshrrev_b64 v[20:21], v9, v[52:53]
; %bb.3494:                             ;   in Loop: Header=BB6_3341 Depth=2
	s_andn2_saveexec_b64 s[22:23], s[22:23]
; %bb.3495:                             ;   in Loop: Header=BB6_3341 Depth=2
	v_mov_b32_e32 v20, v52
	v_bfe_u32 v8, v52, 23, 1
	v_mov_b32_e32 v21, v53
; %bb.3496:                             ;   in Loop: Header=BB6_3341 Depth=2
	s_or_b64 exec, exec, s[22:23]
	v_lshrrev_b64 v[20:21], 20, v[20:21]
	v_cmp_gt_i32_e32 vcc, 16, v8
	v_cndmask_b32_e32 v21, 0, v21, vcc
	v_cndmask_b32_e32 v20, 7, v20, vcc
	v_cmp_eq_u32_e32 vcc, 0, v8
	v_min_i32_e32 v8, 15, v8
	v_cmp_eq_u64_e64 s[22:23], 0, v[20:21]
	v_lshlrev_b32_e32 v8, 3, v8
	v_and_b32_e32 v8, 0xf8, v8
	v_and_or_b32 v8, v20, 7, v8
	s_and_b64 s[22:23], vcc, s[22:23]
	v_cndmask_b32_e64 v8, v8, 0, s[22:23]
	v_or_b32_e32 v33, v8, v0
.LBB6_3497:                             ;   in Loop: Header=BB6_3341 Depth=2
	s_or_b64 exec, exec, s[94:95]
                                        ; implicit-def: $vgpr0
.LBB6_3498:                             ;   in Loop: Header=BB6_3341 Depth=2
	s_andn2_saveexec_b64 s[22:23], s[92:93]
; %bb.3499:                             ;   in Loop: Header=BB6_3341 Depth=2
	v_or_b32_e32 v33, 0x7e, v0
; %bb.3500:                             ;   in Loop: Header=BB6_3341 Depth=2
	s_or_b64 exec, exec, s[22:23]
                                        ; implicit-def: $vgpr8
.LBB6_3501:                             ;   in Loop: Header=BB6_3341 Depth=2
	s_andn2_saveexec_b64 s[22:23], s[90:91]
; %bb.3502:                             ;   in Loop: Header=BB6_3341 Depth=2
	v_or_b32_sdwa v33, v8, s51 dst_sel:DWORD dst_unused:UNUSED_PAD src0_sel:BYTE_3 src1_sel:DWORD
; %bb.3503:                             ;   in Loop: Header=BB6_3341 Depth=2
	s_or_b64 exec, exec, s[22:23]
	v_cmp_lt_u64_e32 vcc, s[62:63], v[10:11]
	v_mov_b32_e32 v0, 0
	s_and_saveexec_b64 s[22:23], vcc
	s_cbranch_execz .LBB6_3509
; %bb.3504:                             ;   in Loop: Header=BB6_3341 Depth=2
	v_lshrrev_b32_e32 v10, 24, v11
	v_cmp_ne_u32_e32 vcc, s53, v10
	v_bfrev_b32_e32 v0, 1
	s_and_saveexec_b64 s[90:91], vcc
	s_cbranch_execz .LBB6_3508
; %bb.3505:                             ;   in Loop: Header=BB6_3341 Depth=2
	v_bfe_u32 v8, v11, 24, 7
	v_cmp_ne_u32_e32 vcc, s51, v8
	v_mov_b32_e32 v0, 0x7f800001
	s_and_saveexec_b64 s[92:93], vcc
	s_cbranch_execz .LBB6_3507
; %bb.3506:                             ;   in Loop: Header=BB6_3341 Depth=2
	v_and_b32_e32 v0, 7, v10
	v_lshrrev_b32_e32 v11, 3, v8
	v_cmp_gt_u32_e32 vcc, 8, v8
	v_ffbh_u32_e32 v8, v0
	v_min_u32_e32 v20, 32, v8
	v_subrev_u32_e32 v8, 28, v20
	v_lshlrev_b64 v[8:9], v8, v[10:11]
	v_sub_u32_e32 v9, 29, v20
	v_and_b32_e32 v8, 7, v8
	v_cndmask_b32_e32 v9, v11, v9, vcc
	v_cndmask_b32_e32 v0, v0, v8, vcc
	v_lshlrev_b32_e32 v8, 24, v10
	v_bfrev_b32_e32 v10, 60
	v_lshlrev_b32_e32 v0, 20, v0
	v_and_b32_e32 v8, 0x80000000, v8
	v_lshl_add_u32 v9, v9, 23, v10
	v_or3_b32 v0, v8, v9, v0
.LBB6_3507:                             ;   in Loop: Header=BB6_3341 Depth=2
	s_or_b64 exec, exec, s[92:93]
.LBB6_3508:                             ;   in Loop: Header=BB6_3341 Depth=2
	s_or_b64 exec, exec, s[90:91]
.LBB6_3509:                             ;   in Loop: Header=BB6_3341 Depth=2
	s_or_b64 exec, exec, s[22:23]
	v_mul_f32_e32 v8, v7, v0
	v_and_b32_e32 v52, 0x7f800000, v8
	v_cmp_ne_u64_e32 vcc, s[56:57], v[52:53]
                                        ; implicit-def: $vgpr34
	s_and_saveexec_b64 s[22:23], vcc
	s_xor_b64 s[90:91], exec, s[22:23]
	s_cbranch_execz .LBB6_3523
; %bb.3510:                             ;   in Loop: Header=BB6_3341 Depth=2
	v_and_b32_e32 v52, 0x7fffffff, v8
	v_cmp_gt_u64_e32 vcc, s[58:59], v[52:53]
	v_and_b32_sdwa v0, v8, s53 dst_sel:DWORD dst_unused:UNUSED_PAD src0_sel:BYTE_3 src1_sel:DWORD
                                        ; implicit-def: $vgpr34
	s_and_saveexec_b64 s[22:23], vcc
	s_xor_b64 s[92:93], exec, s[22:23]
	s_cbranch_execz .LBB6_3520
; %bb.3511:                             ;   in Loop: Header=BB6_3341 Depth=2
	v_mov_b32_e32 v34, 0
	v_cmp_ne_u32_e32 vcc, 0, v8
	s_and_saveexec_b64 s[94:95], vcc
	s_cbranch_execz .LBB6_3519
; %bb.3512:                             ;   in Loop: Header=BB6_3341 Depth=2
	v_and_b32_e32 v10, 0x7fffff, v8
	v_bfe_u32 v8, v8, 23, 8
	v_cmp_gt_u32_e64 s[22:23], s54, v8
	v_sub_u32_e32 v9, 0x79, v8
	v_cmp_eq_u32_e32 vcc, 0, v8
	v_cndmask_b32_e64 v9, 0, v9, s[22:23]
	v_mov_b32_e32 v20, 0x78
	v_or_b32_e32 v11, 0x800000, v10
	v_cndmask_b32_e32 v9, v9, v20, vcc
	v_cndmask_b32_e32 v52, v11, v10, vcc
	v_add_u32_e32 v10, 20, v9
	v_lshlrev_b64 v[10:11], v10, -1
	v_add_u32_e32 v20, 19, v9
	v_lshlrev_b64 v[20:21], v20, 1
	v_bfi_b32 v11, v11, 0, 0
	v_bfi_b32 v10, v10, 0, v52
	v_cmp_eq_u64_e64 s[22:23], v[10:11], v[20:21]
	v_lshrrev_b64 v[10:11], v9, v[52:53]
	v_mov_b32_e32 v21, v11
	v_mov_b32_e32 v20, v10
	s_and_saveexec_b64 s[30:31], s[22:23]
; %bb.3513:                             ;   in Loop: Header=BB6_3341 Depth=2
	v_bfe_u32 v11, v10, 20, 1
	v_add_co_u32_e64 v11, s[22:23], v10, v11
	v_add_co_u32_e64 v20, s[22:23], -1, v11
; %bb.3514:                             ;   in Loop: Header=BB6_3341 Depth=2
	s_or_b64 exec, exec, s[30:31]
	v_add_u32_e32 v8, 0xffffff81, v8
	v_mov_b32_e32 v11, 0xffffff82
	v_cndmask_b32_e32 v8, v8, v11, vcc
	v_lshrrev_b32_e32 v11, 23, v10
	v_add3_u32 v21, v9, v8, v11
	v_add_u32_e32 v9, 6, v21
	v_and_b32_e32 v8, 0xfffff, v20
	v_add_u32_e32 v52, v8, v10
	v_cmp_ne_u32_e32 vcc, 0, v9
                                        ; implicit-def: $vgpr10_vgpr11
                                        ; implicit-def: $vgpr8
	s_and_saveexec_b64 s[22:23], vcc
	s_xor_b64 s[22:23], exec, s[22:23]
; %bb.3515:                             ;   in Loop: Header=BB6_3341 Depth=2
	v_cmp_lt_u64_e32 vcc, s[60:61], v[52:53]
	v_add_u32_e32 v8, 7, v21
	v_cndmask_b32_e32 v8, v9, v8, vcc
	v_cndmask_b32_e64 v9, 0, 1, vcc
	v_lshrrev_b64 v[10:11], v9, v[52:53]
; %bb.3516:                             ;   in Loop: Header=BB6_3341 Depth=2
	s_andn2_saveexec_b64 s[22:23], s[22:23]
; %bb.3517:                             ;   in Loop: Header=BB6_3341 Depth=2
	v_mov_b32_e32 v10, v52
	v_bfe_u32 v8, v52, 23, 1
	v_mov_b32_e32 v11, v53
; %bb.3518:                             ;   in Loop: Header=BB6_3341 Depth=2
	s_or_b64 exec, exec, s[22:23]
	v_lshrrev_b64 v[9:10], 20, v[10:11]
	v_cmp_gt_i32_e32 vcc, 16, v8
	v_cndmask_b32_e32 v10, 0, v10, vcc
	v_cndmask_b32_e32 v9, 7, v9, vcc
	v_cmp_eq_u32_e32 vcc, 0, v8
	v_min_i32_e32 v8, 15, v8
	v_cmp_eq_u64_e64 s[22:23], 0, v[9:10]
	v_lshlrev_b32_e32 v8, 3, v8
	v_and_b32_e32 v8, 0xf8, v8
	v_and_or_b32 v8, v9, 7, v8
	s_and_b64 s[22:23], vcc, s[22:23]
	v_cndmask_b32_e64 v8, v8, 0, s[22:23]
	v_or_b32_e32 v34, v8, v0
.LBB6_3519:                             ;   in Loop: Header=BB6_3341 Depth=2
	s_or_b64 exec, exec, s[94:95]
                                        ; implicit-def: $vgpr0
.LBB6_3520:                             ;   in Loop: Header=BB6_3341 Depth=2
	s_andn2_saveexec_b64 s[22:23], s[92:93]
; %bb.3521:                             ;   in Loop: Header=BB6_3341 Depth=2
	v_or_b32_e32 v34, 0x7e, v0
; %bb.3522:                             ;   in Loop: Header=BB6_3341 Depth=2
	s_or_b64 exec, exec, s[22:23]
                                        ; implicit-def: $vgpr8
.LBB6_3523:                             ;   in Loop: Header=BB6_3341 Depth=2
	s_andn2_saveexec_b64 s[22:23], s[90:91]
; %bb.3524:                             ;   in Loop: Header=BB6_3341 Depth=2
	v_or_b32_sdwa v34, v8, s51 dst_sel:DWORD dst_unused:UNUSED_PAD src0_sel:BYTE_3 src1_sel:DWORD
; %bb.3525:                             ;   in Loop: Header=BB6_3341 Depth=2
	s_or_b64 exec, exec, s[22:23]
	v_cmp_ne_u16_sdwa s[90:91], v12, v53 src0_sel:BYTE_0 src1_sel:DWORD
	v_mov_b32_e32 v0, 0
	s_and_saveexec_b64 s[22:23], s[90:91]
	s_cbranch_execz .LBB6_3531
; %bb.3526:                             ;   in Loop: Header=BB6_3341 Depth=2
	v_cmp_ne_u16_sdwa s[92:93], v12, s53 src0_sel:BYTE_0 src1_sel:DWORD
	v_bfrev_b32_e32 v0, 1
	s_and_saveexec_b64 s[90:91], s[92:93]
	s_cbranch_execz .LBB6_3530
; %bb.3527:                             ;   in Loop: Header=BB6_3341 Depth=2
	v_and_b32_e32 v8, 0x7f, v12
	v_cmp_ne_u32_e32 vcc, s51, v8
	v_mov_b32_e32 v0, 0x7f800001
	s_and_saveexec_b64 s[92:93], vcc
	s_cbranch_execz .LBB6_3529
; %bb.3528:                             ;   in Loop: Header=BB6_3341 Depth=2
	v_and_b32_e32 v0, 7, v12
	v_ffbh_u32_e32 v0, v0
	v_min_u32_e32 v0, 32, v0
	v_lshrrev_b32_e32 v9, 3, v8
	v_cmp_gt_u32_e32 vcc, 8, v8
	v_subrev_u32_e32 v8, 28, v0
	v_sub_u32_e32 v0, 29, v0
	v_cndmask_b32_e32 v8, 0, v8, vcc
	v_cndmask_b32_e32 v0, v9, v0, vcc
	v_lshlrev_b64 v[8:9], v8, v[12:13]
	v_lshlrev_b32_e32 v9, 24, v12
	v_lshlrev_b32_e32 v8, 20, v8
	v_bfrev_b32_e32 v10, 60
	v_and_b32_e32 v8, 0x700000, v8
	v_and_b32_e32 v9, 0x80000000, v9
	v_lshl_add_u32 v0, v0, 23, v10
	v_or3_b32 v0, v9, v0, v8
.LBB6_3529:                             ;   in Loop: Header=BB6_3341 Depth=2
	s_or_b64 exec, exec, s[92:93]
.LBB6_3530:                             ;   in Loop: Header=BB6_3341 Depth=2
	s_or_b64 exec, exec, s[90:91]
.LBB6_3531:                             ;   in Loop: Header=BB6_3341 Depth=2
	s_or_b64 exec, exec, s[22:23]
	v_mul_f32_e32 v9, v7, v0
	v_and_b32_e32 v52, 0x7f800000, v9
	v_cmp_ne_u64_e32 vcc, s[56:57], v[52:53]
                                        ; implicit-def: $vgpr8
	s_and_saveexec_b64 s[22:23], vcc
	s_xor_b64 s[90:91], exec, s[22:23]
	s_cbranch_execz .LBB6_3545
; %bb.3532:                             ;   in Loop: Header=BB6_3341 Depth=2
	v_and_b32_e32 v52, 0x7fffffff, v9
	v_cmp_gt_u64_e32 vcc, s[58:59], v[52:53]
	v_and_b32_sdwa v0, v9, s53 dst_sel:DWORD dst_unused:UNUSED_PAD src0_sel:BYTE_3 src1_sel:DWORD
                                        ; implicit-def: $vgpr8
	s_and_saveexec_b64 s[22:23], vcc
	s_xor_b64 s[92:93], exec, s[22:23]
	s_cbranch_execz .LBB6_3542
; %bb.3533:                             ;   in Loop: Header=BB6_3341 Depth=2
	v_mov_b32_e32 v8, 0
	v_cmp_ne_u32_e32 vcc, 0, v9
	s_and_saveexec_b64 s[94:95], vcc
	s_cbranch_execz .LBB6_3541
; %bb.3534:                             ;   in Loop: Header=BB6_3341 Depth=2
	v_bfe_u32 v8, v9, 23, 8
	v_and_b32_e32 v10, 0x7fffff, v9
	v_cmp_gt_u32_e64 s[22:23], s54, v8
	v_sub_u32_e32 v9, 0x79, v8
	v_cmp_eq_u32_e32 vcc, 0, v8
	v_cndmask_b32_e64 v9, 0, v9, s[22:23]
	v_mov_b32_e32 v20, 0x78
	v_or_b32_e32 v11, 0x800000, v10
	v_cndmask_b32_e32 v9, v9, v20, vcc
	v_cndmask_b32_e32 v52, v11, v10, vcc
	v_add_u32_e32 v10, 20, v9
	v_lshlrev_b64 v[10:11], v10, -1
	v_add_u32_e32 v20, 19, v9
	v_lshlrev_b64 v[20:21], v20, 1
	v_bfi_b32 v11, v11, 0, 0
	v_bfi_b32 v10, v10, 0, v52
	v_cmp_eq_u64_e64 s[22:23], v[10:11], v[20:21]
	v_lshrrev_b64 v[10:11], v9, v[52:53]
	v_mov_b32_e32 v21, v11
	v_mov_b32_e32 v20, v10
	s_and_saveexec_b64 s[30:31], s[22:23]
; %bb.3535:                             ;   in Loop: Header=BB6_3341 Depth=2
	v_bfe_u32 v11, v10, 20, 1
	v_add_co_u32_e64 v11, s[22:23], v10, v11
	v_add_co_u32_e64 v20, s[22:23], -1, v11
; %bb.3536:                             ;   in Loop: Header=BB6_3341 Depth=2
	s_or_b64 exec, exec, s[30:31]
	v_add_u32_e32 v8, 0xffffff81, v8
	v_mov_b32_e32 v11, 0xffffff82
	v_cndmask_b32_e32 v8, v8, v11, vcc
	v_lshrrev_b32_e32 v11, 23, v10
	v_add3_u32 v21, v9, v8, v11
	v_add_u32_e32 v9, 6, v21
	v_and_b32_e32 v8, 0xfffff, v20
	v_add_u32_e32 v52, v8, v10
	v_cmp_ne_u32_e32 vcc, 0, v9
                                        ; implicit-def: $vgpr10_vgpr11
                                        ; implicit-def: $vgpr8
	s_and_saveexec_b64 s[22:23], vcc
	s_xor_b64 s[22:23], exec, s[22:23]
; %bb.3537:                             ;   in Loop: Header=BB6_3341 Depth=2
	v_cmp_lt_u64_e32 vcc, s[60:61], v[52:53]
	v_add_u32_e32 v8, 7, v21
	v_cndmask_b32_e32 v8, v9, v8, vcc
	v_cndmask_b32_e64 v9, 0, 1, vcc
	v_lshrrev_b64 v[10:11], v9, v[52:53]
; %bb.3538:                             ;   in Loop: Header=BB6_3341 Depth=2
	s_andn2_saveexec_b64 s[22:23], s[22:23]
; %bb.3539:                             ;   in Loop: Header=BB6_3341 Depth=2
	v_mov_b32_e32 v10, v52
	v_bfe_u32 v8, v52, 23, 1
	v_mov_b32_e32 v11, v53
; %bb.3540:                             ;   in Loop: Header=BB6_3341 Depth=2
	s_or_b64 exec, exec, s[22:23]
	v_lshrrev_b64 v[9:10], 20, v[10:11]
	v_cmp_gt_i32_e32 vcc, 16, v8
	v_cndmask_b32_e32 v10, 0, v10, vcc
	v_cndmask_b32_e32 v9, 7, v9, vcc
	v_cmp_eq_u32_e32 vcc, 0, v8
	v_min_i32_e32 v8, 15, v8
	v_cmp_eq_u64_e64 s[22:23], 0, v[9:10]
	v_lshlrev_b32_e32 v8, 3, v8
	v_and_b32_e32 v8, 0xf8, v8
	v_and_or_b32 v8, v9, 7, v8
	s_and_b64 s[22:23], vcc, s[22:23]
	v_cndmask_b32_e64 v8, v8, 0, s[22:23]
	v_or_b32_e32 v8, v8, v0
.LBB6_3541:                             ;   in Loop: Header=BB6_3341 Depth=2
	s_or_b64 exec, exec, s[94:95]
                                        ; implicit-def: $vgpr0
.LBB6_3542:                             ;   in Loop: Header=BB6_3341 Depth=2
	s_andn2_saveexec_b64 s[22:23], s[92:93]
; %bb.3543:                             ;   in Loop: Header=BB6_3341 Depth=2
	v_or_b32_e32 v8, 0x7e, v0
; %bb.3544:                             ;   in Loop: Header=BB6_3341 Depth=2
	s_or_b64 exec, exec, s[22:23]
                                        ; implicit-def: $vgpr9
.LBB6_3545:                             ;   in Loop: Header=BB6_3341 Depth=2
	s_andn2_saveexec_b64 s[22:23], s[90:91]
; %bb.3546:                             ;   in Loop: Header=BB6_3341 Depth=2
	v_or_b32_sdwa v8, v9, s51 dst_sel:DWORD dst_unused:UNUSED_PAD src0_sel:BYTE_3 src1_sel:DWORD
; %bb.3547:                             ;   in Loop: Header=BB6_3341 Depth=2
	s_or_b64 exec, exec, s[22:23]
	v_lshrrev_b16_e32 v10, 8, v12
	v_cmp_ne_u16_e32 vcc, 0, v10
	v_mov_b32_e32 v0, 0
	s_and_saveexec_b64 s[22:23], vcc
	s_cbranch_execz .LBB6_3553
; %bb.3548:                             ;   in Loop: Header=BB6_3341 Depth=2
	v_cmp_ne_u16_e32 vcc, s53, v10
	v_bfrev_b32_e32 v0, 1
	s_and_saveexec_b64 s[90:91], vcc
	s_cbranch_execz .LBB6_3552
; %bb.3549:                             ;   in Loop: Header=BB6_3341 Depth=2
	v_and_b32_e32 v9, 0x7f, v10
	v_cmp_ne_u32_e32 vcc, s51, v9
	v_mov_b32_e32 v0, 0x7f800001
	s_and_saveexec_b64 s[92:93], vcc
	s_cbranch_execz .LBB6_3551
; %bb.3550:                             ;   in Loop: Header=BB6_3341 Depth=2
	v_and_b32_e32 v0, 7, v10
	v_lshrrev_b32_e32 v11, 3, v9
	v_cmp_gt_u32_e32 vcc, 8, v9
	v_ffbh_u32_e32 v9, v0
	v_min_u32_e32 v20, 32, v9
	v_subrev_u32_e32 v9, 28, v20
	v_lshlrev_b64 v[9:10], v9, v[10:11]
	v_sub_u32_e32 v10, 29, v20
	v_and_b32_e32 v9, 7, v9
	v_cndmask_b32_e32 v10, v11, v10, vcc
	v_cndmask_b32_e32 v0, v0, v9, vcc
	v_lshlrev_b32_e32 v9, 16, v12
	v_bfrev_b32_e32 v11, 60
	v_lshlrev_b32_e32 v0, 20, v0
	v_and_b32_e32 v9, 0x80000000, v9
	v_lshl_add_u32 v10, v10, 23, v11
	v_or3_b32 v0, v9, v10, v0
.LBB6_3551:                             ;   in Loop: Header=BB6_3341 Depth=2
	s_or_b64 exec, exec, s[92:93]
.LBB6_3552:                             ;   in Loop: Header=BB6_3341 Depth=2
	s_or_b64 exec, exec, s[90:91]
.LBB6_3553:                             ;   in Loop: Header=BB6_3341 Depth=2
	s_or_b64 exec, exec, s[22:23]
	v_mul_f32_e32 v9, v7, v0
	v_and_b32_e32 v52, 0x7f800000, v9
	v_cmp_ne_u64_e32 vcc, s[56:57], v[52:53]
                                        ; implicit-def: $vgpr27
	s_and_saveexec_b64 s[22:23], vcc
	s_xor_b64 s[90:91], exec, s[22:23]
	s_cbranch_execz .LBB6_3567
; %bb.3554:                             ;   in Loop: Header=BB6_3341 Depth=2
	v_and_b32_e32 v52, 0x7fffffff, v9
	v_cmp_gt_u64_e32 vcc, s[58:59], v[52:53]
	v_and_b32_sdwa v0, v9, s53 dst_sel:DWORD dst_unused:UNUSED_PAD src0_sel:BYTE_3 src1_sel:DWORD
                                        ; implicit-def: $vgpr27
	s_and_saveexec_b64 s[22:23], vcc
	s_xor_b64 s[92:93], exec, s[22:23]
	s_cbranch_execz .LBB6_3564
; %bb.3555:                             ;   in Loop: Header=BB6_3341 Depth=2
	v_mov_b32_e32 v27, 0
	v_cmp_ne_u32_e32 vcc, 0, v9
	s_and_saveexec_b64 s[94:95], vcc
	s_cbranch_execz .LBB6_3563
; %bb.3556:                             ;   in Loop: Header=BB6_3341 Depth=2
	v_and_b32_e32 v10, 0x7fffff, v9
	v_bfe_u32 v9, v9, 23, 8
	v_cmp_gt_u32_e64 s[22:23], s54, v9
	v_sub_u32_e32 v11, 0x79, v9
	v_cmp_eq_u32_e32 vcc, 0, v9
	v_cndmask_b32_e64 v11, 0, v11, s[22:23]
	v_mov_b32_e32 v21, 0x78
	v_or_b32_e32 v20, 0x800000, v10
	v_cndmask_b32_e32 v22, v11, v21, vcc
	v_cndmask_b32_e32 v52, v20, v10, vcc
	v_add_u32_e32 v10, 20, v22
	v_lshlrev_b64 v[10:11], v10, -1
	v_add_u32_e32 v20, 19, v22
	v_lshlrev_b64 v[20:21], v20, 1
	v_bfi_b32 v11, v11, 0, 0
	v_bfi_b32 v10, v10, 0, v52
	v_cmp_eq_u64_e64 s[22:23], v[10:11], v[20:21]
	v_lshrrev_b64 v[10:11], v22, v[52:53]
	v_mov_b32_e32 v21, v11
	v_mov_b32_e32 v20, v10
	s_and_saveexec_b64 s[30:31], s[22:23]
; %bb.3557:                             ;   in Loop: Header=BB6_3341 Depth=2
	v_bfe_u32 v11, v10, 20, 1
	v_add_co_u32_e64 v11, s[22:23], v10, v11
	v_add_co_u32_e64 v20, s[22:23], -1, v11
; %bb.3558:                             ;   in Loop: Header=BB6_3341 Depth=2
	s_or_b64 exec, exec, s[30:31]
	v_add_u32_e32 v9, 0xffffff81, v9
	v_mov_b32_e32 v11, 0xffffff82
	v_cndmask_b32_e32 v9, v9, v11, vcc
	v_lshrrev_b32_e32 v11, 23, v10
	v_add3_u32 v22, v22, v9, v11
	v_add_u32_e32 v21, 6, v22
	v_and_b32_e32 v9, 0xfffff, v20
	v_add_u32_e32 v52, v9, v10
	v_cmp_ne_u32_e32 vcc, 0, v21
                                        ; implicit-def: $vgpr10_vgpr11
                                        ; implicit-def: $vgpr9
	s_and_saveexec_b64 s[22:23], vcc
	s_xor_b64 s[22:23], exec, s[22:23]
; %bb.3559:                             ;   in Loop: Header=BB6_3341 Depth=2
	v_cmp_lt_u64_e32 vcc, s[60:61], v[52:53]
	v_add_u32_e32 v9, 7, v22
	v_cndmask_b32_e64 v10, 0, 1, vcc
	v_cndmask_b32_e32 v9, v21, v9, vcc
	v_lshrrev_b64 v[10:11], v10, v[52:53]
; %bb.3560:                             ;   in Loop: Header=BB6_3341 Depth=2
	s_andn2_saveexec_b64 s[22:23], s[22:23]
; %bb.3561:                             ;   in Loop: Header=BB6_3341 Depth=2
	v_mov_b32_e32 v10, v52
	v_bfe_u32 v9, v52, 23, 1
	v_mov_b32_e32 v11, v53
; %bb.3562:                             ;   in Loop: Header=BB6_3341 Depth=2
	s_or_b64 exec, exec, s[22:23]
	v_lshrrev_b64 v[10:11], 20, v[10:11]
	v_cmp_gt_i32_e32 vcc, 16, v9
	v_cndmask_b32_e32 v11, 0, v11, vcc
	v_cndmask_b32_e32 v10, 7, v10, vcc
	v_cmp_eq_u32_e32 vcc, 0, v9
	v_min_i32_e32 v9, 15, v9
	v_cmp_eq_u64_e64 s[22:23], 0, v[10:11]
	v_lshlrev_b32_e32 v9, 3, v9
	v_and_b32_e32 v9, 0xf8, v9
	v_and_or_b32 v9, v10, 7, v9
	s_and_b64 s[22:23], vcc, s[22:23]
	v_cndmask_b32_e64 v9, v9, 0, s[22:23]
	v_or_b32_e32 v27, v9, v0
.LBB6_3563:                             ;   in Loop: Header=BB6_3341 Depth=2
	s_or_b64 exec, exec, s[94:95]
                                        ; implicit-def: $vgpr0
.LBB6_3564:                             ;   in Loop: Header=BB6_3341 Depth=2
	s_andn2_saveexec_b64 s[22:23], s[92:93]
; %bb.3565:                             ;   in Loop: Header=BB6_3341 Depth=2
	v_or_b32_e32 v27, 0x7e, v0
; %bb.3566:                             ;   in Loop: Header=BB6_3341 Depth=2
	s_or_b64 exec, exec, s[22:23]
                                        ; implicit-def: $vgpr9
.LBB6_3567:                             ;   in Loop: Header=BB6_3341 Depth=2
	s_andn2_saveexec_b64 s[22:23], s[90:91]
; %bb.3568:                             ;   in Loop: Header=BB6_3341 Depth=2
	v_or_b32_sdwa v27, v9, s51 dst_sel:DWORD dst_unused:UNUSED_PAD src0_sel:BYTE_3 src1_sel:DWORD
; %bb.3569:                             ;   in Loop: Header=BB6_3341 Depth=2
	s_or_b64 exec, exec, s[22:23]
	v_lshrrev_b32_e32 v10, 16, v12
	v_cmp_ne_u16_sdwa s[90:91], v10, v53 src0_sel:BYTE_0 src1_sel:DWORD
	v_mov_b32_e32 v0, 0
	s_and_saveexec_b64 s[22:23], s[90:91]
	s_cbranch_execz .LBB6_3575
; %bb.3570:                             ;   in Loop: Header=BB6_3341 Depth=2
	v_cmp_ne_u16_sdwa s[92:93], v10, s53 src0_sel:BYTE_0 src1_sel:DWORD
	v_bfrev_b32_e32 v0, 1
	s_and_saveexec_b64 s[90:91], s[92:93]
	s_cbranch_execz .LBB6_3574
; %bb.3571:                             ;   in Loop: Header=BB6_3341 Depth=2
	v_bfe_u32 v9, v12, 16, 7
	v_cmp_ne_u32_e32 vcc, s51, v9
	v_mov_b32_e32 v0, 0x7f800001
	s_and_saveexec_b64 s[92:93], vcc
	s_cbranch_execz .LBB6_3573
; %bb.3572:                             ;   in Loop: Header=BB6_3341 Depth=2
	v_and_b32_e32 v0, 7, v10
	v_lshrrev_b32_e32 v11, 3, v9
	v_cmp_gt_u32_e32 vcc, 8, v9
	v_ffbh_u32_e32 v9, v0
	v_min_u32_e32 v9, 32, v9
	v_subrev_u32_e32 v20, 28, v9
	v_lshlrev_b64 v[20:21], v20, v[10:11]
	v_sub_u32_e32 v9, 29, v9
	v_and_b32_e32 v20, 7, v20
	v_cndmask_b32_e32 v9, v11, v9, vcc
	v_cndmask_b32_e32 v0, v0, v20, vcc
	v_lshlrev_b32_e32 v10, 24, v10
	v_bfrev_b32_e32 v11, 60
	v_lshlrev_b32_e32 v0, 20, v0
	v_and_b32_e32 v10, 0x80000000, v10
	v_lshl_add_u32 v9, v9, 23, v11
	v_or3_b32 v0, v10, v9, v0
.LBB6_3573:                             ;   in Loop: Header=BB6_3341 Depth=2
	s_or_b64 exec, exec, s[92:93]
.LBB6_3574:                             ;   in Loop: Header=BB6_3341 Depth=2
	s_or_b64 exec, exec, s[90:91]
.LBB6_3575:                             ;   in Loop: Header=BB6_3341 Depth=2
	s_or_b64 exec, exec, s[22:23]
	v_mul_f32_e32 v9, v7, v0
	v_and_b32_e32 v52, 0x7f800000, v9
	v_cmp_ne_u64_e32 vcc, s[56:57], v[52:53]
                                        ; implicit-def: $vgpr30
	s_and_saveexec_b64 s[22:23], vcc
	s_xor_b64 s[90:91], exec, s[22:23]
	s_cbranch_execz .LBB6_3589
; %bb.3576:                             ;   in Loop: Header=BB6_3341 Depth=2
	v_and_b32_e32 v52, 0x7fffffff, v9
	v_cmp_gt_u64_e32 vcc, s[58:59], v[52:53]
	v_and_b32_sdwa v0, v9, s53 dst_sel:DWORD dst_unused:UNUSED_PAD src0_sel:BYTE_3 src1_sel:DWORD
                                        ; implicit-def: $vgpr30
	s_and_saveexec_b64 s[22:23], vcc
	s_xor_b64 s[92:93], exec, s[22:23]
	s_cbranch_execz .LBB6_3586
; %bb.3577:                             ;   in Loop: Header=BB6_3341 Depth=2
	v_mov_b32_e32 v30, 0
	v_cmp_ne_u32_e32 vcc, 0, v9
	s_and_saveexec_b64 s[94:95], vcc
	s_cbranch_execz .LBB6_3585
; %bb.3578:                             ;   in Loop: Header=BB6_3341 Depth=2
	v_and_b32_e32 v10, 0x7fffff, v9
	v_bfe_u32 v9, v9, 23, 8
	v_cmp_gt_u32_e64 s[22:23], s54, v9
	v_sub_u32_e32 v11, 0x79, v9
	v_cmp_eq_u32_e32 vcc, 0, v9
	v_cndmask_b32_e64 v11, 0, v11, s[22:23]
	v_mov_b32_e32 v21, 0x78
	v_or_b32_e32 v20, 0x800000, v10
	v_cndmask_b32_e32 v22, v11, v21, vcc
	v_cndmask_b32_e32 v52, v20, v10, vcc
	v_add_u32_e32 v10, 20, v22
	v_lshlrev_b64 v[10:11], v10, -1
	v_add_u32_e32 v20, 19, v22
	v_lshlrev_b64 v[20:21], v20, 1
	v_bfi_b32 v11, v11, 0, 0
	v_bfi_b32 v10, v10, 0, v52
	v_cmp_eq_u64_e64 s[22:23], v[10:11], v[20:21]
	v_lshrrev_b64 v[10:11], v22, v[52:53]
	v_mov_b32_e32 v21, v11
	v_mov_b32_e32 v20, v10
	s_and_saveexec_b64 s[30:31], s[22:23]
; %bb.3579:                             ;   in Loop: Header=BB6_3341 Depth=2
	v_bfe_u32 v11, v10, 20, 1
	v_add_co_u32_e64 v11, s[22:23], v10, v11
	v_add_co_u32_e64 v20, s[22:23], -1, v11
; %bb.3580:                             ;   in Loop: Header=BB6_3341 Depth=2
	s_or_b64 exec, exec, s[30:31]
	v_add_u32_e32 v9, 0xffffff81, v9
	v_mov_b32_e32 v11, 0xffffff82
	v_cndmask_b32_e32 v9, v9, v11, vcc
	v_lshrrev_b32_e32 v11, 23, v10
	v_add3_u32 v22, v22, v9, v11
	v_add_u32_e32 v21, 6, v22
	v_and_b32_e32 v9, 0xfffff, v20
	v_add_u32_e32 v52, v9, v10
	v_cmp_ne_u32_e32 vcc, 0, v21
                                        ; implicit-def: $vgpr10_vgpr11
                                        ; implicit-def: $vgpr9
	s_and_saveexec_b64 s[22:23], vcc
	s_xor_b64 s[22:23], exec, s[22:23]
; %bb.3581:                             ;   in Loop: Header=BB6_3341 Depth=2
	v_cmp_lt_u64_e32 vcc, s[60:61], v[52:53]
	v_add_u32_e32 v9, 7, v22
	v_cndmask_b32_e64 v10, 0, 1, vcc
	v_cndmask_b32_e32 v9, v21, v9, vcc
	v_lshrrev_b64 v[10:11], v10, v[52:53]
; %bb.3582:                             ;   in Loop: Header=BB6_3341 Depth=2
	s_andn2_saveexec_b64 s[22:23], s[22:23]
; %bb.3583:                             ;   in Loop: Header=BB6_3341 Depth=2
	v_mov_b32_e32 v10, v52
	v_bfe_u32 v9, v52, 23, 1
	v_mov_b32_e32 v11, v53
; %bb.3584:                             ;   in Loop: Header=BB6_3341 Depth=2
	s_or_b64 exec, exec, s[22:23]
	v_lshrrev_b64 v[10:11], 20, v[10:11]
	v_cmp_gt_i32_e32 vcc, 16, v9
	v_cndmask_b32_e32 v11, 0, v11, vcc
	v_cndmask_b32_e32 v10, 7, v10, vcc
	v_cmp_eq_u32_e32 vcc, 0, v9
	v_min_i32_e32 v9, 15, v9
	v_cmp_eq_u64_e64 s[22:23], 0, v[10:11]
	v_lshlrev_b32_e32 v9, 3, v9
	v_and_b32_e32 v9, 0xf8, v9
	v_and_or_b32 v9, v10, 7, v9
	s_and_b64 s[22:23], vcc, s[22:23]
	v_cndmask_b32_e64 v9, v9, 0, s[22:23]
	v_or_b32_e32 v30, v9, v0
.LBB6_3585:                             ;   in Loop: Header=BB6_3341 Depth=2
	s_or_b64 exec, exec, s[94:95]
                                        ; implicit-def: $vgpr0
.LBB6_3586:                             ;   in Loop: Header=BB6_3341 Depth=2
	s_andn2_saveexec_b64 s[22:23], s[92:93]
; %bb.3587:                             ;   in Loop: Header=BB6_3341 Depth=2
	v_or_b32_e32 v30, 0x7e, v0
; %bb.3588:                             ;   in Loop: Header=BB6_3341 Depth=2
	s_or_b64 exec, exec, s[22:23]
                                        ; implicit-def: $vgpr9
.LBB6_3589:                             ;   in Loop: Header=BB6_3341 Depth=2
	s_andn2_saveexec_b64 s[22:23], s[90:91]
; %bb.3590:                             ;   in Loop: Header=BB6_3341 Depth=2
	v_or_b32_sdwa v30, v9, s51 dst_sel:DWORD dst_unused:UNUSED_PAD src0_sel:BYTE_3 src1_sel:DWORD
; %bb.3591:                             ;   in Loop: Header=BB6_3341 Depth=2
	s_or_b64 exec, exec, s[22:23]
	v_cmp_lt_u32_e32 vcc, s63, v12
	v_mov_b32_e32 v0, 0
	s_and_saveexec_b64 s[22:23], vcc
	s_cbranch_execz .LBB6_3597
; %bb.3592:                             ;   in Loop: Header=BB6_3341 Depth=2
	v_lshrrev_b32_e32 v10, 24, v12
	v_cmp_ne_u32_e32 vcc, s53, v10
	v_bfrev_b32_e32 v0, 1
	s_and_saveexec_b64 s[90:91], vcc
	s_cbranch_execz .LBB6_3596
; %bb.3593:                             ;   in Loop: Header=BB6_3341 Depth=2
	v_bfe_u32 v9, v12, 24, 7
	v_cmp_ne_u32_e32 vcc, s51, v9
	v_mov_b32_e32 v0, 0x7f800001
	s_and_saveexec_b64 s[92:93], vcc
	s_cbranch_execz .LBB6_3595
; %bb.3594:                             ;   in Loop: Header=BB6_3341 Depth=2
	v_and_b32_e32 v0, 7, v10
	v_lshrrev_b32_e32 v11, 3, v9
	v_cmp_gt_u32_e32 vcc, 8, v9
	v_ffbh_u32_e32 v9, v0
	v_min_u32_e32 v9, 32, v9
	v_subrev_u32_e32 v20, 28, v9
	v_lshlrev_b64 v[20:21], v20, v[10:11]
	v_sub_u32_e32 v9, 29, v9
	v_and_b32_e32 v20, 7, v20
	v_cndmask_b32_e32 v9, v11, v9, vcc
	v_cndmask_b32_e32 v0, v0, v20, vcc
	v_lshlrev_b32_e32 v10, 24, v10
	v_bfrev_b32_e32 v11, 60
	v_lshlrev_b32_e32 v0, 20, v0
	v_and_b32_e32 v10, 0x80000000, v10
	v_lshl_add_u32 v9, v9, 23, v11
	v_or3_b32 v0, v10, v9, v0
.LBB6_3595:                             ;   in Loop: Header=BB6_3341 Depth=2
	s_or_b64 exec, exec, s[92:93]
.LBB6_3596:                             ;   in Loop: Header=BB6_3341 Depth=2
	s_or_b64 exec, exec, s[90:91]
.LBB6_3597:                             ;   in Loop: Header=BB6_3341 Depth=2
	s_or_b64 exec, exec, s[22:23]
	v_mul_f32_e32 v9, v7, v0
	v_and_b32_e32 v52, 0x7f800000, v9
	v_cmp_ne_u64_e32 vcc, s[56:57], v[52:53]
                                        ; implicit-def: $vgpr32
	s_and_saveexec_b64 s[22:23], vcc
	s_xor_b64 s[90:91], exec, s[22:23]
	s_cbranch_execz .LBB6_3611
; %bb.3598:                             ;   in Loop: Header=BB6_3341 Depth=2
	v_and_b32_e32 v52, 0x7fffffff, v9
	v_cmp_gt_u64_e32 vcc, s[58:59], v[52:53]
	v_and_b32_sdwa v0, v9, s53 dst_sel:DWORD dst_unused:UNUSED_PAD src0_sel:BYTE_3 src1_sel:DWORD
                                        ; implicit-def: $vgpr32
	s_and_saveexec_b64 s[22:23], vcc
	s_xor_b64 s[92:93], exec, s[22:23]
	s_cbranch_execz .LBB6_3608
; %bb.3599:                             ;   in Loop: Header=BB6_3341 Depth=2
	v_mov_b32_e32 v32, 0
	v_cmp_ne_u32_e32 vcc, 0, v9
	s_and_saveexec_b64 s[94:95], vcc
	s_cbranch_execz .LBB6_3607
; %bb.3600:                             ;   in Loop: Header=BB6_3341 Depth=2
	v_and_b32_e32 v10, 0x7fffff, v9
	v_bfe_u32 v9, v9, 23, 8
	v_cmp_gt_u32_e64 s[22:23], s54, v9
	v_sub_u32_e32 v11, 0x79, v9
	v_cmp_eq_u32_e32 vcc, 0, v9
	v_cndmask_b32_e64 v11, 0, v11, s[22:23]
	v_mov_b32_e32 v21, 0x78
	v_or_b32_e32 v20, 0x800000, v10
	v_cndmask_b32_e32 v22, v11, v21, vcc
	v_cndmask_b32_e32 v52, v20, v10, vcc
	v_add_u32_e32 v10, 20, v22
	v_lshlrev_b64 v[10:11], v10, -1
	v_add_u32_e32 v20, 19, v22
	v_lshlrev_b64 v[20:21], v20, 1
	v_bfi_b32 v11, v11, 0, 0
	v_bfi_b32 v10, v10, 0, v52
	v_cmp_eq_u64_e64 s[22:23], v[10:11], v[20:21]
	v_lshrrev_b64 v[10:11], v22, v[52:53]
	v_mov_b32_e32 v21, v11
	v_mov_b32_e32 v20, v10
	s_and_saveexec_b64 s[30:31], s[22:23]
; %bb.3601:                             ;   in Loop: Header=BB6_3341 Depth=2
	v_bfe_u32 v11, v10, 20, 1
	v_add_co_u32_e64 v11, s[22:23], v10, v11
	v_add_co_u32_e64 v20, s[22:23], -1, v11
; %bb.3602:                             ;   in Loop: Header=BB6_3341 Depth=2
	s_or_b64 exec, exec, s[30:31]
	v_add_u32_e32 v9, 0xffffff81, v9
	v_mov_b32_e32 v11, 0xffffff82
	v_cndmask_b32_e32 v9, v9, v11, vcc
	v_lshrrev_b32_e32 v11, 23, v10
	v_add3_u32 v22, v22, v9, v11
	v_add_u32_e32 v21, 6, v22
	v_and_b32_e32 v9, 0xfffff, v20
	v_add_u32_e32 v52, v9, v10
	v_cmp_ne_u32_e32 vcc, 0, v21
                                        ; implicit-def: $vgpr10_vgpr11
                                        ; implicit-def: $vgpr9
	s_and_saveexec_b64 s[22:23], vcc
	s_xor_b64 s[22:23], exec, s[22:23]
; %bb.3603:                             ;   in Loop: Header=BB6_3341 Depth=2
	v_cmp_lt_u64_e32 vcc, s[60:61], v[52:53]
	v_add_u32_e32 v9, 7, v22
	v_cndmask_b32_e64 v10, 0, 1, vcc
	v_cndmask_b32_e32 v9, v21, v9, vcc
	v_lshrrev_b64 v[10:11], v10, v[52:53]
; %bb.3604:                             ;   in Loop: Header=BB6_3341 Depth=2
	s_andn2_saveexec_b64 s[22:23], s[22:23]
; %bb.3605:                             ;   in Loop: Header=BB6_3341 Depth=2
	v_mov_b32_e32 v10, v52
	v_bfe_u32 v9, v52, 23, 1
	v_mov_b32_e32 v11, v53
; %bb.3606:                             ;   in Loop: Header=BB6_3341 Depth=2
	s_or_b64 exec, exec, s[22:23]
	v_lshrrev_b64 v[10:11], 20, v[10:11]
	v_cmp_gt_i32_e32 vcc, 16, v9
	v_cndmask_b32_e32 v11, 0, v11, vcc
	v_cndmask_b32_e32 v10, 7, v10, vcc
	v_cmp_eq_u32_e32 vcc, 0, v9
	v_min_i32_e32 v9, 15, v9
	v_cmp_eq_u64_e64 s[22:23], 0, v[10:11]
	v_lshlrev_b32_e32 v9, 3, v9
	v_and_b32_e32 v9, 0xf8, v9
	v_and_or_b32 v9, v10, 7, v9
	s_and_b64 s[22:23], vcc, s[22:23]
	v_cndmask_b32_e64 v9, v9, 0, s[22:23]
	v_or_b32_e32 v32, v9, v0
.LBB6_3607:                             ;   in Loop: Header=BB6_3341 Depth=2
	s_or_b64 exec, exec, s[94:95]
                                        ; implicit-def: $vgpr0
.LBB6_3608:                             ;   in Loop: Header=BB6_3341 Depth=2
	s_andn2_saveexec_b64 s[22:23], s[92:93]
; %bb.3609:                             ;   in Loop: Header=BB6_3341 Depth=2
	v_or_b32_e32 v32, 0x7e, v0
; %bb.3610:                             ;   in Loop: Header=BB6_3341 Depth=2
	s_or_b64 exec, exec, s[22:23]
                                        ; implicit-def: $vgpr9
.LBB6_3611:                             ;   in Loop: Header=BB6_3341 Depth=2
	s_andn2_saveexec_b64 s[22:23], s[90:91]
; %bb.3612:                             ;   in Loop: Header=BB6_3341 Depth=2
	v_or_b32_sdwa v32, v9, s51 dst_sel:DWORD dst_unused:UNUSED_PAD src0_sel:BYTE_3 src1_sel:DWORD
; %bb.3613:                             ;   in Loop: Header=BB6_3341 Depth=2
	s_or_b64 exec, exec, s[22:23]
	v_mov_b32_e32 v52, v13
	v_cmp_ne_u16_sdwa s[90:91], v13, v53 src0_sel:BYTE_0 src1_sel:DWORD
	v_mov_b32_e32 v0, 0
	s_and_saveexec_b64 s[22:23], s[90:91]
	s_cbranch_execz .LBB6_3619
; %bb.3614:                             ;   in Loop: Header=BB6_3341 Depth=2
	v_cmp_ne_u16_sdwa s[92:93], v13, s53 src0_sel:BYTE_0 src1_sel:DWORD
	v_bfrev_b32_e32 v0, 1
	s_and_saveexec_b64 s[90:91], s[92:93]
	s_cbranch_execz .LBB6_3618
; %bb.3615:                             ;   in Loop: Header=BB6_3341 Depth=2
	v_and_b32_e32 v9, 0x7f, v13
	v_cmp_ne_u32_e32 vcc, s51, v9
	v_mov_b32_e32 v0, 0x7f800001
	s_and_saveexec_b64 s[92:93], vcc
	s_cbranch_execz .LBB6_3617
; %bb.3616:                             ;   in Loop: Header=BB6_3341 Depth=2
	v_and_b32_e32 v0, 7, v13
	v_ffbh_u32_e32 v0, v0
	v_min_u32_e32 v0, 32, v0
	v_lshrrev_b32_e32 v10, 3, v9
	v_cmp_gt_u32_e32 vcc, 8, v9
	v_subrev_u32_e32 v9, 28, v0
	v_sub_u32_e32 v0, 29, v0
	v_cndmask_b32_e32 v9, 0, v9, vcc
	v_cndmask_b32_e32 v0, v10, v0, vcc
	v_lshlrev_b64 v[9:10], v9, v[52:53]
	v_lshlrev_b32_e32 v10, 24, v52
	v_lshlrev_b32_e32 v9, 20, v9
	v_bfrev_b32_e32 v11, 60
	v_and_b32_e32 v9, 0x700000, v9
	v_and_b32_e32 v10, 0x80000000, v10
	v_lshl_add_u32 v0, v0, 23, v11
	v_or3_b32 v0, v10, v0, v9
.LBB6_3617:                             ;   in Loop: Header=BB6_3341 Depth=2
	s_or_b64 exec, exec, s[92:93]
.LBB6_3618:                             ;   in Loop: Header=BB6_3341 Depth=2
	s_or_b64 exec, exec, s[90:91]
.LBB6_3619:                             ;   in Loop: Header=BB6_3341 Depth=2
	s_or_b64 exec, exec, s[22:23]
	v_mul_f32_e32 v10, v7, v0
	v_and_b32_e32 v20, 0x7f800000, v10
	v_mov_b32_e32 v21, v53
	v_cmp_ne_u64_e32 vcc, s[56:57], v[20:21]
                                        ; implicit-def: $vgpr0
	s_and_saveexec_b64 s[22:23], vcc
	s_xor_b64 s[90:91], exec, s[22:23]
	s_cbranch_execz .LBB6_3633
; %bb.3620:                             ;   in Loop: Header=BB6_3341 Depth=2
	v_and_b32_e32 v20, 0x7fffffff, v10
	v_mov_b32_e32 v21, v53
	v_cmp_gt_u64_e32 vcc, s[58:59], v[20:21]
	v_and_b32_sdwa v9, v10, s53 dst_sel:DWORD dst_unused:UNUSED_PAD src0_sel:BYTE_3 src1_sel:DWORD
                                        ; implicit-def: $vgpr0
	s_and_saveexec_b64 s[22:23], vcc
	s_xor_b64 s[92:93], exec, s[22:23]
	s_cbranch_execz .LBB6_3630
; %bb.3621:                             ;   in Loop: Header=BB6_3341 Depth=2
	v_mov_b32_e32 v0, 0
	v_cmp_ne_u32_e32 vcc, 0, v10
	s_and_saveexec_b64 s[94:95], vcc
	s_cbranch_execz .LBB6_3629
; %bb.3622:                             ;   in Loop: Header=BB6_3341 Depth=2
	v_bfe_u32 v0, v10, 23, 8
	v_and_b32_e32 v11, 0x7fffff, v10
	v_cmp_gt_u32_e64 s[22:23], s54, v0
	v_sub_u32_e32 v10, 0x79, v0
	v_cmp_eq_u32_e32 vcc, 0, v0
	v_cndmask_b32_e64 v10, 0, v10, s[22:23]
	v_mov_b32_e32 v21, 0x78
	v_or_b32_e32 v20, 0x800000, v11
	v_cndmask_b32_e32 v22, v10, v21, vcc
	v_cndmask_b32_e32 v10, v20, v11, vcc
	v_add_u32_e32 v20, 20, v22
	v_lshlrev_b64 v[20:21], v20, -1
	v_mov_b32_e32 v11, v53
	v_add_u32_e32 v25, 19, v22
	v_bfi_b32 v20, v20, 0, v10
	v_lshlrev_b64 v[36:37], v25, 1
	v_lshrrev_b64 v[10:11], v22, v[10:11]
	v_bfi_b32 v21, v21, 0, 0
	v_cmp_eq_u64_e64 s[22:23], v[20:21], v[36:37]
	v_mov_b32_e32 v21, v11
	v_mov_b32_e32 v20, v10
	s_and_saveexec_b64 s[30:31], s[22:23]
; %bb.3623:                             ;   in Loop: Header=BB6_3341 Depth=2
	v_bfe_u32 v11, v10, 20, 1
	v_add_co_u32_e64 v11, s[22:23], v10, v11
	v_add_co_u32_e64 v20, s[22:23], -1, v11
; %bb.3624:                             ;   in Loop: Header=BB6_3341 Depth=2
	s_or_b64 exec, exec, s[30:31]
	v_add_u32_e32 v0, 0xffffff81, v0
	v_mov_b32_e32 v11, 0xffffff82
	v_cndmask_b32_e32 v0, v0, v11, vcc
	v_lshrrev_b32_e32 v11, 23, v10
	v_add3_u32 v22, v22, v0, v11
	v_add_u32_e32 v21, 6, v22
	v_and_b32_e32 v0, 0xfffff, v20
	v_add_u32_e32 v10, v0, v10
	v_mov_b32_e32 v11, v53
	v_cmp_ne_u32_e32 vcc, 0, v21
                                        ; implicit-def: $vgpr0
	s_and_saveexec_b64 s[22:23], vcc
	s_xor_b64 s[22:23], exec, s[22:23]
; %bb.3625:                             ;   in Loop: Header=BB6_3341 Depth=2
	v_cmp_lt_u64_e32 vcc, s[60:61], v[10:11]
	v_add_u32_e32 v0, 7, v22
	v_cndmask_b32_e64 v20, 0, 1, vcc
	v_cndmask_b32_e32 v0, v21, v0, vcc
	v_lshrrev_b64 v[10:11], v20, v[10:11]
; %bb.3626:                             ;   in Loop: Header=BB6_3341 Depth=2
	s_andn2_saveexec_b64 s[22:23], s[22:23]
; %bb.3627:                             ;   in Loop: Header=BB6_3341 Depth=2
	v_bfe_u32 v0, v10, 23, 1
; %bb.3628:                             ;   in Loop: Header=BB6_3341 Depth=2
	s_or_b64 exec, exec, s[22:23]
	v_lshrrev_b64 v[10:11], 20, v[10:11]
	v_cmp_gt_i32_e32 vcc, 16, v0
	v_cndmask_b32_e32 v11, 0, v11, vcc
	v_cndmask_b32_e32 v10, 7, v10, vcc
	v_cmp_eq_u32_e32 vcc, 0, v0
	v_min_i32_e32 v0, 15, v0
	v_cmp_eq_u64_e64 s[22:23], 0, v[10:11]
	v_lshlrev_b32_e32 v0, 3, v0
	v_and_b32_e32 v0, 0xf8, v0
	v_and_or_b32 v0, v10, 7, v0
	s_and_b64 s[22:23], vcc, s[22:23]
	v_cndmask_b32_e64 v0, v0, 0, s[22:23]
	v_or_b32_e32 v0, v0, v9
.LBB6_3629:                             ;   in Loop: Header=BB6_3341 Depth=2
	s_or_b64 exec, exec, s[94:95]
                                        ; implicit-def: $vgpr9
.LBB6_3630:                             ;   in Loop: Header=BB6_3341 Depth=2
	s_andn2_saveexec_b64 s[22:23], s[92:93]
; %bb.3631:                             ;   in Loop: Header=BB6_3341 Depth=2
	v_or_b32_e32 v0, 0x7e, v9
; %bb.3632:                             ;   in Loop: Header=BB6_3341 Depth=2
	s_or_b64 exec, exec, s[22:23]
                                        ; implicit-def: $vgpr10
.LBB6_3633:                             ;   in Loop: Header=BB6_3341 Depth=2
	s_andn2_saveexec_b64 s[22:23], s[90:91]
; %bb.3634:                             ;   in Loop: Header=BB6_3341 Depth=2
	v_or_b32_sdwa v0, v10, s51 dst_sel:DWORD dst_unused:UNUSED_PAD src0_sel:BYTE_3 src1_sel:DWORD
; %bb.3635:                             ;   in Loop: Header=BB6_3341 Depth=2
	s_or_b64 exec, exec, s[22:23]
	v_lshrrev_b16_e32 v10, 8, v52
	v_cmp_ne_u16_e32 vcc, 0, v10
	v_mov_b32_e32 v9, 0
	s_and_saveexec_b64 s[22:23], vcc
	s_cbranch_execz .LBB6_3641
; %bb.3636:                             ;   in Loop: Header=BB6_3341 Depth=2
	v_cmp_ne_u16_e32 vcc, s53, v10
	v_bfrev_b32_e32 v9, 1
	s_and_saveexec_b64 s[90:91], vcc
	s_cbranch_execz .LBB6_3640
; %bb.3637:                             ;   in Loop: Header=BB6_3341 Depth=2
	v_and_b32_e32 v11, 0x7f, v10
	v_cmp_ne_u32_e32 vcc, s51, v11
	v_mov_b32_e32 v9, 0x7f800001
	s_and_saveexec_b64 s[92:93], vcc
	s_cbranch_execz .LBB6_3639
; %bb.3638:                             ;   in Loop: Header=BB6_3341 Depth=2
	v_and_b32_e32 v20, 7, v10
	v_ffbh_u32_e32 v9, v20
	v_lshrrev_b32_e32 v21, 3, v11
	v_cmp_gt_u32_e32 vcc, 8, v11
	v_min_u32_e32 v11, 32, v9
	v_subrev_u32_e32 v9, 28, v11
	v_lshlrev_b64 v[9:10], v9, v[10:11]
	v_sub_u32_e32 v10, 29, v11
	v_and_b32_e32 v9, 7, v9
	v_cndmask_b32_e32 v10, v21, v10, vcc
	v_cndmask_b32_e32 v9, v20, v9, vcc
	v_lshlrev_b32_e32 v11, 16, v52
	v_bfrev_b32_e32 v20, 60
	v_lshlrev_b32_e32 v9, 20, v9
	v_and_b32_e32 v11, 0x80000000, v11
	v_lshl_add_u32 v10, v10, 23, v20
	v_or3_b32 v9, v11, v10, v9
.LBB6_3639:                             ;   in Loop: Header=BB6_3341 Depth=2
	s_or_b64 exec, exec, s[92:93]
.LBB6_3640:                             ;   in Loop: Header=BB6_3341 Depth=2
	s_or_b64 exec, exec, s[90:91]
.LBB6_3641:                             ;   in Loop: Header=BB6_3341 Depth=2
	s_or_b64 exec, exec, s[22:23]
	v_mul_f32_e32 v10, v7, v9
	v_and_b32_e32 v52, 0x7f800000, v10
	v_cmp_ne_u64_e32 vcc, s[56:57], v[52:53]
                                        ; implicit-def: $vgpr9
	s_and_saveexec_b64 s[22:23], vcc
	s_xor_b64 s[90:91], exec, s[22:23]
	s_cbranch_execz .LBB6_3655
; %bb.3642:                             ;   in Loop: Header=BB6_3341 Depth=2
	v_and_b32_e32 v52, 0x7fffffff, v10
	v_cmp_gt_u64_e32 vcc, s[58:59], v[52:53]
	v_and_b32_sdwa v22, v10, s53 dst_sel:DWORD dst_unused:UNUSED_PAD src0_sel:BYTE_3 src1_sel:DWORD
                                        ; implicit-def: $vgpr9
	s_and_saveexec_b64 s[22:23], vcc
	s_xor_b64 s[92:93], exec, s[22:23]
	s_cbranch_execz .LBB6_3652
; %bb.3643:                             ;   in Loop: Header=BB6_3341 Depth=2
	v_mov_b32_e32 v9, 0
	v_cmp_ne_u32_e32 vcc, 0, v10
	s_and_saveexec_b64 s[94:95], vcc
	s_cbranch_execz .LBB6_3651
; %bb.3644:                             ;   in Loop: Header=BB6_3341 Depth=2
	v_bfe_u32 v9, v10, 23, 8
	v_and_b32_e32 v11, 0x7fffff, v10
	v_cmp_gt_u32_e64 s[22:23], s54, v9
	v_sub_u32_e32 v10, 0x79, v9
	v_cmp_eq_u32_e32 vcc, 0, v9
	v_cndmask_b32_e64 v10, 0, v10, s[22:23]
	v_mov_b32_e32 v21, 0x78
	v_cndmask_b32_e32 v25, v10, v21, vcc
	v_or_b32_e32 v20, 0x800000, v11
	v_add_u32_e32 v10, 20, v25
	v_cndmask_b32_e32 v52, v20, v11, vcc
	v_lshlrev_b64 v[10:11], v10, -1
	v_add_u32_e32 v20, 19, v25
	v_lshlrev_b64 v[20:21], v20, 1
	v_bfi_b32 v11, v11, 0, 0
	v_bfi_b32 v10, v10, 0, v52
	v_cmp_eq_u64_e64 s[22:23], v[10:11], v[20:21]
	v_lshrrev_b64 v[10:11], v25, v[52:53]
	v_mov_b32_e32 v21, v11
	v_mov_b32_e32 v20, v10
	s_and_saveexec_b64 s[30:31], s[22:23]
; %bb.3645:                             ;   in Loop: Header=BB6_3341 Depth=2
	v_bfe_u32 v11, v10, 20, 1
	v_add_co_u32_e64 v11, s[22:23], v10, v11
	v_add_co_u32_e64 v20, s[22:23], -1, v11
; %bb.3646:                             ;   in Loop: Header=BB6_3341 Depth=2
	s_or_b64 exec, exec, s[30:31]
	v_add_u32_e32 v9, 0xffffff81, v9
	v_mov_b32_e32 v11, 0xffffff82
	v_cndmask_b32_e32 v9, v9, v11, vcc
	v_lshrrev_b32_e32 v11, 23, v10
	v_add3_u32 v25, v25, v9, v11
	v_add_u32_e32 v21, 6, v25
	v_and_b32_e32 v9, 0xfffff, v20
	v_add_u32_e32 v52, v9, v10
	v_cmp_ne_u32_e32 vcc, 0, v21
                                        ; implicit-def: $vgpr10_vgpr11
                                        ; implicit-def: $vgpr9
	s_and_saveexec_b64 s[22:23], vcc
	s_xor_b64 s[22:23], exec, s[22:23]
; %bb.3647:                             ;   in Loop: Header=BB6_3341 Depth=2
	v_cmp_lt_u64_e32 vcc, s[60:61], v[52:53]
	v_add_u32_e32 v9, 7, v25
	v_cndmask_b32_e64 v10, 0, 1, vcc
	v_cndmask_b32_e32 v9, v21, v9, vcc
	v_lshrrev_b64 v[10:11], v10, v[52:53]
; %bb.3648:                             ;   in Loop: Header=BB6_3341 Depth=2
	s_andn2_saveexec_b64 s[22:23], s[22:23]
; %bb.3649:                             ;   in Loop: Header=BB6_3341 Depth=2
	v_mov_b32_e32 v10, v52
	v_bfe_u32 v9, v52, 23, 1
	v_mov_b32_e32 v11, v53
; %bb.3650:                             ;   in Loop: Header=BB6_3341 Depth=2
	s_or_b64 exec, exec, s[22:23]
	v_lshrrev_b64 v[10:11], 20, v[10:11]
	v_cmp_gt_i32_e32 vcc, 16, v9
	v_cndmask_b32_e32 v11, 0, v11, vcc
	v_cndmask_b32_e32 v10, 7, v10, vcc
	v_cmp_eq_u32_e32 vcc, 0, v9
	v_min_i32_e32 v9, 15, v9
	v_cmp_eq_u64_e64 s[22:23], 0, v[10:11]
	v_lshlrev_b32_e32 v9, 3, v9
	v_and_b32_e32 v9, 0xf8, v9
	v_and_or_b32 v9, v10, 7, v9
	s_and_b64 s[22:23], vcc, s[22:23]
	v_cndmask_b32_e64 v9, v9, 0, s[22:23]
	v_or_b32_e32 v9, v9, v22
.LBB6_3651:                             ;   in Loop: Header=BB6_3341 Depth=2
	s_or_b64 exec, exec, s[94:95]
                                        ; implicit-def: $vgpr22
.LBB6_3652:                             ;   in Loop: Header=BB6_3341 Depth=2
	s_andn2_saveexec_b64 s[22:23], s[92:93]
; %bb.3653:                             ;   in Loop: Header=BB6_3341 Depth=2
	v_or_b32_e32 v9, 0x7e, v22
; %bb.3654:                             ;   in Loop: Header=BB6_3341 Depth=2
	s_or_b64 exec, exec, s[22:23]
                                        ; implicit-def: $vgpr10
.LBB6_3655:                             ;   in Loop: Header=BB6_3341 Depth=2
	s_andn2_saveexec_b64 s[22:23], s[90:91]
; %bb.3656:                             ;   in Loop: Header=BB6_3341 Depth=2
	v_or_b32_sdwa v9, v10, s51 dst_sel:DWORD dst_unused:UNUSED_PAD src0_sel:BYTE_3 src1_sel:DWORD
; %bb.3657:                             ;   in Loop: Header=BB6_3341 Depth=2
	s_or_b64 exec, exec, s[22:23]
	v_lshrrev_b32_e32 v10, 16, v13
	v_cmp_ne_u16_sdwa s[90:91], v10, v53 src0_sel:BYTE_0 src1_sel:DWORD
	v_mov_b32_e32 v11, 0
	s_and_saveexec_b64 s[22:23], s[90:91]
	s_cbranch_execz .LBB6_3663
; %bb.3658:                             ;   in Loop: Header=BB6_3341 Depth=2
	v_cmp_ne_u16_sdwa s[92:93], v10, s53 src0_sel:BYTE_0 src1_sel:DWORD
	v_bfrev_b32_e32 v11, 1
	s_and_saveexec_b64 s[90:91], s[92:93]
	s_cbranch_execz .LBB6_3662
; %bb.3659:                             ;   in Loop: Header=BB6_3341 Depth=2
	v_bfe_u32 v20, v13, 16, 7
	v_cmp_ne_u32_e32 vcc, s51, v20
	v_mov_b32_e32 v11, 0x7f800001
	s_and_saveexec_b64 s[92:93], vcc
	s_cbranch_execz .LBB6_3661
; %bb.3660:                             ;   in Loop: Header=BB6_3341 Depth=2
	v_and_b32_e32 v11, 7, v10
	v_lshrrev_b32_e32 v22, 3, v20
	v_cmp_gt_u32_e32 vcc, 8, v20
	v_ffbh_u32_e32 v20, v11
	v_min_u32_e32 v25, 32, v20
	v_subrev_u32_e32 v20, 28, v25
	v_lshlrev_b64 v[20:21], v20, v[10:11]
	v_sub_u32_e32 v21, 29, v25
	v_and_b32_e32 v20, 7, v20
	v_cndmask_b32_e32 v21, v22, v21, vcc
	v_cndmask_b32_e32 v11, v11, v20, vcc
	v_lshlrev_b32_e32 v10, 24, v10
	v_bfrev_b32_e32 v20, 60
	v_lshlrev_b32_e32 v11, 20, v11
	v_and_b32_e32 v10, 0x80000000, v10
	v_lshl_add_u32 v20, v21, 23, v20
	v_or3_b32 v11, v10, v20, v11
.LBB6_3661:                             ;   in Loop: Header=BB6_3341 Depth=2
	s_or_b64 exec, exec, s[92:93]
.LBB6_3662:                             ;   in Loop: Header=BB6_3341 Depth=2
	s_or_b64 exec, exec, s[90:91]
.LBB6_3663:                             ;   in Loop: Header=BB6_3341 Depth=2
	s_or_b64 exec, exec, s[22:23]
	v_mul_f32_e32 v10, v7, v11
	v_and_b32_e32 v52, 0x7f800000, v10
	v_cmp_ne_u64_e32 vcc, s[56:57], v[52:53]
                                        ; implicit-def: $vgpr25
	s_and_saveexec_b64 s[22:23], vcc
	s_xor_b64 s[90:91], exec, s[22:23]
	s_cbranch_execz .LBB6_3677
; %bb.3664:                             ;   in Loop: Header=BB6_3341 Depth=2
	v_and_b32_e32 v52, 0x7fffffff, v10
	v_cmp_gt_u64_e32 vcc, s[58:59], v[52:53]
	v_and_b32_sdwa v22, v10, s53 dst_sel:DWORD dst_unused:UNUSED_PAD src0_sel:BYTE_3 src1_sel:DWORD
                                        ; implicit-def: $vgpr25
	s_and_saveexec_b64 s[22:23], vcc
	s_xor_b64 s[92:93], exec, s[22:23]
	s_cbranch_execz .LBB6_3674
; %bb.3665:                             ;   in Loop: Header=BB6_3341 Depth=2
	v_mov_b32_e32 v25, 0
	v_cmp_ne_u32_e32 vcc, 0, v10
	s_and_saveexec_b64 s[94:95], vcc
	s_cbranch_execz .LBB6_3673
; %bb.3666:                             ;   in Loop: Header=BB6_3341 Depth=2
	v_bfe_u32 v25, v10, 23, 8
	v_and_b32_e32 v11, 0x7fffff, v10
	v_cmp_gt_u32_e64 s[22:23], s54, v25
	v_sub_u32_e32 v10, 0x79, v25
	v_cmp_eq_u32_e32 vcc, 0, v25
	v_cndmask_b32_e64 v10, 0, v10, s[22:23]
	v_mov_b32_e32 v21, 0x78
	v_cndmask_b32_e32 v28, v10, v21, vcc
	v_or_b32_e32 v20, 0x800000, v11
	v_add_u32_e32 v10, 20, v28
	v_cndmask_b32_e32 v52, v20, v11, vcc
	v_lshlrev_b64 v[10:11], v10, -1
	v_add_u32_e32 v20, 19, v28
	v_lshlrev_b64 v[20:21], v20, 1
	v_bfi_b32 v11, v11, 0, 0
	v_bfi_b32 v10, v10, 0, v52
	v_cmp_eq_u64_e64 s[22:23], v[10:11], v[20:21]
	v_lshrrev_b64 v[10:11], v28, v[52:53]
	v_mov_b32_e32 v21, v11
	v_mov_b32_e32 v20, v10
	s_and_saveexec_b64 s[30:31], s[22:23]
; %bb.3667:                             ;   in Loop: Header=BB6_3341 Depth=2
	v_bfe_u32 v11, v10, 20, 1
	v_add_co_u32_e64 v11, s[22:23], v10, v11
	v_add_co_u32_e64 v20, s[22:23], -1, v11
; %bb.3668:                             ;   in Loop: Header=BB6_3341 Depth=2
	s_or_b64 exec, exec, s[30:31]
	v_add_u32_e32 v11, 0xffffff81, v25
	v_mov_b32_e32 v21, 0xffffff82
	v_cndmask_b32_e32 v11, v11, v21, vcc
	v_lshrrev_b32_e32 v21, 23, v10
	v_add3_u32 v25, v28, v11, v21
	v_add_u32_e32 v21, 6, v25
	v_and_b32_e32 v11, 0xfffff, v20
	v_add_u32_e32 v52, v11, v10
	v_cmp_ne_u32_e32 vcc, 0, v21
                                        ; implicit-def: $vgpr10_vgpr11
                                        ; implicit-def: $vgpr20
	s_and_saveexec_b64 s[22:23], vcc
	s_xor_b64 s[22:23], exec, s[22:23]
; %bb.3669:                             ;   in Loop: Header=BB6_3341 Depth=2
	v_cmp_lt_u64_e32 vcc, s[60:61], v[52:53]
	v_add_u32_e32 v10, 7, v25
	v_cndmask_b32_e32 v20, v21, v10, vcc
	v_cndmask_b32_e64 v10, 0, 1, vcc
	v_lshrrev_b64 v[10:11], v10, v[52:53]
; %bb.3670:                             ;   in Loop: Header=BB6_3341 Depth=2
	s_andn2_saveexec_b64 s[22:23], s[22:23]
; %bb.3671:                             ;   in Loop: Header=BB6_3341 Depth=2
	v_mov_b32_e32 v10, v52
	v_bfe_u32 v20, v52, 23, 1
	v_mov_b32_e32 v11, v53
; %bb.3672:                             ;   in Loop: Header=BB6_3341 Depth=2
	s_or_b64 exec, exec, s[22:23]
	v_lshrrev_b64 v[10:11], 20, v[10:11]
	v_cmp_gt_i32_e32 vcc, 16, v20
	v_cndmask_b32_e32 v11, 0, v11, vcc
	v_cndmask_b32_e32 v10, 7, v10, vcc
	v_cmp_eq_u64_e64 s[22:23], 0, v[10:11]
	v_min_i32_e32 v11, 15, v20
	v_lshlrev_b32_e32 v11, 3, v11
	v_cmp_eq_u32_e32 vcc, 0, v20
	v_and_b32_e32 v11, 0xf8, v11
	v_and_or_b32 v10, v10, 7, v11
	s_and_b64 s[22:23], vcc, s[22:23]
	v_cndmask_b32_e64 v10, v10, 0, s[22:23]
	v_or_b32_e32 v25, v10, v22
.LBB6_3673:                             ;   in Loop: Header=BB6_3341 Depth=2
	s_or_b64 exec, exec, s[94:95]
                                        ; implicit-def: $vgpr22
.LBB6_3674:                             ;   in Loop: Header=BB6_3341 Depth=2
	s_andn2_saveexec_b64 s[22:23], s[92:93]
; %bb.3675:                             ;   in Loop: Header=BB6_3341 Depth=2
	v_or_b32_e32 v25, 0x7e, v22
; %bb.3676:                             ;   in Loop: Header=BB6_3341 Depth=2
	s_or_b64 exec, exec, s[22:23]
                                        ; implicit-def: $vgpr10
.LBB6_3677:                             ;   in Loop: Header=BB6_3341 Depth=2
	s_andn2_saveexec_b64 s[22:23], s[90:91]
; %bb.3678:                             ;   in Loop: Header=BB6_3341 Depth=2
	v_or_b32_sdwa v25, v10, s51 dst_sel:DWORD dst_unused:UNUSED_PAD src0_sel:BYTE_3 src1_sel:DWORD
; %bb.3679:                             ;   in Loop: Header=BB6_3341 Depth=2
	s_or_b64 exec, exec, s[22:23]
	v_cmp_lt_u64_e32 vcc, s[62:63], v[12:13]
	v_mov_b32_e32 v11, 0
	s_and_saveexec_b64 s[22:23], vcc
	s_cbranch_execz .LBB6_3685
; %bb.3680:                             ;   in Loop: Header=BB6_3341 Depth=2
	v_lshrrev_b32_e32 v10, 24, v13
	v_cmp_ne_u32_e32 vcc, s53, v10
	v_bfrev_b32_e32 v11, 1
	s_and_saveexec_b64 s[90:91], vcc
	s_cbranch_execz .LBB6_3684
; %bb.3681:                             ;   in Loop: Header=BB6_3341 Depth=2
	v_bfe_u32 v12, v13, 24, 7
	v_cmp_ne_u32_e32 vcc, s51, v12
	v_mov_b32_e32 v11, 0x7f800001
	s_and_saveexec_b64 s[92:93], vcc
	s_cbranch_execz .LBB6_3683
; %bb.3682:                             ;   in Loop: Header=BB6_3341 Depth=2
	v_and_b32_e32 v13, 7, v10
	v_ffbh_u32_e32 v11, v13
	v_min_u32_e32 v21, 32, v11
	v_subrev_u32_e32 v11, 28, v21
	v_lshrrev_b32_e32 v20, 3, v12
	v_cmp_gt_u32_e32 vcc, 8, v12
	v_lshlrev_b64 v[11:12], v11, v[10:11]
	v_sub_u32_e32 v12, 29, v21
	v_and_b32_e32 v11, 7, v11
	v_cndmask_b32_e32 v12, v20, v12, vcc
	v_cndmask_b32_e32 v11, v13, v11, vcc
	v_lshlrev_b32_e32 v10, 24, v10
	v_bfrev_b32_e32 v13, 60
	v_lshlrev_b32_e32 v11, 20, v11
	v_and_b32_e32 v10, 0x80000000, v10
	v_lshl_add_u32 v12, v12, 23, v13
	v_or3_b32 v11, v10, v12, v11
.LBB6_3683:                             ;   in Loop: Header=BB6_3341 Depth=2
	s_or_b64 exec, exec, s[92:93]
.LBB6_3684:                             ;   in Loop: Header=BB6_3341 Depth=2
	s_or_b64 exec, exec, s[90:91]
.LBB6_3685:                             ;   in Loop: Header=BB6_3341 Depth=2
	s_or_b64 exec, exec, s[22:23]
	v_mul_f32_e32 v10, v7, v11
	v_and_b32_e32 v52, 0x7f800000, v10
	v_cmp_ne_u64_e32 vcc, s[56:57], v[52:53]
                                        ; implicit-def: $vgpr28
	s_and_saveexec_b64 s[22:23], vcc
	s_xor_b64 s[90:91], exec, s[22:23]
	s_cbranch_execz .LBB6_3699
; %bb.3686:                             ;   in Loop: Header=BB6_3341 Depth=2
	v_and_b32_e32 v52, 0x7fffffff, v10
	v_cmp_gt_u64_e32 vcc, s[58:59], v[52:53]
	v_and_b32_sdwa v7, v10, s53 dst_sel:DWORD dst_unused:UNUSED_PAD src0_sel:BYTE_3 src1_sel:DWORD
                                        ; implicit-def: $vgpr28
	s_and_saveexec_b64 s[22:23], vcc
	s_xor_b64 s[92:93], exec, s[22:23]
	s_cbranch_execz .LBB6_3696
; %bb.3687:                             ;   in Loop: Header=BB6_3341 Depth=2
	v_mov_b32_e32 v28, 0
	v_cmp_ne_u32_e32 vcc, 0, v10
	s_and_saveexec_b64 s[94:95], vcc
	s_cbranch_execz .LBB6_3695
; %bb.3688:                             ;   in Loop: Header=BB6_3341 Depth=2
	v_bfe_u32 v13, v10, 23, 8
	v_and_b32_e32 v11, 0x7fffff, v10
	v_cmp_gt_u32_e64 s[22:23], s54, v13
	v_sub_u32_e32 v10, 0x79, v13
	v_cmp_eq_u32_e32 vcc, 0, v13
	v_cndmask_b32_e64 v10, 0, v10, s[22:23]
	v_mov_b32_e32 v20, 0x78
	v_cndmask_b32_e32 v20, v10, v20, vcc
	v_or_b32_e32 v12, 0x800000, v11
	v_add_u32_e32 v10, 20, v20
	v_cndmask_b32_e32 v52, v12, v11, vcc
	v_lshlrev_b64 v[10:11], v10, -1
	v_add_u32_e32 v12, 19, v20
	v_lshlrev_b64 v[21:22], v12, 1
	v_bfi_b32 v11, v11, 0, 0
	v_bfi_b32 v10, v10, 0, v52
	v_cmp_eq_u64_e64 s[22:23], v[10:11], v[21:22]
	v_lshrrev_b64 v[10:11], v20, v[52:53]
	v_mov_b32_e32 v12, v11
	v_mov_b32_e32 v11, v10
	s_and_saveexec_b64 s[30:31], s[22:23]
; %bb.3689:                             ;   in Loop: Header=BB6_3341 Depth=2
	v_bfe_u32 v11, v10, 20, 1
	v_add_co_u32_e64 v11, s[22:23], v10, v11
	v_add_co_u32_e64 v11, s[22:23], -1, v11
; %bb.3690:                             ;   in Loop: Header=BB6_3341 Depth=2
	s_or_b64 exec, exec, s[30:31]
	v_add_u32_e32 v12, 0xffffff81, v13
	v_mov_b32_e32 v13, 0xffffff82
	v_cndmask_b32_e32 v12, v12, v13, vcc
	v_lshrrev_b32_e32 v13, 23, v10
	v_add3_u32 v20, v20, v12, v13
	v_add_u32_e32 v13, 6, v20
	v_and_b32_e32 v11, 0xfffff, v11
	v_add_u32_e32 v52, v11, v10
	v_cmp_ne_u32_e32 vcc, 0, v13
                                        ; implicit-def: $vgpr10_vgpr11
                                        ; implicit-def: $vgpr12
	s_and_saveexec_b64 s[22:23], vcc
	s_xor_b64 s[22:23], exec, s[22:23]
; %bb.3691:                             ;   in Loop: Header=BB6_3341 Depth=2
	v_cmp_lt_u64_e32 vcc, s[60:61], v[52:53]
	v_add_u32_e32 v10, 7, v20
	v_cndmask_b32_e32 v12, v13, v10, vcc
	v_cndmask_b32_e64 v10, 0, 1, vcc
	v_lshrrev_b64 v[10:11], v10, v[52:53]
; %bb.3692:                             ;   in Loop: Header=BB6_3341 Depth=2
	s_andn2_saveexec_b64 s[22:23], s[22:23]
; %bb.3693:                             ;   in Loop: Header=BB6_3341 Depth=2
	v_mov_b32_e32 v10, v52
	v_bfe_u32 v12, v52, 23, 1
	v_mov_b32_e32 v11, v53
; %bb.3694:                             ;   in Loop: Header=BB6_3341 Depth=2
	s_or_b64 exec, exec, s[22:23]
	v_lshrrev_b64 v[10:11], 20, v[10:11]
	v_cmp_gt_i32_e32 vcc, 16, v12
	v_cndmask_b32_e32 v11, 0, v11, vcc
	v_cndmask_b32_e32 v10, 7, v10, vcc
	v_cmp_eq_u64_e64 s[22:23], 0, v[10:11]
	v_min_i32_e32 v11, 15, v12
	v_lshlrev_b32_e32 v11, 3, v11
	v_cmp_eq_u32_e32 vcc, 0, v12
	v_and_b32_e32 v11, 0xf8, v11
	v_and_or_b32 v10, v10, 7, v11
	s_and_b64 s[22:23], vcc, s[22:23]
	v_cndmask_b32_e64 v10, v10, 0, s[22:23]
	v_or_b32_e32 v28, v10, v7
.LBB6_3695:                             ;   in Loop: Header=BB6_3341 Depth=2
	s_or_b64 exec, exec, s[94:95]
                                        ; implicit-def: $vgpr7
.LBB6_3696:                             ;   in Loop: Header=BB6_3341 Depth=2
	s_andn2_saveexec_b64 s[22:23], s[92:93]
; %bb.3697:                             ;   in Loop: Header=BB6_3341 Depth=2
	v_or_b32_e32 v28, 0x7e, v7
; %bb.3698:                             ;   in Loop: Header=BB6_3341 Depth=2
	s_or_b64 exec, exec, s[22:23]
                                        ; implicit-def: $vgpr10
.LBB6_3699:                             ;   in Loop: Header=BB6_3341 Depth=2
	s_andn2_saveexec_b64 s[22:23], s[90:91]
; %bb.3700:                             ;   in Loop: Header=BB6_3341 Depth=2
	v_or_b32_sdwa v28, v10, s51 dst_sel:DWORD dst_unused:UNUSED_PAD src0_sel:BYTE_3 src1_sel:DWORD
; %bb.3701:                             ;   in Loop: Header=BB6_3341 Depth=2
	s_or_b64 exec, exec, s[22:23]
	v_lshl_or_b32 v7, v24, 8, v6
	v_lshlrev_b32_e32 v10, 16, v29
	v_lshlrev_b32_e32 v11, 24, v35
	v_or3_b32 v52, v10, v11, v7
	global_load_dwordx4 v[10:13], v[16:17], off glc slc
	v_cmp_ne_u32_e32 vcc, 0, v6
	v_mov_b32_e32 v20, 0
	s_and_saveexec_b64 s[22:23], vcc
	s_cbranch_execz .LBB6_3707
; %bb.3702:                             ;   in Loop: Header=BB6_3341 Depth=2
	v_cmp_ne_u32_e32 vcc, s53, v6
	v_bfrev_b32_e32 v20, 1
	s_and_saveexec_b64 s[90:91], vcc
	s_cbranch_execz .LBB6_3706
; %bb.3703:                             ;   in Loop: Header=BB6_3341 Depth=2
	v_and_b32_e32 v21, 0x7f, v6
	v_cmp_ne_u32_e32 vcc, s51, v21
	v_mov_b32_e32 v20, 0x7f800001
	s_and_saveexec_b64 s[92:93], vcc
	s_cbranch_execz .LBB6_3705
; %bb.3704:                             ;   in Loop: Header=BB6_3341 Depth=2
	v_and_b32_e32 v6, 7, v6
	v_ffbh_u32_e32 v6, v6
	v_min_u32_e32 v6, 32, v6
	v_lshrrev_b32_e32 v20, 3, v21
	v_cmp_gt_u32_e32 vcc, 8, v21
	v_subrev_u32_e32 v21, 28, v6
	v_sub_u32_e32 v6, 29, v6
	v_cndmask_b32_e32 v6, v20, v6, vcc
	v_cndmask_b32_e32 v20, 0, v21, vcc
	v_lshlrev_b64 v[20:21], v20, v[52:53]
	v_lshlrev_b32_e32 v21, 24, v52
	v_lshlrev_b32_e32 v20, 20, v20
	v_bfrev_b32_e32 v22, 60
	v_and_b32_e32 v20, 0x700000, v20
	v_and_b32_e32 v21, 0x80000000, v21
	v_lshl_add_u32 v6, v6, 23, v22
	v_or3_b32 v20, v21, v6, v20
.LBB6_3705:                             ;   in Loop: Header=BB6_3341 Depth=2
	s_or_b64 exec, exec, s[92:93]
.LBB6_3706:                             ;   in Loop: Header=BB6_3341 Depth=2
	s_or_b64 exec, exec, s[90:91]
.LBB6_3707:                             ;   in Loop: Header=BB6_3341 Depth=2
	s_or_b64 exec, exec, s[22:23]
	s_waitcnt vmcnt(0)
	v_cmp_gt_i16_sdwa s[90:91], v10, s51 src0_sel:BYTE_0 src1_sel:DWORD
	s_mov_b64 s[22:23], 0
	s_and_saveexec_b64 s[92:93], s[90:91]
	s_xor_b64 s[90:91], exec, s[92:93]
	s_cbranch_execnz .LBB6_4109
; %bb.3708:                             ;   in Loop: Header=BB6_3341 Depth=2
	s_or_saveexec_b64 s[90:91], s[90:91]
	v_bfrev_b32_e32 v6, 1
	s_xor_b64 exec, exec, s[90:91]
	s_cbranch_execnz .LBB6_4112
.LBB6_3709:                             ;   in Loop: Header=BB6_3341 Depth=2
	s_or_b64 exec, exec, s[90:91]
	s_and_saveexec_b64 s[90:91], s[22:23]
	s_cbranch_execz .LBB6_3711
.LBB6_3710:                             ;   in Loop: Header=BB6_3341 Depth=2
	v_and_b32_e32 v6, 7, v10
	v_ffbh_u32_e32 v6, v6
	v_and_b32_e32 v24, 0x7f, v10
	v_min_u32_e32 v6, 32, v6
	v_bfe_u32 v21, v10, 3, 4
	v_subrev_u32_e32 v22, 28, v6
	v_sub_u32_e32 v6, 29, v6
	v_cmp_gt_u32_e32 vcc, 8, v24
	v_cndmask_b32_e32 v6, v21, v6, vcc
	v_cndmask_b32_e32 v21, 0, v22, vcc
	v_lshlrev_b64 v[21:22], v21, v[10:11]
	v_lshlrev_b32_e32 v22, 24, v10
	v_lshlrev_b32_e32 v21, 20, v21
	v_bfrev_b32_e32 v26, 60
	v_and_b32_e32 v21, 0x700000, v21
	v_and_b32_e32 v22, 0x80000000, v22
	v_lshl_add_u32 v6, v6, 23, v26
	v_or3_b32 v6, v22, v6, v21
	v_cmp_ne_u32_e32 vcc, s51, v24
	v_mov_b32_e32 v21, 0x7f800001
	v_cndmask_b32_e32 v6, v21, v6, vcc
.LBB6_3711:                             ;   in Loop: Header=BB6_3341 Depth=2
	s_or_b64 exec, exec, s[90:91]
	v_add_f32_e32 v20, v20, v6
	v_and_b32_e32 v21, 0x7f800000, v20
	v_mov_b32_e32 v22, v53
	v_cmp_ne_u64_e32 vcc, s[56:57], v[21:22]
                                        ; implicit-def: $vgpr6
	s_and_saveexec_b64 s[22:23], vcc
	s_xor_b64 s[90:91], exec, s[22:23]
	s_cbranch_execz .LBB6_3725
; %bb.3712:                             ;   in Loop: Header=BB6_3341 Depth=2
	v_and_b32_e32 v21, 0x7fffffff, v20
	v_mov_b32_e32 v22, v53
	v_cmp_gt_u64_e32 vcc, s[58:59], v[21:22]
	v_and_b32_sdwa v24, v20, s53 dst_sel:DWORD dst_unused:UNUSED_PAD src0_sel:BYTE_3 src1_sel:DWORD
                                        ; implicit-def: $vgpr6
	s_and_saveexec_b64 s[22:23], vcc
	s_xor_b64 s[92:93], exec, s[22:23]
	s_cbranch_execz .LBB6_3722
; %bb.3713:                             ;   in Loop: Header=BB6_3341 Depth=2
	v_mov_b32_e32 v6, 0
	v_cmp_ne_u32_e32 vcc, 0, v20
	s_and_saveexec_b64 s[94:95], vcc
	s_cbranch_execz .LBB6_3721
; %bb.3714:                             ;   in Loop: Header=BB6_3341 Depth=2
	v_bfe_u32 v6, v20, 23, 8
	v_and_b32_e32 v21, 0x7fffff, v20
	v_cmp_gt_u32_e64 s[22:23], s54, v6
	v_sub_u32_e32 v20, 0x79, v6
	v_cmp_eq_u32_e32 vcc, 0, v6
	v_cndmask_b32_e64 v20, 0, v20, s[22:23]
	v_mov_b32_e32 v29, 0x78
	v_or_b32_e32 v22, 0x800000, v21
	v_cndmask_b32_e32 v29, v20, v29, vcc
	v_cndmask_b32_e32 v20, v22, v21, vcc
	v_add_u32_e32 v22, 20, v29
	v_lshlrev_b64 v[35:36], v22, -1
	v_mov_b32_e32 v21, v53
	v_add_u32_e32 v22, 19, v29
	v_bfi_b32 v35, v35, 0, v20
	v_lshlrev_b64 v[37:38], v22, 1
	v_lshrrev_b64 v[20:21], v29, v[20:21]
	v_bfi_b32 v36, v36, 0, 0
	v_cmp_eq_u64_e64 s[22:23], v[35:36], v[37:38]
	v_mov_b32_e32 v22, v21
	v_mov_b32_e32 v21, v20
	s_and_saveexec_b64 s[30:31], s[22:23]
; %bb.3715:                             ;   in Loop: Header=BB6_3341 Depth=2
	v_bfe_u32 v21, v20, 20, 1
	v_add_co_u32_e64 v21, s[22:23], v20, v21
	v_add_co_u32_e64 v21, s[22:23], -1, v21
; %bb.3716:                             ;   in Loop: Header=BB6_3341 Depth=2
	s_or_b64 exec, exec, s[30:31]
	v_add_u32_e32 v6, 0xffffff81, v6
	v_mov_b32_e32 v22, 0xffffff82
	v_cndmask_b32_e32 v6, v6, v22, vcc
	v_lshrrev_b32_e32 v22, 23, v20
	v_add3_u32 v29, v29, v6, v22
	v_add_u32_e32 v22, 6, v29
	v_and_b32_e32 v6, 0xfffff, v21
	v_add_u32_e32 v20, v6, v20
	v_mov_b32_e32 v21, v53
	v_cmp_ne_u32_e32 vcc, 0, v22
                                        ; implicit-def: $vgpr6
	s_and_saveexec_b64 s[22:23], vcc
	s_xor_b64 s[22:23], exec, s[22:23]
; %bb.3717:                             ;   in Loop: Header=BB6_3341 Depth=2
	v_cmp_lt_u64_e32 vcc, s[60:61], v[20:21]
	v_add_u32_e32 v6, 7, v29
	v_cndmask_b32_e32 v6, v22, v6, vcc
	v_cndmask_b32_e64 v22, 0, 1, vcc
	v_lshrrev_b64 v[20:21], v22, v[20:21]
; %bb.3718:                             ;   in Loop: Header=BB6_3341 Depth=2
	s_andn2_saveexec_b64 s[22:23], s[22:23]
; %bb.3719:                             ;   in Loop: Header=BB6_3341 Depth=2
	v_bfe_u32 v6, v20, 23, 1
; %bb.3720:                             ;   in Loop: Header=BB6_3341 Depth=2
	s_or_b64 exec, exec, s[22:23]
	v_lshrrev_b64 v[20:21], 20, v[20:21]
	v_cmp_gt_i32_e32 vcc, 16, v6
	v_cndmask_b32_e32 v21, 0, v21, vcc
	v_cndmask_b32_e32 v20, 7, v20, vcc
	v_cmp_eq_u32_e32 vcc, 0, v6
	v_min_i32_e32 v6, 15, v6
	v_cmp_eq_u64_e64 s[22:23], 0, v[20:21]
	v_lshlrev_b32_e32 v6, 3, v6
	v_and_b32_e32 v6, 0xf8, v6
	v_and_or_b32 v6, v20, 7, v6
	s_and_b64 s[22:23], vcc, s[22:23]
	v_cndmask_b32_e64 v6, v6, 0, s[22:23]
	v_or_b32_e32 v6, v6, v24
.LBB6_3721:                             ;   in Loop: Header=BB6_3341 Depth=2
	s_or_b64 exec, exec, s[94:95]
                                        ; implicit-def: $vgpr24
.LBB6_3722:                             ;   in Loop: Header=BB6_3341 Depth=2
	s_andn2_saveexec_b64 s[22:23], s[92:93]
; %bb.3723:                             ;   in Loop: Header=BB6_3341 Depth=2
	v_or_b32_e32 v6, 0x7e, v24
; %bb.3724:                             ;   in Loop: Header=BB6_3341 Depth=2
	s_or_b64 exec, exec, s[22:23]
                                        ; implicit-def: $vgpr20
.LBB6_3725:                             ;   in Loop: Header=BB6_3341 Depth=2
	s_andn2_saveexec_b64 s[22:23], s[90:91]
; %bb.3726:                             ;   in Loop: Header=BB6_3341 Depth=2
	v_or_b32_sdwa v6, v20, s51 dst_sel:DWORD dst_unused:UNUSED_PAD src0_sel:BYTE_3 src1_sel:DWORD
; %bb.3727:                             ;   in Loop: Header=BB6_3341 Depth=2
	s_or_b64 exec, exec, s[22:23]
	v_lshrrev_b16_e32 v20, 8, v7
	v_cmp_ne_u16_e32 vcc, 0, v20
	v_mov_b32_e32 v22, 0
	s_and_saveexec_b64 s[22:23], vcc
	s_cbranch_execz .LBB6_3733
; %bb.3728:                             ;   in Loop: Header=BB6_3341 Depth=2
	v_cmp_ne_u16_e32 vcc, s53, v20
	v_bfrev_b32_e32 v22, 1
	s_and_saveexec_b64 s[90:91], vcc
	s_cbranch_execz .LBB6_3732
; %bb.3729:                             ;   in Loop: Header=BB6_3341 Depth=2
	v_and_b32_e32 v21, 0x7f, v20
	v_cmp_ne_u32_e32 vcc, s51, v21
	v_mov_b32_e32 v22, 0x7f800001
	s_and_saveexec_b64 s[92:93], vcc
	s_cbranch_execz .LBB6_3731
; %bb.3730:                             ;   in Loop: Header=BB6_3341 Depth=2
	v_and_b32_e32 v22, 7, v20
	v_lshrrev_b32_e32 v24, 3, v21
	v_cmp_gt_u32_e32 vcc, 8, v21
	v_ffbh_u32_e32 v21, v22
	v_min_u32_e32 v29, 32, v21
	v_subrev_u32_e32 v21, 28, v29
	v_lshlrev_b64 v[20:21], v21, v[20:21]
	v_sub_u32_e32 v21, 29, v29
	v_and_b32_e32 v20, 7, v20
	v_cndmask_b32_e32 v21, v24, v21, vcc
	v_cndmask_b32_e32 v20, v22, v20, vcc
	v_lshlrev_b32_e32 v7, 16, v7
	v_bfrev_b32_e32 v22, 60
	v_lshlrev_b32_e32 v20, 20, v20
	v_and_b32_e32 v7, 0x80000000, v7
	v_lshl_add_u32 v21, v21, 23, v22
	v_or3_b32 v22, v7, v21, v20
.LBB6_3731:                             ;   in Loop: Header=BB6_3341 Depth=2
	s_or_b64 exec, exec, s[92:93]
.LBB6_3732:                             ;   in Loop: Header=BB6_3341 Depth=2
	s_or_b64 exec, exec, s[90:91]
.LBB6_3733:                             ;   in Loop: Header=BB6_3341 Depth=2
	s_or_b64 exec, exec, s[22:23]
	v_lshrrev_b16_e32 v20, 8, v10
	v_cmp_lt_i16_e32 vcc, s51, v20
	s_mov_b64 s[22:23], 0
	s_and_saveexec_b64 s[90:91], vcc
	s_xor_b64 s[90:91], exec, s[90:91]
	s_cbranch_execnz .LBB6_4113
; %bb.3734:                             ;   in Loop: Header=BB6_3341 Depth=2
	s_or_saveexec_b64 s[90:91], s[90:91]
	v_bfrev_b32_e32 v7, 1
	s_xor_b64 exec, exec, s[90:91]
	s_cbranch_execnz .LBB6_4116
.LBB6_3735:                             ;   in Loop: Header=BB6_3341 Depth=2
	s_or_b64 exec, exec, s[90:91]
	s_and_saveexec_b64 s[90:91], s[22:23]
	s_cbranch_execz .LBB6_3737
.LBB6_3736:                             ;   in Loop: Header=BB6_3341 Depth=2
	v_and_b32_e32 v7, 7, v20
	v_ffbh_u32_e32 v35, v7
	v_min_u32_e32 v37, 32, v35
	v_mov_b32_e32 v21, v53
	v_subrev_u32_e32 v35, 28, v37
	v_lshlrev_b64 v[35:36], v35, v[20:21]
	v_and_b32_e32 v24, 0x7f, v20
	v_bfe_u32 v29, v20, 3, 4
	v_sub_u32_e32 v21, 29, v37
	v_and_b32_e32 v35, 7, v35
	v_cmp_gt_u32_e32 vcc, 8, v24
	v_cndmask_b32_e32 v21, v29, v21, vcc
	v_cndmask_b32_e32 v7, v7, v35, vcc
	v_lshlrev_b32_e32 v20, 24, v20
	v_bfrev_b32_e32 v26, 60
	v_lshlrev_b32_e32 v7, 20, v7
	v_and_b32_e32 v20, 0x80000000, v20
	v_lshl_add_u32 v21, v21, 23, v26
	v_or3_b32 v7, v20, v21, v7
	v_cmp_ne_u32_e32 vcc, s51, v24
	v_mov_b32_e32 v20, 0x7f800001
	v_cndmask_b32_e32 v7, v20, v7, vcc
.LBB6_3737:                             ;   in Loop: Header=BB6_3341 Depth=2
	s_or_b64 exec, exec, s[90:91]
	v_add_f32_e32 v20, v22, v7
	v_and_b32_e32 v21, 0x7f800000, v20
	v_mov_b32_e32 v22, v53
	v_cmp_ne_u64_e32 vcc, s[56:57], v[21:22]
                                        ; implicit-def: $vgpr7
	s_and_saveexec_b64 s[22:23], vcc
	s_xor_b64 s[90:91], exec, s[22:23]
	s_cbranch_execz .LBB6_3751
; %bb.3738:                             ;   in Loop: Header=BB6_3341 Depth=2
	v_and_b32_e32 v21, 0x7fffffff, v20
	v_mov_b32_e32 v22, v53
	v_cmp_gt_u64_e32 vcc, s[58:59], v[21:22]
	v_and_b32_sdwa v24, v20, s53 dst_sel:DWORD dst_unused:UNUSED_PAD src0_sel:BYTE_3 src1_sel:DWORD
                                        ; implicit-def: $vgpr7
	s_and_saveexec_b64 s[22:23], vcc
	s_xor_b64 s[92:93], exec, s[22:23]
	s_cbranch_execz .LBB6_3748
; %bb.3739:                             ;   in Loop: Header=BB6_3341 Depth=2
	v_mov_b32_e32 v7, 0
	v_cmp_ne_u32_e32 vcc, 0, v20
	s_and_saveexec_b64 s[94:95], vcc
	s_cbranch_execz .LBB6_3747
; %bb.3740:                             ;   in Loop: Header=BB6_3341 Depth=2
	v_bfe_u32 v7, v20, 23, 8
	v_and_b32_e32 v21, 0x7fffff, v20
	v_cmp_gt_u32_e64 s[22:23], s54, v7
	v_sub_u32_e32 v20, 0x79, v7
	v_cmp_eq_u32_e32 vcc, 0, v7
	v_cndmask_b32_e64 v20, 0, v20, s[22:23]
	v_mov_b32_e32 v29, 0x78
	v_or_b32_e32 v22, 0x800000, v21
	v_cndmask_b32_e32 v29, v20, v29, vcc
	v_cndmask_b32_e32 v20, v22, v21, vcc
	v_add_u32_e32 v22, 20, v29
	v_lshlrev_b64 v[35:36], v22, -1
	v_mov_b32_e32 v21, v53
	v_add_u32_e32 v22, 19, v29
	v_bfi_b32 v35, v35, 0, v20
	v_lshlrev_b64 v[37:38], v22, 1
	v_lshrrev_b64 v[20:21], v29, v[20:21]
	v_bfi_b32 v36, v36, 0, 0
	v_cmp_eq_u64_e64 s[22:23], v[35:36], v[37:38]
	v_mov_b32_e32 v22, v21
	v_mov_b32_e32 v21, v20
	s_and_saveexec_b64 s[30:31], s[22:23]
; %bb.3741:                             ;   in Loop: Header=BB6_3341 Depth=2
	v_bfe_u32 v21, v20, 20, 1
	v_add_co_u32_e64 v21, s[22:23], v20, v21
	v_add_co_u32_e64 v21, s[22:23], -1, v21
; %bb.3742:                             ;   in Loop: Header=BB6_3341 Depth=2
	s_or_b64 exec, exec, s[30:31]
	v_add_u32_e32 v7, 0xffffff81, v7
	v_mov_b32_e32 v22, 0xffffff82
	v_cndmask_b32_e32 v7, v7, v22, vcc
	v_lshrrev_b32_e32 v22, 23, v20
	v_add3_u32 v29, v29, v7, v22
	v_add_u32_e32 v22, 6, v29
	v_and_b32_e32 v7, 0xfffff, v21
	v_add_u32_e32 v20, v7, v20
	v_mov_b32_e32 v21, v53
	v_cmp_ne_u32_e32 vcc, 0, v22
                                        ; implicit-def: $vgpr7
	s_and_saveexec_b64 s[22:23], vcc
	s_xor_b64 s[22:23], exec, s[22:23]
; %bb.3743:                             ;   in Loop: Header=BB6_3341 Depth=2
	v_cmp_lt_u64_e32 vcc, s[60:61], v[20:21]
	v_add_u32_e32 v7, 7, v29
	v_cndmask_b32_e32 v7, v22, v7, vcc
	v_cndmask_b32_e64 v22, 0, 1, vcc
	v_lshrrev_b64 v[20:21], v22, v[20:21]
; %bb.3744:                             ;   in Loop: Header=BB6_3341 Depth=2
	s_andn2_saveexec_b64 s[22:23], s[22:23]
; %bb.3745:                             ;   in Loop: Header=BB6_3341 Depth=2
	v_bfe_u32 v7, v20, 23, 1
; %bb.3746:                             ;   in Loop: Header=BB6_3341 Depth=2
	s_or_b64 exec, exec, s[22:23]
	v_lshrrev_b64 v[20:21], 20, v[20:21]
	v_cmp_gt_i32_e32 vcc, 16, v7
	v_cndmask_b32_e32 v21, 0, v21, vcc
	v_cndmask_b32_e32 v20, 7, v20, vcc
	v_cmp_eq_u32_e32 vcc, 0, v7
	v_min_i32_e32 v7, 15, v7
	v_cmp_eq_u64_e64 s[22:23], 0, v[20:21]
	v_lshlrev_b32_e32 v7, 3, v7
	v_and_b32_e32 v7, 0xf8, v7
	v_and_or_b32 v7, v20, 7, v7
	s_and_b64 s[22:23], vcc, s[22:23]
	v_cndmask_b32_e64 v7, v7, 0, s[22:23]
	v_or_b32_e32 v7, v7, v24
.LBB6_3747:                             ;   in Loop: Header=BB6_3341 Depth=2
	s_or_b64 exec, exec, s[94:95]
                                        ; implicit-def: $vgpr24
.LBB6_3748:                             ;   in Loop: Header=BB6_3341 Depth=2
	s_andn2_saveexec_b64 s[22:23], s[92:93]
; %bb.3749:                             ;   in Loop: Header=BB6_3341 Depth=2
	v_or_b32_e32 v7, 0x7e, v24
; %bb.3750:                             ;   in Loop: Header=BB6_3341 Depth=2
	s_or_b64 exec, exec, s[22:23]
                                        ; implicit-def: $vgpr20
.LBB6_3751:                             ;   in Loop: Header=BB6_3341 Depth=2
	s_andn2_saveexec_b64 s[22:23], s[90:91]
; %bb.3752:                             ;   in Loop: Header=BB6_3341 Depth=2
	v_or_b32_sdwa v7, v20, s51 dst_sel:DWORD dst_unused:UNUSED_PAD src0_sel:BYTE_3 src1_sel:DWORD
; %bb.3753:                             ;   in Loop: Header=BB6_3341 Depth=2
	s_or_b64 exec, exec, s[22:23]
	v_and_b32_sdwa v22, v52, s52 dst_sel:DWORD dst_unused:UNUSED_PAD src0_sel:WORD_1 src1_sel:DWORD
	v_lshrrev_b32_e32 v20, 16, v52
	v_cmp_ne_u16_e32 vcc, 0, v22
	v_mov_b32_e32 v21, 0
	s_and_saveexec_b64 s[22:23], vcc
	s_cbranch_execz .LBB6_3759
; %bb.3754:                             ;   in Loop: Header=BB6_3341 Depth=2
	v_cmp_ne_u16_e32 vcc, s53, v22
	v_bfrev_b32_e32 v21, 1
	s_and_saveexec_b64 s[90:91], vcc
	s_cbranch_execz .LBB6_3758
; %bb.3755:                             ;   in Loop: Header=BB6_3341 Depth=2
	v_bfe_u32 v22, v52, 16, 7
	v_cmp_ne_u32_e32 vcc, s51, v22
	v_mov_b32_e32 v21, 0x7f800001
	s_and_saveexec_b64 s[92:93], vcc
	s_cbranch_execz .LBB6_3757
; %bb.3756:                             ;   in Loop: Header=BB6_3341 Depth=2
	v_and_b32_e32 v24, 7, v20
	v_ffbh_u32_e32 v21, v24
	v_lshrrev_b32_e32 v29, 3, v22
	v_cmp_gt_u32_e32 vcc, 8, v22
	v_min_u32_e32 v22, 32, v21
	v_subrev_u32_e32 v21, 28, v22
	v_lshlrev_b64 v[20:21], v21, v[20:21]
	v_sub_u32_e32 v21, 29, v22
	v_and_b32_e32 v20, 7, v20
	v_mov_b32_e32 v22, 24
	v_cndmask_b32_e32 v21, v29, v21, vcc
	v_cndmask_b32_e32 v20, v24, v20, vcc
	v_lshlrev_b32_sdwa v22, v22, v52 dst_sel:DWORD dst_unused:UNUSED_PAD src0_sel:DWORD src1_sel:WORD_1
	v_bfrev_b32_e32 v24, 60
	v_lshlrev_b32_e32 v20, 20, v20
	v_and_b32_e32 v22, 0x80000000, v22
	v_lshl_add_u32 v21, v21, 23, v24
	v_or3_b32 v21, v22, v21, v20
.LBB6_3757:                             ;   in Loop: Header=BB6_3341 Depth=2
	s_or_b64 exec, exec, s[92:93]
.LBB6_3758:                             ;   in Loop: Header=BB6_3341 Depth=2
	s_or_b64 exec, exec, s[90:91]
.LBB6_3759:                             ;   in Loop: Header=BB6_3341 Depth=2
	s_or_b64 exec, exec, s[22:23]
	v_lshrrev_b32_e32 v20, 16, v10
	v_cmp_gt_i16_sdwa s[90:91], v20, s51 src0_sel:BYTE_0 src1_sel:DWORD
	s_mov_b64 s[22:23], 0
	s_and_saveexec_b64 s[92:93], s[90:91]
	s_xor_b64 s[90:91], exec, s[92:93]
	s_cbranch_execnz .LBB6_4117
; %bb.3760:                             ;   in Loop: Header=BB6_3341 Depth=2
	s_or_saveexec_b64 s[90:91], s[90:91]
	v_bfrev_b32_e32 v22, 1
	s_xor_b64 exec, exec, s[90:91]
	s_cbranch_execnz .LBB6_4120
.LBB6_3761:                             ;   in Loop: Header=BB6_3341 Depth=2
	s_or_b64 exec, exec, s[90:91]
	s_and_saveexec_b64 s[90:91], s[22:23]
	s_cbranch_execz .LBB6_3763
.LBB6_3762:                             ;   in Loop: Header=BB6_3341 Depth=2
	v_and_b32_e32 v22, 7, v20
	v_ffbh_u32_e32 v35, v22
	v_min_u32_e32 v37, 32, v35
	v_subrev_u32_e32 v35, 28, v37
	v_lshlrev_b64 v[35:36], v35, v[20:21]
	v_and_b32_e32 v24, 0x7f, v20
	v_bfe_u32 v29, v20, 3, 4
	v_sub_u32_e32 v36, 29, v37
	v_and_b32_e32 v35, 7, v35
	v_cmp_gt_u32_e32 vcc, 8, v24
	v_cndmask_b32_e32 v29, v29, v36, vcc
	v_cndmask_b32_e32 v22, v22, v35, vcc
	v_lshlrev_b32_e32 v20, 24, v20
	v_bfrev_b32_e32 v26, 60
	v_lshlrev_b32_e32 v22, 20, v22
	v_and_b32_e32 v20, 0x80000000, v20
	v_lshl_add_u32 v29, v29, 23, v26
	v_or3_b32 v20, v20, v29, v22
	v_cmp_ne_u32_e32 vcc, s51, v24
	v_mov_b32_e32 v22, 0x7f800001
	v_cndmask_b32_e32 v22, v22, v20, vcc
.LBB6_3763:                             ;   in Loop: Header=BB6_3341 Depth=2
	s_or_b64 exec, exec, s[90:91]
	v_add_f32_e32 v20, v21, v22
	v_and_b32_e32 v21, 0x7f800000, v20
	v_mov_b32_e32 v22, v53
	v_cmp_ne_u64_e32 vcc, s[56:57], v[21:22]
                                        ; implicit-def: $vgpr24
	s_and_saveexec_b64 s[22:23], vcc
	s_xor_b64 s[90:91], exec, s[22:23]
	s_cbranch_execz .LBB6_3777
; %bb.3764:                             ;   in Loop: Header=BB6_3341 Depth=2
	v_and_b32_e32 v21, 0x7fffffff, v20
	v_mov_b32_e32 v22, v53
	v_cmp_gt_u64_e32 vcc, s[58:59], v[21:22]
	v_and_b32_sdwa v29, v20, s53 dst_sel:DWORD dst_unused:UNUSED_PAD src0_sel:BYTE_3 src1_sel:DWORD
                                        ; implicit-def: $vgpr24
	s_and_saveexec_b64 s[22:23], vcc
	s_xor_b64 s[92:93], exec, s[22:23]
	s_cbranch_execz .LBB6_3774
; %bb.3765:                             ;   in Loop: Header=BB6_3341 Depth=2
	v_mov_b32_e32 v24, 0
	v_cmp_ne_u32_e32 vcc, 0, v20
	s_and_saveexec_b64 s[94:95], vcc
	s_cbranch_execz .LBB6_3773
; %bb.3766:                             ;   in Loop: Header=BB6_3341 Depth=2
	v_bfe_u32 v24, v20, 23, 8
	v_and_b32_e32 v21, 0x7fffff, v20
	v_cmp_gt_u32_e64 s[22:23], s54, v24
	v_sub_u32_e32 v20, 0x79, v24
	v_cmp_eq_u32_e32 vcc, 0, v24
	v_cndmask_b32_e64 v20, 0, v20, s[22:23]
	v_mov_b32_e32 v35, 0x78
	v_or_b32_e32 v22, 0x800000, v21
	v_cndmask_b32_e32 v35, v20, v35, vcc
	v_cndmask_b32_e32 v20, v22, v21, vcc
	v_add_u32_e32 v22, 20, v35
	v_lshlrev_b64 v[36:37], v22, -1
	v_mov_b32_e32 v21, v53
	v_add_u32_e32 v22, 19, v35
	v_bfi_b32 v36, v36, 0, v20
	v_lshlrev_b64 v[38:39], v22, 1
	v_lshrrev_b64 v[20:21], v35, v[20:21]
	v_bfi_b32 v37, v37, 0, 0
	v_cmp_eq_u64_e64 s[22:23], v[36:37], v[38:39]
	v_mov_b32_e32 v22, v21
	v_mov_b32_e32 v21, v20
	s_and_saveexec_b64 s[30:31], s[22:23]
; %bb.3767:                             ;   in Loop: Header=BB6_3341 Depth=2
	v_bfe_u32 v21, v20, 20, 1
	v_add_co_u32_e64 v21, s[22:23], v20, v21
	v_add_co_u32_e64 v21, s[22:23], -1, v21
; %bb.3768:                             ;   in Loop: Header=BB6_3341 Depth=2
	s_or_b64 exec, exec, s[30:31]
	v_add_u32_e32 v22, 0xffffff81, v24
	v_mov_b32_e32 v24, 0xffffff82
	v_cndmask_b32_e32 v22, v22, v24, vcc
	v_lshrrev_b32_e32 v24, 23, v20
	v_add3_u32 v35, v35, v22, v24
	v_add_u32_e32 v24, 6, v35
	v_and_b32_e32 v21, 0xfffff, v21
	v_add_u32_e32 v20, v21, v20
	v_mov_b32_e32 v21, v53
	v_cmp_ne_u32_e32 vcc, 0, v24
                                        ; implicit-def: $vgpr22
	s_and_saveexec_b64 s[22:23], vcc
	s_xor_b64 s[22:23], exec, s[22:23]
; %bb.3769:                             ;   in Loop: Header=BB6_3341 Depth=2
	v_cmp_lt_u64_e32 vcc, s[60:61], v[20:21]
	v_add_u32_e32 v22, 7, v35
	v_cndmask_b32_e32 v22, v24, v22, vcc
	v_cndmask_b32_e64 v24, 0, 1, vcc
	v_lshrrev_b64 v[20:21], v24, v[20:21]
; %bb.3770:                             ;   in Loop: Header=BB6_3341 Depth=2
	s_andn2_saveexec_b64 s[22:23], s[22:23]
; %bb.3771:                             ;   in Loop: Header=BB6_3341 Depth=2
	v_bfe_u32 v22, v20, 23, 1
; %bb.3772:                             ;   in Loop: Header=BB6_3341 Depth=2
	s_or_b64 exec, exec, s[22:23]
	v_lshrrev_b64 v[20:21], 20, v[20:21]
	v_cmp_gt_i32_e32 vcc, 16, v22
	v_cndmask_b32_e32 v21, 0, v21, vcc
	v_cndmask_b32_e32 v20, 7, v20, vcc
	v_cmp_eq_u64_e64 s[22:23], 0, v[20:21]
	v_min_i32_e32 v21, 15, v22
	v_lshlrev_b32_e32 v21, 3, v21
	v_cmp_eq_u32_e32 vcc, 0, v22
	v_and_b32_e32 v21, 0xf8, v21
	v_and_or_b32 v20, v20, 7, v21
	s_and_b64 s[22:23], vcc, s[22:23]
	v_cndmask_b32_e64 v20, v20, 0, s[22:23]
	v_or_b32_e32 v24, v20, v29
.LBB6_3773:                             ;   in Loop: Header=BB6_3341 Depth=2
	s_or_b64 exec, exec, s[94:95]
                                        ; implicit-def: $vgpr29
.LBB6_3774:                             ;   in Loop: Header=BB6_3341 Depth=2
	s_andn2_saveexec_b64 s[22:23], s[92:93]
; %bb.3775:                             ;   in Loop: Header=BB6_3341 Depth=2
	v_or_b32_e32 v24, 0x7e, v29
; %bb.3776:                             ;   in Loop: Header=BB6_3341 Depth=2
	s_or_b64 exec, exec, s[22:23]
                                        ; implicit-def: $vgpr20
.LBB6_3777:                             ;   in Loop: Header=BB6_3341 Depth=2
	s_andn2_saveexec_b64 s[22:23], s[90:91]
; %bb.3778:                             ;   in Loop: Header=BB6_3341 Depth=2
	v_or_b32_sdwa v24, v20, s51 dst_sel:DWORD dst_unused:UNUSED_PAD src0_sel:BYTE_3 src1_sel:DWORD
; %bb.3779:                             ;   in Loop: Header=BB6_3341 Depth=2
	s_or_b64 exec, exec, s[22:23]
	v_cmp_lt_u32_e32 vcc, s63, v52
	v_mov_b32_e32 v21, 0
	s_and_saveexec_b64 s[22:23], vcc
	s_cbranch_execz .LBB6_3785
; %bb.3780:                             ;   in Loop: Header=BB6_3341 Depth=2
	v_lshrrev_b32_e32 v20, 24, v52
	v_cmp_ne_u32_e32 vcc, s53, v20
	v_bfrev_b32_e32 v21, 1
	s_and_saveexec_b64 s[90:91], vcc
	s_cbranch_execz .LBB6_3784
; %bb.3781:                             ;   in Loop: Header=BB6_3341 Depth=2
	v_bfe_u32 v22, v52, 24, 7
	v_cmp_ne_u32_e32 vcc, s51, v22
	v_mov_b32_e32 v21, 0x7f800001
	s_and_saveexec_b64 s[92:93], vcc
	s_cbranch_execz .LBB6_3783
; %bb.3782:                             ;   in Loop: Header=BB6_3341 Depth=2
	v_and_b32_e32 v29, 7, v20
	v_ffbh_u32_e32 v21, v29
	v_min_u32_e32 v36, 32, v21
	v_subrev_u32_e32 v21, 28, v36
	v_lshrrev_b32_e32 v35, 3, v22
	v_cmp_gt_u32_e32 vcc, 8, v22
	v_lshlrev_b64 v[21:22], v21, v[20:21]
	v_sub_u32_e32 v22, 29, v36
	v_and_b32_e32 v21, 7, v21
	v_cndmask_b32_e32 v22, v35, v22, vcc
	v_cndmask_b32_e32 v21, v29, v21, vcc
	v_lshlrev_b32_e32 v20, 24, v20
	v_bfrev_b32_e32 v26, 60
	v_lshlrev_b32_e32 v21, 20, v21
	v_and_b32_e32 v20, 0x80000000, v20
	v_lshl_add_u32 v22, v22, 23, v26
	v_or3_b32 v21, v20, v22, v21
.LBB6_3783:                             ;   in Loop: Header=BB6_3341 Depth=2
	s_or_b64 exec, exec, s[92:93]
.LBB6_3784:                             ;   in Loop: Header=BB6_3341 Depth=2
	s_or_b64 exec, exec, s[90:91]
.LBB6_3785:                             ;   in Loop: Header=BB6_3341 Depth=2
	s_or_b64 exec, exec, s[22:23]
	v_bfe_u32 v22, v10, 24, 3
	v_ffbh_u32_e32 v35, v22
	v_min_u32_e32 v38, 32, v35
	v_lshrrev_b32_e32 v20, 24, v10
	v_subrev_u32_e32 v35, 28, v38
	v_lshlrev_b64 v[35:36], v35, v[20:21]
	v_bfe_u32 v29, v10, 24, 7
	v_bfe_u32 v37, v20, 3, 4
	v_sub_u32_e32 v36, 29, v38
	v_and_b32_e32 v35, 7, v35
	v_cmp_gt_u32_e32 vcc, 8, v29
	v_cndmask_b32_e32 v36, v37, v36, vcc
	v_cndmask_b32_e32 v22, v22, v35, vcc
	v_bfrev_b32_e32 v26, 60
	v_lshlrev_b32_e32 v22, 20, v22
	v_and_b32_e32 v35, 0x80000000, v10
	v_lshl_add_u32 v36, v36, 23, v26
	v_or3_b32 v22, v35, v36, v22
	v_cmp_ne_u32_e32 vcc, s51, v29
	v_mov_b32_e32 v29, 0x7f800001
	v_cndmask_b32_e32 v22, v29, v22, vcc
	v_cmp_ne_u32_e32 vcc, s53, v20
	v_bfrev_b32_e32 v20, 1
	v_cndmask_b32_e32 v20, v20, v22, vcc
	v_cmp_lt_u32_e32 vcc, s63, v10
	v_cndmask_b32_e32 v20, 0, v20, vcc
	v_add_f32_e32 v20, v20, v21
	v_and_b32_e32 v52, 0x7f800000, v20
	v_cmp_ne_u64_e32 vcc, s[56:57], v[52:53]
                                        ; implicit-def: $vgpr29
	s_and_saveexec_b64 s[22:23], vcc
	s_xor_b64 s[90:91], exec, s[22:23]
	s_cbranch_execz .LBB6_3799
; %bb.3786:                             ;   in Loop: Header=BB6_3341 Depth=2
	v_and_b32_e32 v52, 0x7fffffff, v20
	v_cmp_gt_u64_e32 vcc, s[58:59], v[52:53]
	v_and_b32_sdwa v35, v20, s53 dst_sel:DWORD dst_unused:UNUSED_PAD src0_sel:BYTE_3 src1_sel:DWORD
                                        ; implicit-def: $vgpr29
	s_and_saveexec_b64 s[22:23], vcc
	s_xor_b64 s[92:93], exec, s[22:23]
	s_cbranch_execz .LBB6_3796
; %bb.3787:                             ;   in Loop: Header=BB6_3341 Depth=2
	v_mov_b32_e32 v29, 0
	v_cmp_ne_u32_e32 vcc, 0, v20
	s_and_saveexec_b64 s[94:95], vcc
	s_cbranch_execz .LBB6_3795
; %bb.3788:                             ;   in Loop: Header=BB6_3341 Depth=2
	v_bfe_u32 v29, v20, 23, 8
	v_and_b32_e32 v21, 0x7fffff, v20
	v_cmp_gt_u32_e64 s[22:23], s54, v29
	v_sub_u32_e32 v20, 0x79, v29
	v_cmp_eq_u32_e32 vcc, 0, v29
	v_cndmask_b32_e64 v20, 0, v20, s[22:23]
	v_mov_b32_e32 v36, 0x78
	v_cndmask_b32_e32 v36, v20, v36, vcc
	v_or_b32_e32 v22, 0x800000, v21
	v_add_u32_e32 v20, 20, v36
	v_cndmask_b32_e32 v52, v22, v21, vcc
	v_lshlrev_b64 v[20:21], v20, -1
	v_add_u32_e32 v22, 19, v36
	v_lshlrev_b64 v[37:38], v22, 1
	v_bfi_b32 v21, v21, 0, 0
	v_bfi_b32 v20, v20, 0, v52
	v_cmp_eq_u64_e64 s[22:23], v[20:21], v[37:38]
	v_lshrrev_b64 v[20:21], v36, v[52:53]
	v_mov_b32_e32 v22, v21
	v_mov_b32_e32 v21, v20
	s_and_saveexec_b64 s[30:31], s[22:23]
; %bb.3789:                             ;   in Loop: Header=BB6_3341 Depth=2
	v_bfe_u32 v21, v20, 20, 1
	v_add_co_u32_e64 v21, s[22:23], v20, v21
	v_add_co_u32_e64 v21, s[22:23], -1, v21
; %bb.3790:                             ;   in Loop: Header=BB6_3341 Depth=2
	s_or_b64 exec, exec, s[30:31]
	v_add_u32_e32 v22, 0xffffff81, v29
	v_mov_b32_e32 v29, 0xffffff82
	v_cndmask_b32_e32 v22, v22, v29, vcc
	v_lshrrev_b32_e32 v29, 23, v20
	v_add3_u32 v36, v36, v22, v29
	v_add_u32_e32 v29, 6, v36
	v_and_b32_e32 v21, 0xfffff, v21
	v_add_u32_e32 v52, v21, v20
	v_cmp_ne_u32_e32 vcc, 0, v29
                                        ; implicit-def: $vgpr20_vgpr21
                                        ; implicit-def: $vgpr22
	s_and_saveexec_b64 s[22:23], vcc
	s_xor_b64 s[22:23], exec, s[22:23]
; %bb.3791:                             ;   in Loop: Header=BB6_3341 Depth=2
	v_cmp_lt_u64_e32 vcc, s[60:61], v[52:53]
	v_add_u32_e32 v20, 7, v36
	v_cndmask_b32_e32 v22, v29, v20, vcc
	v_cndmask_b32_e64 v20, 0, 1, vcc
	v_lshrrev_b64 v[20:21], v20, v[52:53]
; %bb.3792:                             ;   in Loop: Header=BB6_3341 Depth=2
	s_andn2_saveexec_b64 s[22:23], s[22:23]
; %bb.3793:                             ;   in Loop: Header=BB6_3341 Depth=2
	v_mov_b32_e32 v20, v52
	v_bfe_u32 v22, v52, 23, 1
	v_mov_b32_e32 v21, v53
; %bb.3794:                             ;   in Loop: Header=BB6_3341 Depth=2
	s_or_b64 exec, exec, s[22:23]
	v_lshrrev_b64 v[20:21], 20, v[20:21]
	v_cmp_gt_i32_e32 vcc, 16, v22
	v_cndmask_b32_e32 v21, 0, v21, vcc
	v_cndmask_b32_e32 v20, 7, v20, vcc
	v_cmp_eq_u64_e64 s[22:23], 0, v[20:21]
	v_min_i32_e32 v21, 15, v22
	v_lshlrev_b32_e32 v21, 3, v21
	v_cmp_eq_u32_e32 vcc, 0, v22
	v_and_b32_e32 v21, 0xf8, v21
	v_and_or_b32 v20, v20, 7, v21
	s_and_b64 s[22:23], vcc, s[22:23]
	v_cndmask_b32_e64 v20, v20, 0, s[22:23]
	v_or_b32_e32 v29, v20, v35
.LBB6_3795:                             ;   in Loop: Header=BB6_3341 Depth=2
	s_or_b64 exec, exec, s[94:95]
                                        ; implicit-def: $vgpr35
.LBB6_3796:                             ;   in Loop: Header=BB6_3341 Depth=2
	s_andn2_saveexec_b64 s[22:23], s[92:93]
; %bb.3797:                             ;   in Loop: Header=BB6_3341 Depth=2
	v_or_b32_e32 v29, 0x7e, v35
; %bb.3798:                             ;   in Loop: Header=BB6_3341 Depth=2
	s_or_b64 exec, exec, s[22:23]
                                        ; implicit-def: $vgpr20
.LBB6_3799:                             ;   in Loop: Header=BB6_3341 Depth=2
	s_andn2_saveexec_b64 s[22:23], s[90:91]
; %bb.3800:                             ;   in Loop: Header=BB6_3341 Depth=2
	v_or_b32_sdwa v29, v20, s51 dst_sel:DWORD dst_unused:UNUSED_PAD src0_sel:BYTE_3 src1_sel:DWORD
; %bb.3801:                             ;   in Loop: Header=BB6_3341 Depth=2
	s_or_b64 exec, exec, s[22:23]
	v_lshl_or_b32 v31, v31, 8, v23
	v_lshlrev_b32_e32 v20, 16, v33
	v_lshlrev_b32_e32 v21, 24, v34
	v_or3_b32 v52, v20, v21, v31
	v_cmp_ne_u32_e32 vcc, 0, v23
	v_mov_b32_e32 v22, 0
	s_and_saveexec_b64 s[22:23], vcc
	s_cbranch_execz .LBB6_3807
; %bb.3802:                             ;   in Loop: Header=BB6_3341 Depth=2
	v_cmp_ne_u32_e32 vcc, s53, v23
	v_bfrev_b32_e32 v22, 1
	s_and_saveexec_b64 s[90:91], vcc
	s_cbranch_execz .LBB6_3806
; %bb.3803:                             ;   in Loop: Header=BB6_3341 Depth=2
	v_and_b32_e32 v20, 0x7f, v23
	v_cmp_ne_u32_e32 vcc, s51, v20
	v_mov_b32_e32 v22, 0x7f800001
	s_and_saveexec_b64 s[92:93], vcc
	s_cbranch_execz .LBB6_3805
; %bb.3804:                             ;   in Loop: Header=BB6_3341 Depth=2
	v_and_b32_e32 v21, 7, v23
	v_lshrrev_b32_e32 v22, 3, v20
	v_cmp_gt_u32_e32 vcc, 8, v20
	v_ffbh_u32_e32 v20, v21
	v_min_u32_e32 v20, 32, v20
	v_subrev_u32_e32 v21, 28, v20
	v_sub_u32_e32 v20, 29, v20
	v_cndmask_b32_e32 v22, v22, v20, vcc
	v_cndmask_b32_e32 v20, 0, v21, vcc
	v_lshlrev_b64 v[20:21], v20, v[52:53]
	v_lshlrev_b32_e32 v21, 24, v52
	v_lshlrev_b32_e32 v20, 20, v20
	v_bfrev_b32_e32 v23, 60
	v_and_b32_e32 v20, 0x700000, v20
	v_and_b32_e32 v21, 0x80000000, v21
	v_lshl_add_u32 v22, v22, 23, v23
	v_or3_b32 v22, v21, v22, v20
.LBB6_3805:                             ;   in Loop: Header=BB6_3341 Depth=2
	s_or_b64 exec, exec, s[92:93]
.LBB6_3806:                             ;   in Loop: Header=BB6_3341 Depth=2
	s_or_b64 exec, exec, s[90:91]
.LBB6_3807:                             ;   in Loop: Header=BB6_3341 Depth=2
	s_or_b64 exec, exec, s[22:23]
	v_cmp_gt_i16_sdwa s[90:91], v11, s51 src0_sel:BYTE_0 src1_sel:DWORD
	s_mov_b64 s[22:23], 0
	s_and_saveexec_b64 s[92:93], s[90:91]
	s_xor_b64 s[90:91], exec, s[92:93]
	s_cbranch_execz .LBB6_3811
; %bb.3808:                             ;   in Loop: Header=BB6_3341 Depth=2
	v_cmp_eq_u16_sdwa s[94:95], v11, s53 src0_sel:BYTE_0 src1_sel:DWORD
	s_mov_b64 s[22:23], -1
	s_and_saveexec_b64 s[92:93], s[94:95]
; %bb.3809:                             ;   in Loop: Header=BB6_3341 Depth=2
	s_xor_b64 s[22:23], exec, -1
; %bb.3810:                             ;   in Loop: Header=BB6_3341 Depth=2
	s_or_b64 exec, exec, s[92:93]
	s_and_b64 s[22:23], s[22:23], exec
.LBB6_3811:                             ;   in Loop: Header=BB6_3341 Depth=2
	s_or_saveexec_b64 s[90:91], s[90:91]
	v_bfrev_b32_e32 v23, 1
	s_xor_b64 exec, exec, s[90:91]
; %bb.3812:                             ;   in Loop: Header=BB6_3341 Depth=2
	v_cmp_ne_u16_sdwa s[92:93], v11, v53 src0_sel:BYTE_0 src1_sel:DWORD
	s_andn2_b64 s[22:23], s[22:23], exec
	s_and_b64 s[92:93], s[92:93], exec
	v_mov_b32_e32 v23, 0
	s_or_b64 s[22:23], s[22:23], s[92:93]
; %bb.3813:                             ;   in Loop: Header=BB6_3341 Depth=2
	s_or_b64 exec, exec, s[90:91]
	v_mov_b32_e32 v20, v11
	v_mov_b32_e32 v21, v53
	s_and_saveexec_b64 s[90:91], s[22:23]
	s_cbranch_execz .LBB6_3815
; %bb.3814:                             ;   in Loop: Header=BB6_3341 Depth=2
	v_and_b32_e32 v23, 7, v11
	v_ffbh_u32_e32 v23, v23
	v_and_b32_e32 v35, 0x7f, v11
	v_min_u32_e32 v23, 32, v23
	v_bfe_u32 v33, v11, 3, 4
	v_subrev_u32_e32 v34, 28, v23
	v_sub_u32_e32 v23, 29, v23
	v_cmp_gt_u32_e32 vcc, 8, v35
	v_cndmask_b32_e32 v23, v33, v23, vcc
	v_cndmask_b32_e32 v33, 0, v34, vcc
	v_lshlrev_b64 v[33:34], v33, v[20:21]
	v_bfrev_b32_e32 v26, 60
	v_lshlrev_b32_e32 v21, 20, v33
	v_lshlrev_b32_e32 v33, 24, v20
	v_and_b32_e32 v21, 0x700000, v21
	v_and_b32_e32 v33, 0x80000000, v33
	v_lshl_add_u32 v23, v23, 23, v26
	v_or3_b32 v21, v33, v23, v21
	v_cmp_ne_u32_e32 vcc, s51, v35
	v_mov_b32_e32 v23, 0x7f800001
	v_cndmask_b32_e32 v23, v23, v21, vcc
.LBB6_3815:                             ;   in Loop: Header=BB6_3341 Depth=2
	s_or_b64 exec, exec, s[90:91]
	v_add_f32_e32 v21, v22, v23
	v_and_b32_e32 v22, 0x7f800000, v21
	v_mov_b32_e32 v23, v53
	v_cmp_ne_u64_e32 vcc, s[56:57], v[22:23]
                                        ; implicit-def: $vgpr23
	s_and_saveexec_b64 s[22:23], vcc
	s_xor_b64 s[90:91], exec, s[22:23]
	s_cbranch_execz .LBB6_3829
; %bb.3816:                             ;   in Loop: Header=BB6_3341 Depth=2
	v_and_b32_e32 v22, 0x7fffffff, v21
	v_mov_b32_e32 v23, v53
	v_cmp_gt_u64_e32 vcc, s[58:59], v[22:23]
	v_and_b32_sdwa v33, v21, s53 dst_sel:DWORD dst_unused:UNUSED_PAD src0_sel:BYTE_3 src1_sel:DWORD
                                        ; implicit-def: $vgpr23
	s_and_saveexec_b64 s[22:23], vcc
	s_xor_b64 s[92:93], exec, s[22:23]
	s_cbranch_execz .LBB6_3826
; %bb.3817:                             ;   in Loop: Header=BB6_3341 Depth=2
	v_mov_b32_e32 v23, 0
	v_cmp_ne_u32_e32 vcc, 0, v21
	s_and_saveexec_b64 s[94:95], vcc
	s_cbranch_execz .LBB6_3825
; %bb.3818:                             ;   in Loop: Header=BB6_3341 Depth=2
	v_bfe_u32 v34, v21, 23, 8
	v_and_b32_e32 v22, 0x7fffff, v21
	v_cmp_gt_u32_e64 s[22:23], s54, v34
	v_sub_u32_e32 v21, 0x79, v34
	v_cmp_eq_u32_e32 vcc, 0, v34
	v_cndmask_b32_e64 v21, 0, v21, s[22:23]
	v_mov_b32_e32 v35, 0x78
	v_or_b32_e32 v23, 0x800000, v22
	v_cndmask_b32_e32 v35, v21, v35, vcc
	v_cndmask_b32_e32 v21, v23, v22, vcc
	v_add_u32_e32 v23, 20, v35
	v_lshlrev_b64 v[36:37], v23, -1
	v_mov_b32_e32 v22, v53
	v_add_u32_e32 v23, 19, v35
	v_bfi_b32 v36, v36, 0, v21
	v_lshlrev_b64 v[38:39], v23, 1
	v_lshrrev_b64 v[21:22], v35, v[21:22]
	v_bfi_b32 v37, v37, 0, 0
	v_cmp_eq_u64_e64 s[22:23], v[36:37], v[38:39]
	v_mov_b32_e32 v23, v22
	v_mov_b32_e32 v22, v21
	s_and_saveexec_b64 s[30:31], s[22:23]
; %bb.3819:                             ;   in Loop: Header=BB6_3341 Depth=2
	v_bfe_u32 v22, v21, 20, 1
	v_add_co_u32_e64 v22, s[22:23], v21, v22
	v_add_co_u32_e64 v22, s[22:23], -1, v22
; %bb.3820:                             ;   in Loop: Header=BB6_3341 Depth=2
	s_or_b64 exec, exec, s[30:31]
	v_add_u32_e32 v23, 0xffffff81, v34
	v_mov_b32_e32 v34, 0xffffff82
	v_cndmask_b32_e32 v23, v23, v34, vcc
	v_lshrrev_b32_e32 v34, 23, v21
	v_add3_u32 v35, v35, v23, v34
	v_add_u32_e32 v34, 6, v35
	v_and_b32_e32 v22, 0xfffff, v22
	v_add_u32_e32 v21, v22, v21
	v_mov_b32_e32 v22, v53
	v_cmp_ne_u32_e32 vcc, 0, v34
                                        ; implicit-def: $vgpr23
	s_and_saveexec_b64 s[22:23], vcc
	s_xor_b64 s[22:23], exec, s[22:23]
; %bb.3821:                             ;   in Loop: Header=BB6_3341 Depth=2
	v_cmp_lt_u64_e32 vcc, s[60:61], v[21:22]
	v_add_u32_e32 v23, 7, v35
	v_cndmask_b32_e32 v23, v34, v23, vcc
	v_cndmask_b32_e64 v34, 0, 1, vcc
	v_lshrrev_b64 v[21:22], v34, v[21:22]
; %bb.3822:                             ;   in Loop: Header=BB6_3341 Depth=2
	s_andn2_saveexec_b64 s[22:23], s[22:23]
; %bb.3823:                             ;   in Loop: Header=BB6_3341 Depth=2
	v_bfe_u32 v23, v21, 23, 1
; %bb.3824:                             ;   in Loop: Header=BB6_3341 Depth=2
	s_or_b64 exec, exec, s[22:23]
	v_lshrrev_b64 v[21:22], 20, v[21:22]
	v_cmp_gt_i32_e32 vcc, 16, v23
	v_cndmask_b32_e32 v22, 0, v22, vcc
	v_cndmask_b32_e32 v21, 7, v21, vcc
	v_cmp_eq_u64_e64 s[22:23], 0, v[21:22]
	v_min_i32_e32 v22, 15, v23
	v_lshlrev_b32_e32 v22, 3, v22
	v_cmp_eq_u32_e32 vcc, 0, v23
	v_and_b32_e32 v22, 0xf8, v22
	v_and_or_b32 v21, v21, 7, v22
	s_and_b64 s[22:23], vcc, s[22:23]
	v_cndmask_b32_e64 v21, v21, 0, s[22:23]
	v_or_b32_e32 v23, v21, v33
.LBB6_3825:                             ;   in Loop: Header=BB6_3341 Depth=2
	s_or_b64 exec, exec, s[94:95]
                                        ; implicit-def: $vgpr33
.LBB6_3826:                             ;   in Loop: Header=BB6_3341 Depth=2
	s_andn2_saveexec_b64 s[22:23], s[92:93]
; %bb.3827:                             ;   in Loop: Header=BB6_3341 Depth=2
	v_or_b32_e32 v23, 0x7e, v33
; %bb.3828:                             ;   in Loop: Header=BB6_3341 Depth=2
	s_or_b64 exec, exec, s[22:23]
                                        ; implicit-def: $vgpr21
.LBB6_3829:                             ;   in Loop: Header=BB6_3341 Depth=2
	s_andn2_saveexec_b64 s[22:23], s[90:91]
; %bb.3830:                             ;   in Loop: Header=BB6_3341 Depth=2
	v_or_b32_sdwa v23, v21, s51 dst_sel:DWORD dst_unused:UNUSED_PAD src0_sel:BYTE_3 src1_sel:DWORD
; %bb.3831:                             ;   in Loop: Header=BB6_3341 Depth=2
	s_or_b64 exec, exec, s[22:23]
	v_lshrrev_b16_e32 v21, 8, v31
	v_cmp_ne_u16_e32 vcc, 0, v21
	v_mov_b32_e32 v22, 0
	s_and_saveexec_b64 s[22:23], vcc
	s_cbranch_execz .LBB6_3837
; %bb.3832:                             ;   in Loop: Header=BB6_3341 Depth=2
	v_cmp_ne_u16_e32 vcc, s53, v21
	v_bfrev_b32_e32 v22, 1
	s_and_saveexec_b64 s[90:91], vcc
	s_cbranch_execz .LBB6_3836
; %bb.3833:                             ;   in Loop: Header=BB6_3341 Depth=2
	v_and_b32_e32 v33, 0x7f, v21
	v_cmp_ne_u32_e32 vcc, s51, v33
	v_mov_b32_e32 v22, 0x7f800001
	s_and_saveexec_b64 s[92:93], vcc
	s_cbranch_execz .LBB6_3835
; %bb.3834:                             ;   in Loop: Header=BB6_3341 Depth=2
	v_and_b32_e32 v34, 7, v21
	v_ffbh_u32_e32 v22, v34
	v_lshrrev_b32_e32 v35, 3, v33
	v_cmp_gt_u32_e32 vcc, 8, v33
	v_min_u32_e32 v33, 32, v22
	v_subrev_u32_e32 v22, 28, v33
	v_lshlrev_b64 v[21:22], v22, v[21:22]
	v_sub_u32_e32 v22, 29, v33
	v_and_b32_e32 v21, 7, v21
	v_cndmask_b32_e32 v22, v35, v22, vcc
	v_cndmask_b32_e32 v21, v34, v21, vcc
	v_lshlrev_b32_e32 v31, 16, v31
	v_bfrev_b32_e32 v26, 60
	v_lshlrev_b32_e32 v21, 20, v21
	v_and_b32_e32 v31, 0x80000000, v31
	v_lshl_add_u32 v22, v22, 23, v26
	v_or3_b32 v22, v31, v22, v21
.LBB6_3835:                             ;   in Loop: Header=BB6_3341 Depth=2
	s_or_b64 exec, exec, s[92:93]
.LBB6_3836:                             ;   in Loop: Header=BB6_3341 Depth=2
	s_or_b64 exec, exec, s[90:91]
.LBB6_3837:                             ;   in Loop: Header=BB6_3341 Depth=2
	s_or_b64 exec, exec, s[22:23]
	v_lshrrev_b16_e32 v20, 8, v20
	v_cmp_lt_i16_e32 vcc, s51, v20
	s_mov_b64 s[22:23], 0
	s_and_saveexec_b64 s[90:91], vcc
	s_xor_b64 s[90:91], exec, s[90:91]
	s_cbranch_execnz .LBB6_4121
; %bb.3838:                             ;   in Loop: Header=BB6_3341 Depth=2
	s_or_saveexec_b64 s[90:91], s[90:91]
	v_bfrev_b32_e32 v21, 1
	s_xor_b64 exec, exec, s[90:91]
	s_cbranch_execnz .LBB6_4124
.LBB6_3839:                             ;   in Loop: Header=BB6_3341 Depth=2
	s_or_b64 exec, exec, s[90:91]
	s_and_saveexec_b64 s[90:91], s[22:23]
	s_cbranch_execz .LBB6_3841
.LBB6_3840:                             ;   in Loop: Header=BB6_3341 Depth=2
	v_and_b32_e32 v31, 7, v20
	v_ffbh_u32_e32 v33, v31
	v_min_u32_e32 v37, 32, v33
	v_mov_b32_e32 v21, v53
	v_subrev_u32_e32 v33, 28, v37
	v_lshlrev_b64 v[33:34], v33, v[20:21]
	v_and_b32_e32 v35, 0x7f, v20
	v_bfe_u32 v36, v20, 3, 4
	v_sub_u32_e32 v21, 29, v37
	v_and_b32_e32 v33, 7, v33
	v_cmp_gt_u32_e32 vcc, 8, v35
	v_cndmask_b32_e32 v21, v36, v21, vcc
	v_cndmask_b32_e32 v31, v31, v33, vcc
	v_lshlrev_b32_e32 v20, 24, v20
	v_bfrev_b32_e32 v26, 60
	v_lshlrev_b32_e32 v31, 20, v31
	v_and_b32_e32 v20, 0x80000000, v20
	v_lshl_add_u32 v21, v21, 23, v26
	v_or3_b32 v20, v20, v21, v31
	v_cmp_ne_u32_e32 vcc, s51, v35
	v_mov_b32_e32 v21, 0x7f800001
	v_cndmask_b32_e32 v21, v21, v20, vcc
.LBB6_3841:                             ;   in Loop: Header=BB6_3341 Depth=2
	s_or_b64 exec, exec, s[90:91]
	v_add_f32_e32 v20, v22, v21
	v_and_b32_e32 v21, 0x7f800000, v20
	v_mov_b32_e32 v22, v53
	v_cmp_ne_u64_e32 vcc, s[56:57], v[21:22]
                                        ; implicit-def: $vgpr31
	s_and_saveexec_b64 s[22:23], vcc
	s_xor_b64 s[90:91], exec, s[22:23]
	s_cbranch_execz .LBB6_3855
; %bb.3842:                             ;   in Loop: Header=BB6_3341 Depth=2
	v_and_b32_e32 v21, 0x7fffffff, v20
	v_mov_b32_e32 v22, v53
	v_cmp_gt_u64_e32 vcc, s[58:59], v[21:22]
	v_and_b32_sdwa v33, v20, s53 dst_sel:DWORD dst_unused:UNUSED_PAD src0_sel:BYTE_3 src1_sel:DWORD
                                        ; implicit-def: $vgpr31
	s_and_saveexec_b64 s[22:23], vcc
	s_xor_b64 s[92:93], exec, s[22:23]
	s_cbranch_execz .LBB6_3852
; %bb.3843:                             ;   in Loop: Header=BB6_3341 Depth=2
	v_mov_b32_e32 v31, 0
	v_cmp_ne_u32_e32 vcc, 0, v20
	s_and_saveexec_b64 s[94:95], vcc
	s_cbranch_execz .LBB6_3851
; %bb.3844:                             ;   in Loop: Header=BB6_3341 Depth=2
	v_bfe_u32 v31, v20, 23, 8
	v_and_b32_e32 v21, 0x7fffff, v20
	v_cmp_gt_u32_e64 s[22:23], s54, v31
	v_sub_u32_e32 v20, 0x79, v31
	v_cmp_eq_u32_e32 vcc, 0, v31
	v_cndmask_b32_e64 v20, 0, v20, s[22:23]
	v_mov_b32_e32 v34, 0x78
	v_or_b32_e32 v22, 0x800000, v21
	v_cndmask_b32_e32 v34, v20, v34, vcc
	v_cndmask_b32_e32 v20, v22, v21, vcc
	v_add_u32_e32 v22, 20, v34
	v_lshlrev_b64 v[35:36], v22, -1
	v_mov_b32_e32 v21, v53
	v_add_u32_e32 v22, 19, v34
	v_bfi_b32 v35, v35, 0, v20
	v_lshlrev_b64 v[37:38], v22, 1
	v_lshrrev_b64 v[20:21], v34, v[20:21]
	v_bfi_b32 v36, v36, 0, 0
	v_cmp_eq_u64_e64 s[22:23], v[35:36], v[37:38]
	v_mov_b32_e32 v22, v21
	v_mov_b32_e32 v21, v20
	s_and_saveexec_b64 s[30:31], s[22:23]
; %bb.3845:                             ;   in Loop: Header=BB6_3341 Depth=2
	v_bfe_u32 v21, v20, 20, 1
	v_add_co_u32_e64 v21, s[22:23], v20, v21
	v_add_co_u32_e64 v21, s[22:23], -1, v21
; %bb.3846:                             ;   in Loop: Header=BB6_3341 Depth=2
	s_or_b64 exec, exec, s[30:31]
	v_add_u32_e32 v22, 0xffffff81, v31
	v_mov_b32_e32 v31, 0xffffff82
	v_cndmask_b32_e32 v22, v22, v31, vcc
	v_lshrrev_b32_e32 v31, 23, v20
	v_add3_u32 v34, v34, v22, v31
	v_add_u32_e32 v31, 6, v34
	v_and_b32_e32 v21, 0xfffff, v21
	v_add_u32_e32 v20, v21, v20
	v_mov_b32_e32 v21, v53
	v_cmp_ne_u32_e32 vcc, 0, v31
                                        ; implicit-def: $vgpr22
	s_and_saveexec_b64 s[22:23], vcc
	s_xor_b64 s[22:23], exec, s[22:23]
; %bb.3847:                             ;   in Loop: Header=BB6_3341 Depth=2
	v_cmp_lt_u64_e32 vcc, s[60:61], v[20:21]
	v_add_u32_e32 v22, 7, v34
	v_cndmask_b32_e32 v22, v31, v22, vcc
	v_cndmask_b32_e64 v31, 0, 1, vcc
	v_lshrrev_b64 v[20:21], v31, v[20:21]
; %bb.3848:                             ;   in Loop: Header=BB6_3341 Depth=2
	s_andn2_saveexec_b64 s[22:23], s[22:23]
; %bb.3849:                             ;   in Loop: Header=BB6_3341 Depth=2
	v_bfe_u32 v22, v20, 23, 1
; %bb.3850:                             ;   in Loop: Header=BB6_3341 Depth=2
	s_or_b64 exec, exec, s[22:23]
	v_lshrrev_b64 v[20:21], 20, v[20:21]
	v_cmp_gt_i32_e32 vcc, 16, v22
	v_cndmask_b32_e32 v21, 0, v21, vcc
	v_cndmask_b32_e32 v20, 7, v20, vcc
	v_cmp_eq_u64_e64 s[22:23], 0, v[20:21]
	v_min_i32_e32 v21, 15, v22
	v_lshlrev_b32_e32 v21, 3, v21
	v_cmp_eq_u32_e32 vcc, 0, v22
	v_and_b32_e32 v21, 0xf8, v21
	v_and_or_b32 v20, v20, 7, v21
	s_and_b64 s[22:23], vcc, s[22:23]
	v_cndmask_b32_e64 v20, v20, 0, s[22:23]
	v_or_b32_e32 v31, v20, v33
.LBB6_3851:                             ;   in Loop: Header=BB6_3341 Depth=2
	s_or_b64 exec, exec, s[94:95]
                                        ; implicit-def: $vgpr33
.LBB6_3852:                             ;   in Loop: Header=BB6_3341 Depth=2
	s_andn2_saveexec_b64 s[22:23], s[92:93]
; %bb.3853:                             ;   in Loop: Header=BB6_3341 Depth=2
	v_or_b32_e32 v31, 0x7e, v33
; %bb.3854:                             ;   in Loop: Header=BB6_3341 Depth=2
	s_or_b64 exec, exec, s[22:23]
                                        ; implicit-def: $vgpr20
.LBB6_3855:                             ;   in Loop: Header=BB6_3341 Depth=2
	s_andn2_saveexec_b64 s[22:23], s[90:91]
; %bb.3856:                             ;   in Loop: Header=BB6_3341 Depth=2
	v_or_b32_sdwa v31, v20, s51 dst_sel:DWORD dst_unused:UNUSED_PAD src0_sel:BYTE_3 src1_sel:DWORD
; %bb.3857:                             ;   in Loop: Header=BB6_3341 Depth=2
	s_or_b64 exec, exec, s[22:23]
	v_lshrrev_b32_e32 v20, 16, v52
	v_cmp_ne_u16_sdwa s[90:91], v20, v53 src0_sel:BYTE_0 src1_sel:DWORD
	v_mov_b32_e32 v21, 0
	s_and_saveexec_b64 s[22:23], s[90:91]
	s_cbranch_execz .LBB6_3863
; %bb.3858:                             ;   in Loop: Header=BB6_3341 Depth=2
	v_cmp_ne_u16_sdwa s[92:93], v20, s53 src0_sel:BYTE_0 src1_sel:DWORD
	v_bfrev_b32_e32 v21, 1
	s_and_saveexec_b64 s[90:91], s[92:93]
	s_cbranch_execz .LBB6_3862
; %bb.3859:                             ;   in Loop: Header=BB6_3341 Depth=2
	v_bfe_u32 v22, v52, 16, 7
	v_cmp_ne_u32_e32 vcc, s51, v22
	v_mov_b32_e32 v21, 0x7f800001
	s_and_saveexec_b64 s[92:93], vcc
	s_cbranch_execz .LBB6_3861
; %bb.3860:                             ;   in Loop: Header=BB6_3341 Depth=2
	v_and_b32_e32 v33, 7, v20
	v_ffbh_u32_e32 v21, v33
	v_min_u32_e32 v35, 32, v21
	v_subrev_u32_e32 v21, 28, v35
	v_lshrrev_b32_e32 v34, 3, v22
	v_cmp_gt_u32_e32 vcc, 8, v22
	v_lshlrev_b64 v[21:22], v21, v[20:21]
	v_sub_u32_e32 v22, 29, v35
	v_and_b32_e32 v21, 7, v21
	v_cndmask_b32_e32 v22, v34, v22, vcc
	v_cndmask_b32_e32 v21, v33, v21, vcc
	v_lshlrev_b32_e32 v20, 24, v20
	v_bfrev_b32_e32 v26, 60
	v_lshlrev_b32_e32 v21, 20, v21
	v_and_b32_e32 v20, 0x80000000, v20
	v_lshl_add_u32 v22, v22, 23, v26
	v_or3_b32 v21, v20, v22, v21
.LBB6_3861:                             ;   in Loop: Header=BB6_3341 Depth=2
	s_or_b64 exec, exec, s[92:93]
.LBB6_3862:                             ;   in Loop: Header=BB6_3341 Depth=2
	s_or_b64 exec, exec, s[90:91]
.LBB6_3863:                             ;   in Loop: Header=BB6_3341 Depth=2
	s_or_b64 exec, exec, s[22:23]
	v_lshrrev_b32_e32 v20, 16, v11
	v_cmp_gt_i16_sdwa s[90:91], v20, s51 src0_sel:BYTE_0 src1_sel:DWORD
	s_mov_b64 s[22:23], 0
	s_and_saveexec_b64 s[92:93], s[90:91]
	s_xor_b64 s[90:91], exec, s[92:93]
	s_cbranch_execnz .LBB6_4125
; %bb.3864:                             ;   in Loop: Header=BB6_3341 Depth=2
	s_or_saveexec_b64 s[90:91], s[90:91]
	v_bfrev_b32_e32 v22, 1
	s_xor_b64 exec, exec, s[90:91]
	s_cbranch_execnz .LBB6_4128
.LBB6_3865:                             ;   in Loop: Header=BB6_3341 Depth=2
	s_or_b64 exec, exec, s[90:91]
	s_and_saveexec_b64 s[90:91], s[22:23]
	s_cbranch_execz .LBB6_3867
.LBB6_3866:                             ;   in Loop: Header=BB6_3341 Depth=2
	v_and_b32_e32 v22, 7, v20
	v_ffbh_u32_e32 v33, v22
	v_min_u32_e32 v37, 32, v33
	v_subrev_u32_e32 v33, 28, v37
	v_lshlrev_b64 v[33:34], v33, v[20:21]
	v_and_b32_e32 v35, 0x7f, v20
	v_bfe_u32 v36, v20, 3, 4
	v_sub_u32_e32 v34, 29, v37
	v_and_b32_e32 v33, 7, v33
	v_cmp_gt_u32_e32 vcc, 8, v35
	v_cndmask_b32_e32 v34, v36, v34, vcc
	v_cndmask_b32_e32 v22, v22, v33, vcc
	v_lshlrev_b32_e32 v20, 24, v20
	v_bfrev_b32_e32 v26, 60
	v_lshlrev_b32_e32 v22, 20, v22
	v_and_b32_e32 v20, 0x80000000, v20
	v_lshl_add_u32 v33, v34, 23, v26
	v_or3_b32 v20, v20, v33, v22
	v_cmp_ne_u32_e32 vcc, s51, v35
	v_mov_b32_e32 v22, 0x7f800001
	v_cndmask_b32_e32 v22, v22, v20, vcc
.LBB6_3867:                             ;   in Loop: Header=BB6_3341 Depth=2
	s_or_b64 exec, exec, s[90:91]
	v_add_f32_e32 v20, v21, v22
	v_and_b32_e32 v21, 0x7f800000, v20
	v_mov_b32_e32 v22, v53
	v_cmp_ne_u64_e32 vcc, s[56:57], v[21:22]
                                        ; implicit-def: $vgpr33
	s_and_saveexec_b64 s[22:23], vcc
	s_xor_b64 s[90:91], exec, s[22:23]
	s_cbranch_execz .LBB6_3881
; %bb.3868:                             ;   in Loop: Header=BB6_3341 Depth=2
	v_and_b32_e32 v21, 0x7fffffff, v20
	v_mov_b32_e32 v22, v53
	v_cmp_gt_u64_e32 vcc, s[58:59], v[21:22]
	v_and_b32_sdwa v34, v20, s53 dst_sel:DWORD dst_unused:UNUSED_PAD src0_sel:BYTE_3 src1_sel:DWORD
                                        ; implicit-def: $vgpr33
	s_and_saveexec_b64 s[22:23], vcc
	s_xor_b64 s[92:93], exec, s[22:23]
	s_cbranch_execz .LBB6_3878
; %bb.3869:                             ;   in Loop: Header=BB6_3341 Depth=2
	v_mov_b32_e32 v33, 0
	v_cmp_ne_u32_e32 vcc, 0, v20
	s_and_saveexec_b64 s[94:95], vcc
	s_cbranch_execz .LBB6_3877
; %bb.3870:                             ;   in Loop: Header=BB6_3341 Depth=2
	v_bfe_u32 v33, v20, 23, 8
	v_and_b32_e32 v21, 0x7fffff, v20
	v_cmp_gt_u32_e64 s[22:23], s54, v33
	v_sub_u32_e32 v20, 0x79, v33
	v_cmp_eq_u32_e32 vcc, 0, v33
	v_cndmask_b32_e64 v20, 0, v20, s[22:23]
	v_mov_b32_e32 v35, 0x78
	v_or_b32_e32 v22, 0x800000, v21
	v_cndmask_b32_e32 v35, v20, v35, vcc
	v_cndmask_b32_e32 v20, v22, v21, vcc
	v_add_u32_e32 v22, 20, v35
	v_lshlrev_b64 v[36:37], v22, -1
	v_mov_b32_e32 v21, v53
	v_add_u32_e32 v22, 19, v35
	v_bfi_b32 v36, v36, 0, v20
	v_lshlrev_b64 v[38:39], v22, 1
	v_lshrrev_b64 v[20:21], v35, v[20:21]
	v_bfi_b32 v37, v37, 0, 0
	v_cmp_eq_u64_e64 s[22:23], v[36:37], v[38:39]
	v_mov_b32_e32 v22, v21
	v_mov_b32_e32 v21, v20
	s_and_saveexec_b64 s[30:31], s[22:23]
; %bb.3871:                             ;   in Loop: Header=BB6_3341 Depth=2
	v_bfe_u32 v21, v20, 20, 1
	v_add_co_u32_e64 v21, s[22:23], v20, v21
	v_add_co_u32_e64 v21, s[22:23], -1, v21
; %bb.3872:                             ;   in Loop: Header=BB6_3341 Depth=2
	s_or_b64 exec, exec, s[30:31]
	v_add_u32_e32 v22, 0xffffff81, v33
	v_mov_b32_e32 v33, 0xffffff82
	v_cndmask_b32_e32 v22, v22, v33, vcc
	v_lshrrev_b32_e32 v33, 23, v20
	v_add3_u32 v35, v35, v22, v33
	v_add_u32_e32 v33, 6, v35
	v_and_b32_e32 v21, 0xfffff, v21
	v_add_u32_e32 v20, v21, v20
	v_mov_b32_e32 v21, v53
	v_cmp_ne_u32_e32 vcc, 0, v33
                                        ; implicit-def: $vgpr22
	s_and_saveexec_b64 s[22:23], vcc
	s_xor_b64 s[22:23], exec, s[22:23]
; %bb.3873:                             ;   in Loop: Header=BB6_3341 Depth=2
	v_cmp_lt_u64_e32 vcc, s[60:61], v[20:21]
	v_add_u32_e32 v22, 7, v35
	v_cndmask_b32_e32 v22, v33, v22, vcc
	v_cndmask_b32_e64 v33, 0, 1, vcc
	v_lshrrev_b64 v[20:21], v33, v[20:21]
; %bb.3874:                             ;   in Loop: Header=BB6_3341 Depth=2
	s_andn2_saveexec_b64 s[22:23], s[22:23]
; %bb.3875:                             ;   in Loop: Header=BB6_3341 Depth=2
	v_bfe_u32 v22, v20, 23, 1
; %bb.3876:                             ;   in Loop: Header=BB6_3341 Depth=2
	s_or_b64 exec, exec, s[22:23]
	v_lshrrev_b64 v[20:21], 20, v[20:21]
	v_cmp_gt_i32_e32 vcc, 16, v22
	v_cndmask_b32_e32 v21, 0, v21, vcc
	v_cndmask_b32_e32 v20, 7, v20, vcc
	v_cmp_eq_u64_e64 s[22:23], 0, v[20:21]
	v_min_i32_e32 v21, 15, v22
	v_lshlrev_b32_e32 v21, 3, v21
	v_cmp_eq_u32_e32 vcc, 0, v22
	v_and_b32_e32 v21, 0xf8, v21
	v_and_or_b32 v20, v20, 7, v21
	s_and_b64 s[22:23], vcc, s[22:23]
	v_cndmask_b32_e64 v20, v20, 0, s[22:23]
	v_or_b32_e32 v33, v20, v34
.LBB6_3877:                             ;   in Loop: Header=BB6_3341 Depth=2
	s_or_b64 exec, exec, s[94:95]
                                        ; implicit-def: $vgpr34
.LBB6_3878:                             ;   in Loop: Header=BB6_3341 Depth=2
	s_andn2_saveexec_b64 s[22:23], s[92:93]
; %bb.3879:                             ;   in Loop: Header=BB6_3341 Depth=2
	v_or_b32_e32 v33, 0x7e, v34
; %bb.3880:                             ;   in Loop: Header=BB6_3341 Depth=2
	s_or_b64 exec, exec, s[22:23]
                                        ; implicit-def: $vgpr20
.LBB6_3881:                             ;   in Loop: Header=BB6_3341 Depth=2
	s_andn2_saveexec_b64 s[22:23], s[90:91]
; %bb.3882:                             ;   in Loop: Header=BB6_3341 Depth=2
	v_or_b32_sdwa v33, v20, s51 dst_sel:DWORD dst_unused:UNUSED_PAD src0_sel:BYTE_3 src1_sel:DWORD
; %bb.3883:                             ;   in Loop: Header=BB6_3341 Depth=2
	s_or_b64 exec, exec, s[22:23]
	v_cmp_lt_u32_e32 vcc, s63, v52
	v_mov_b32_e32 v21, 0
	s_and_saveexec_b64 s[22:23], vcc
	s_cbranch_execz .LBB6_3889
; %bb.3884:                             ;   in Loop: Header=BB6_3341 Depth=2
	v_lshrrev_b32_e32 v20, 24, v52
	v_cmp_ne_u32_sdwa s[92:93], v52, s53 src0_sel:BYTE_3 src1_sel:DWORD
	v_bfrev_b32_e32 v21, 1
	s_and_saveexec_b64 s[90:91], s[92:93]
	s_cbranch_execz .LBB6_3888
; %bb.3885:                             ;   in Loop: Header=BB6_3341 Depth=2
	v_bfe_u32 v22, v52, 24, 7
	v_cmp_ne_u32_e32 vcc, s51, v22
	v_mov_b32_e32 v21, 0x7f800001
	s_and_saveexec_b64 s[92:93], vcc
	s_cbranch_execz .LBB6_3887
; %bb.3886:                             ;   in Loop: Header=BB6_3341 Depth=2
	v_and_b32_e32 v34, 7, v20
	v_ffbh_u32_e32 v21, v34
	v_lshrrev_b32_e32 v35, 3, v22
	v_cmp_gt_u32_e32 vcc, 8, v22
	v_min_u32_e32 v22, 32, v21
	v_subrev_u32_e32 v21, 28, v22
	v_lshlrev_b64 v[20:21], v21, v[20:21]
	v_sub_u32_e32 v21, 29, v22
	v_and_b32_e32 v20, 7, v20
	v_mov_b32_e32 v22, 24
	v_cndmask_b32_e32 v21, v35, v21, vcc
	v_cndmask_b32_e32 v20, v34, v20, vcc
	v_lshlrev_b32_sdwa v22, v22, v52 dst_sel:DWORD dst_unused:UNUSED_PAD src0_sel:DWORD src1_sel:BYTE_3
	v_bfrev_b32_e32 v26, 60
	v_lshlrev_b32_e32 v20, 20, v20
	v_and_b32_e32 v22, 0x80000000, v22
	v_lshl_add_u32 v21, v21, 23, v26
	v_or3_b32 v21, v22, v21, v20
.LBB6_3887:                             ;   in Loop: Header=BB6_3341 Depth=2
	s_or_b64 exec, exec, s[92:93]
.LBB6_3888:                             ;   in Loop: Header=BB6_3341 Depth=2
	s_or_b64 exec, exec, s[90:91]
.LBB6_3889:                             ;   in Loop: Header=BB6_3341 Depth=2
	s_or_b64 exec, exec, s[22:23]
	v_bfe_u32 v22, v11, 24, 3
	v_ffbh_u32_e32 v34, v22
	v_min_u32_e32 v38, 32, v34
	v_lshrrev_b32_e32 v20, 24, v11
	v_subrev_u32_e32 v34, 28, v38
	v_lshlrev_b64 v[34:35], v34, v[20:21]
	v_bfe_u32 v36, v11, 24, 7
	v_bfe_u32 v37, v20, 3, 4
	v_sub_u32_e32 v35, 29, v38
	v_and_b32_e32 v34, 7, v34
	v_cmp_gt_u32_e32 vcc, 8, v36
	v_cndmask_b32_e32 v35, v37, v35, vcc
	v_cndmask_b32_e32 v22, v22, v34, vcc
	v_bfrev_b32_e32 v26, 60
	v_lshlrev_b32_e32 v22, 20, v22
	v_and_b32_e32 v34, 0x80000000, v11
	v_lshl_add_u32 v35, v35, 23, v26
	v_or3_b32 v22, v34, v35, v22
	v_cmp_ne_u32_e32 vcc, s51, v36
	v_mov_b32_e32 v34, 0x7f800001
	v_cndmask_b32_e32 v22, v34, v22, vcc
	v_cmp_ne_u32_e32 vcc, s53, v20
	v_bfrev_b32_e32 v20, 1
	v_cndmask_b32_e32 v20, v20, v22, vcc
	v_cmp_lt_u64_e32 vcc, s[62:63], v[10:11]
                                        ; implicit-def: $vgpr34
	v_cndmask_b32_e32 v10, 0, v20, vcc
	v_add_f32_e32 v10, v10, v21
	v_and_b32_e32 v52, 0x7f800000, v10
	v_cmp_ne_u64_e32 vcc, s[56:57], v[52:53]
	s_and_saveexec_b64 s[22:23], vcc
	s_xor_b64 s[90:91], exec, s[22:23]
	s_cbranch_execz .LBB6_3903
; %bb.3890:                             ;   in Loop: Header=BB6_3341 Depth=2
	v_and_b32_e32 v52, 0x7fffffff, v10
	v_cmp_gt_u64_e32 vcc, s[58:59], v[52:53]
	v_and_b32_sdwa v22, v10, s53 dst_sel:DWORD dst_unused:UNUSED_PAD src0_sel:BYTE_3 src1_sel:DWORD
                                        ; implicit-def: $vgpr34
	s_and_saveexec_b64 s[22:23], vcc
	s_xor_b64 s[92:93], exec, s[22:23]
	s_cbranch_execz .LBB6_3900
; %bb.3891:                             ;   in Loop: Header=BB6_3341 Depth=2
	v_mov_b32_e32 v34, 0
	v_cmp_ne_u32_e32 vcc, 0, v10
	s_and_saveexec_b64 s[94:95], vcc
	s_cbranch_execz .LBB6_3899
; %bb.3892:                             ;   in Loop: Header=BB6_3341 Depth=2
	v_bfe_u32 v34, v10, 23, 8
	v_and_b32_e32 v11, 0x7fffff, v10
	v_cmp_gt_u32_e64 s[22:23], s54, v34
	v_sub_u32_e32 v10, 0x79, v34
	v_cmp_eq_u32_e32 vcc, 0, v34
	v_cndmask_b32_e64 v10, 0, v10, s[22:23]
	v_mov_b32_e32 v21, 0x78
	v_cndmask_b32_e32 v35, v10, v21, vcc
	v_or_b32_e32 v20, 0x800000, v11
	v_add_u32_e32 v10, 20, v35
	v_cndmask_b32_e32 v52, v20, v11, vcc
	v_lshlrev_b64 v[10:11], v10, -1
	v_add_u32_e32 v20, 19, v35
	v_lshlrev_b64 v[20:21], v20, 1
	v_bfi_b32 v11, v11, 0, 0
	v_bfi_b32 v10, v10, 0, v52
	v_cmp_eq_u64_e64 s[22:23], v[10:11], v[20:21]
	v_lshrrev_b64 v[10:11], v35, v[52:53]
	v_mov_b32_e32 v21, v11
	v_mov_b32_e32 v20, v10
	s_and_saveexec_b64 s[30:31], s[22:23]
; %bb.3893:                             ;   in Loop: Header=BB6_3341 Depth=2
	v_bfe_u32 v11, v10, 20, 1
	v_add_co_u32_e64 v11, s[22:23], v10, v11
	v_add_co_u32_e64 v20, s[22:23], -1, v11
; %bb.3894:                             ;   in Loop: Header=BB6_3341 Depth=2
	s_or_b64 exec, exec, s[30:31]
	v_add_u32_e32 v11, 0xffffff81, v34
	v_mov_b32_e32 v21, 0xffffff82
	v_cndmask_b32_e32 v11, v11, v21, vcc
	v_lshrrev_b32_e32 v21, 23, v10
	v_add3_u32 v34, v35, v11, v21
	v_add_u32_e32 v21, 6, v34
	v_and_b32_e32 v11, 0xfffff, v20
	v_add_u32_e32 v52, v11, v10
	v_cmp_ne_u32_e32 vcc, 0, v21
                                        ; implicit-def: $vgpr10_vgpr11
                                        ; implicit-def: $vgpr20
	s_and_saveexec_b64 s[22:23], vcc
	s_xor_b64 s[22:23], exec, s[22:23]
; %bb.3895:                             ;   in Loop: Header=BB6_3341 Depth=2
	v_cmp_lt_u64_e32 vcc, s[60:61], v[52:53]
	v_add_u32_e32 v10, 7, v34
	v_cndmask_b32_e32 v20, v21, v10, vcc
	v_cndmask_b32_e64 v10, 0, 1, vcc
	v_lshrrev_b64 v[10:11], v10, v[52:53]
; %bb.3896:                             ;   in Loop: Header=BB6_3341 Depth=2
	s_andn2_saveexec_b64 s[22:23], s[22:23]
; %bb.3897:                             ;   in Loop: Header=BB6_3341 Depth=2
	v_mov_b32_e32 v10, v52
	v_bfe_u32 v20, v52, 23, 1
	v_mov_b32_e32 v11, v53
; %bb.3898:                             ;   in Loop: Header=BB6_3341 Depth=2
	s_or_b64 exec, exec, s[22:23]
	v_lshrrev_b64 v[10:11], 20, v[10:11]
	v_cmp_gt_i32_e32 vcc, 16, v20
	v_cndmask_b32_e32 v11, 0, v11, vcc
	v_cndmask_b32_e32 v10, 7, v10, vcc
	v_cmp_eq_u64_e64 s[22:23], 0, v[10:11]
	v_min_i32_e32 v11, 15, v20
	v_lshlrev_b32_e32 v11, 3, v11
	v_cmp_eq_u32_e32 vcc, 0, v20
	v_and_b32_e32 v11, 0xf8, v11
	v_and_or_b32 v10, v10, 7, v11
	s_and_b64 s[22:23], vcc, s[22:23]
	v_cndmask_b32_e64 v10, v10, 0, s[22:23]
	v_or_b32_e32 v34, v10, v22
.LBB6_3899:                             ;   in Loop: Header=BB6_3341 Depth=2
	s_or_b64 exec, exec, s[94:95]
                                        ; implicit-def: $vgpr22
.LBB6_3900:                             ;   in Loop: Header=BB6_3341 Depth=2
	s_andn2_saveexec_b64 s[22:23], s[92:93]
; %bb.3901:                             ;   in Loop: Header=BB6_3341 Depth=2
	v_or_b32_e32 v34, 0x7e, v22
; %bb.3902:                             ;   in Loop: Header=BB6_3341 Depth=2
	s_or_b64 exec, exec, s[22:23]
                                        ; implicit-def: $vgpr10
.LBB6_3903:                             ;   in Loop: Header=BB6_3341 Depth=2
	s_andn2_saveexec_b64 s[22:23], s[90:91]
; %bb.3904:                             ;   in Loop: Header=BB6_3341 Depth=2
	v_or_b32_sdwa v34, v10, s51 dst_sel:DWORD dst_unused:UNUSED_PAD src0_sel:BYTE_3 src1_sel:DWORD
; %bb.3905:                             ;   in Loop: Header=BB6_3341 Depth=2
	s_or_b64 exec, exec, s[22:23]
	v_lshl_or_b32 v22, v27, 8, v8
	v_lshlrev_b32_e32 v10, 16, v30
	v_lshlrev_b32_e32 v11, 24, v32
	v_or3_b32 v52, v10, v11, v22
	v_cmp_ne_u32_e32 vcc, 0, v8
	v_mov_b32_e32 v10, 0
	s_and_saveexec_b64 s[22:23], vcc
	s_cbranch_execz .LBB6_3911
; %bb.3906:                             ;   in Loop: Header=BB6_3341 Depth=2
	v_cmp_ne_u32_e32 vcc, s53, v8
	v_bfrev_b32_e32 v10, 1
	s_and_saveexec_b64 s[90:91], vcc
	s_cbranch_execz .LBB6_3910
; %bb.3907:                             ;   in Loop: Header=BB6_3341 Depth=2
	v_and_b32_e32 v11, 0x7f, v8
	v_cmp_ne_u32_e32 vcc, s51, v11
	v_mov_b32_e32 v10, 0x7f800001
	s_and_saveexec_b64 s[92:93], vcc
	s_cbranch_execz .LBB6_3909
; %bb.3908:                             ;   in Loop: Header=BB6_3341 Depth=2
	v_and_b32_e32 v8, 7, v8
	v_ffbh_u32_e32 v8, v8
	v_min_u32_e32 v8, 32, v8
	v_lshrrev_b32_e32 v10, 3, v11
	v_cmp_gt_u32_e32 vcc, 8, v11
	v_subrev_u32_e32 v11, 28, v8
	v_sub_u32_e32 v8, 29, v8
	v_cndmask_b32_e32 v8, v10, v8, vcc
	v_cndmask_b32_e32 v10, 0, v11, vcc
	v_lshlrev_b64 v[10:11], v10, v[52:53]
	v_lshlrev_b32_e32 v11, 24, v52
	v_lshlrev_b32_e32 v10, 20, v10
	v_bfrev_b32_e32 v20, 60
	v_and_b32_e32 v10, 0x700000, v10
	v_and_b32_e32 v11, 0x80000000, v11
	v_lshl_add_u32 v8, v8, 23, v20
	v_or3_b32 v10, v11, v8, v10
.LBB6_3909:                             ;   in Loop: Header=BB6_3341 Depth=2
	s_or_b64 exec, exec, s[92:93]
.LBB6_3910:                             ;   in Loop: Header=BB6_3341 Depth=2
	s_or_b64 exec, exec, s[90:91]
.LBB6_3911:                             ;   in Loop: Header=BB6_3341 Depth=2
	s_or_b64 exec, exec, s[22:23]
	v_cmp_gt_i16_sdwa s[90:91], v12, s51 src0_sel:BYTE_0 src1_sel:DWORD
	s_mov_b64 s[22:23], 0
	s_and_saveexec_b64 s[92:93], s[90:91]
	s_xor_b64 s[90:91], exec, s[92:93]
	s_cbranch_execnz .LBB6_4129
; %bb.3912:                             ;   in Loop: Header=BB6_3341 Depth=2
	s_or_saveexec_b64 s[90:91], s[90:91]
	v_bfrev_b32_e32 v8, 1
	s_xor_b64 exec, exec, s[90:91]
	s_cbranch_execnz .LBB6_4132
.LBB6_3913:                             ;   in Loop: Header=BB6_3341 Depth=2
	s_or_b64 exec, exec, s[90:91]
	s_and_saveexec_b64 s[90:91], s[22:23]
	s_cbranch_execz .LBB6_3915
.LBB6_3914:                             ;   in Loop: Header=BB6_3341 Depth=2
	v_and_b32_e32 v8, 7, v12
	v_ffbh_u32_e32 v8, v8
	v_and_b32_e32 v11, 0x7f, v12
	v_min_u32_e32 v8, 32, v8
	v_bfe_u32 v20, v12, 3, 4
	v_subrev_u32_e32 v21, 28, v8
	v_sub_u32_e32 v8, 29, v8
	v_cmp_gt_u32_e32 vcc, 8, v11
	v_cndmask_b32_e32 v8, v20, v8, vcc
	v_cndmask_b32_e32 v20, 0, v21, vcc
	v_lshlrev_b64 v[20:21], v20, v[12:13]
	v_lshlrev_b32_e32 v21, 24, v12
	v_lshlrev_b32_e32 v20, 20, v20
	v_bfrev_b32_e32 v26, 60
	v_and_b32_e32 v20, 0x700000, v20
	v_and_b32_e32 v21, 0x80000000, v21
	v_lshl_add_u32 v8, v8, 23, v26
	v_or3_b32 v8, v21, v8, v20
	v_cmp_ne_u32_e32 vcc, s51, v11
	v_mov_b32_e32 v11, 0x7f800001
	v_cndmask_b32_e32 v8, v11, v8, vcc
.LBB6_3915:                             ;   in Loop: Header=BB6_3341 Depth=2
	s_or_b64 exec, exec, s[90:91]
	v_add_f32_e32 v10, v10, v8
	v_and_b32_e32 v20, 0x7f800000, v10
	v_mov_b32_e32 v21, v53
	v_cmp_ne_u64_e32 vcc, s[56:57], v[20:21]
                                        ; implicit-def: $vgpr8
	s_and_saveexec_b64 s[22:23], vcc
	s_xor_b64 s[90:91], exec, s[22:23]
	s_cbranch_execz .LBB6_3929
; %bb.3916:                             ;   in Loop: Header=BB6_3341 Depth=2
	v_and_b32_e32 v20, 0x7fffffff, v10
	v_mov_b32_e32 v21, v53
	v_cmp_gt_u64_e32 vcc, s[58:59], v[20:21]
	v_and_b32_sdwa v27, v10, s53 dst_sel:DWORD dst_unused:UNUSED_PAD src0_sel:BYTE_3 src1_sel:DWORD
                                        ; implicit-def: $vgpr8
	s_and_saveexec_b64 s[22:23], vcc
	s_xor_b64 s[92:93], exec, s[22:23]
	s_cbranch_execz .LBB6_3926
; %bb.3917:                             ;   in Loop: Header=BB6_3341 Depth=2
	v_mov_b32_e32 v8, 0
	v_cmp_ne_u32_e32 vcc, 0, v10
	s_and_saveexec_b64 s[94:95], vcc
	s_cbranch_execz .LBB6_3925
; %bb.3918:                             ;   in Loop: Header=BB6_3341 Depth=2
	v_bfe_u32 v8, v10, 23, 8
	v_and_b32_e32 v11, 0x7fffff, v10
	v_cmp_gt_u32_e64 s[22:23], s54, v8
	v_sub_u32_e32 v10, 0x79, v8
	v_cmp_eq_u32_e32 vcc, 0, v8
	v_cndmask_b32_e64 v10, 0, v10, s[22:23]
	v_mov_b32_e32 v21, 0x78
	v_or_b32_e32 v20, 0x800000, v11
	v_cndmask_b32_e32 v30, v10, v21, vcc
	v_cndmask_b32_e32 v10, v20, v11, vcc
	v_add_u32_e32 v20, 20, v30
	v_lshlrev_b64 v[20:21], v20, -1
	v_mov_b32_e32 v11, v53
	v_add_u32_e32 v32, 19, v30
	v_bfi_b32 v20, v20, 0, v10
	v_lshlrev_b64 v[35:36], v32, 1
	v_lshrrev_b64 v[10:11], v30, v[10:11]
	v_bfi_b32 v21, v21, 0, 0
	v_cmp_eq_u64_e64 s[22:23], v[20:21], v[35:36]
	v_mov_b32_e32 v21, v11
	v_mov_b32_e32 v20, v10
	s_and_saveexec_b64 s[30:31], s[22:23]
; %bb.3919:                             ;   in Loop: Header=BB6_3341 Depth=2
	v_bfe_u32 v11, v10, 20, 1
	v_add_co_u32_e64 v11, s[22:23], v10, v11
	v_add_co_u32_e64 v20, s[22:23], -1, v11
; %bb.3920:                             ;   in Loop: Header=BB6_3341 Depth=2
	s_or_b64 exec, exec, s[30:31]
	v_add_u32_e32 v8, 0xffffff81, v8
	v_mov_b32_e32 v11, 0xffffff82
	v_cndmask_b32_e32 v8, v8, v11, vcc
	v_lshrrev_b32_e32 v11, 23, v10
	v_add3_u32 v30, v30, v8, v11
	v_add_u32_e32 v21, 6, v30
	v_and_b32_e32 v8, 0xfffff, v20
	v_add_u32_e32 v10, v8, v10
	v_mov_b32_e32 v11, v53
	v_cmp_ne_u32_e32 vcc, 0, v21
                                        ; implicit-def: $vgpr8
	s_and_saveexec_b64 s[22:23], vcc
	s_xor_b64 s[22:23], exec, s[22:23]
; %bb.3921:                             ;   in Loop: Header=BB6_3341 Depth=2
	v_cmp_lt_u64_e32 vcc, s[60:61], v[10:11]
	v_add_u32_e32 v8, 7, v30
	v_cndmask_b32_e64 v20, 0, 1, vcc
	v_cndmask_b32_e32 v8, v21, v8, vcc
	v_lshrrev_b64 v[10:11], v20, v[10:11]
; %bb.3922:                             ;   in Loop: Header=BB6_3341 Depth=2
	s_andn2_saveexec_b64 s[22:23], s[22:23]
; %bb.3923:                             ;   in Loop: Header=BB6_3341 Depth=2
	v_bfe_u32 v8, v10, 23, 1
; %bb.3924:                             ;   in Loop: Header=BB6_3341 Depth=2
	s_or_b64 exec, exec, s[22:23]
	v_lshrrev_b64 v[10:11], 20, v[10:11]
	v_cmp_gt_i32_e32 vcc, 16, v8
	v_cndmask_b32_e32 v11, 0, v11, vcc
	v_cndmask_b32_e32 v10, 7, v10, vcc
	v_cmp_eq_u32_e32 vcc, 0, v8
	v_min_i32_e32 v8, 15, v8
	v_cmp_eq_u64_e64 s[22:23], 0, v[10:11]
	v_lshlrev_b32_e32 v8, 3, v8
	v_and_b32_e32 v8, 0xf8, v8
	v_and_or_b32 v8, v10, 7, v8
	s_and_b64 s[22:23], vcc, s[22:23]
	v_cndmask_b32_e64 v8, v8, 0, s[22:23]
	v_or_b32_e32 v8, v8, v27
.LBB6_3925:                             ;   in Loop: Header=BB6_3341 Depth=2
	s_or_b64 exec, exec, s[94:95]
                                        ; implicit-def: $vgpr27
.LBB6_3926:                             ;   in Loop: Header=BB6_3341 Depth=2
	s_andn2_saveexec_b64 s[22:23], s[92:93]
; %bb.3927:                             ;   in Loop: Header=BB6_3341 Depth=2
	v_or_b32_e32 v8, 0x7e, v27
; %bb.3928:                             ;   in Loop: Header=BB6_3341 Depth=2
	s_or_b64 exec, exec, s[22:23]
                                        ; implicit-def: $vgpr10
.LBB6_3929:                             ;   in Loop: Header=BB6_3341 Depth=2
	s_andn2_saveexec_b64 s[22:23], s[90:91]
; %bb.3930:                             ;   in Loop: Header=BB6_3341 Depth=2
	v_or_b32_sdwa v8, v10, s51 dst_sel:DWORD dst_unused:UNUSED_PAD src0_sel:BYTE_3 src1_sel:DWORD
; %bb.3931:                             ;   in Loop: Header=BB6_3341 Depth=2
	s_or_b64 exec, exec, s[22:23]
	v_lshrrev_b16_e32 v10, 8, v22
	v_cmp_ne_u16_e32 vcc, 0, v10
	v_mov_b32_e32 v20, 0
	s_and_saveexec_b64 s[22:23], vcc
	s_cbranch_execz .LBB6_3937
; %bb.3932:                             ;   in Loop: Header=BB6_3341 Depth=2
	v_cmp_ne_u16_e32 vcc, s53, v10
	v_bfrev_b32_e32 v20, 1
	s_and_saveexec_b64 s[90:91], vcc
	s_cbranch_execz .LBB6_3936
; %bb.3933:                             ;   in Loop: Header=BB6_3341 Depth=2
	v_and_b32_e32 v11, 0x7f, v10
	v_cmp_ne_u32_e32 vcc, s51, v11
	v_mov_b32_e32 v20, 0x7f800001
	s_and_saveexec_b64 s[92:93], vcc
	s_cbranch_execz .LBB6_3935
; %bb.3934:                             ;   in Loop: Header=BB6_3341 Depth=2
	v_and_b32_e32 v20, 7, v10
	v_lshrrev_b32_e32 v21, 3, v11
	v_cmp_gt_u32_e32 vcc, 8, v11
	v_ffbh_u32_e32 v11, v20
	v_min_u32_e32 v27, 32, v11
	v_subrev_u32_e32 v11, 28, v27
	v_lshlrev_b64 v[10:11], v11, v[10:11]
	v_sub_u32_e32 v11, 29, v27
	v_and_b32_e32 v10, 7, v10
	v_cndmask_b32_e32 v11, v21, v11, vcc
	v_cndmask_b32_e32 v10, v20, v10, vcc
	v_lshlrev_b32_e32 v20, 16, v22
	v_bfrev_b32_e32 v21, 60
	v_lshlrev_b32_e32 v10, 20, v10
	v_and_b32_e32 v20, 0x80000000, v20
	v_lshl_add_u32 v11, v11, 23, v21
	v_or3_b32 v20, v20, v11, v10
.LBB6_3935:                             ;   in Loop: Header=BB6_3341 Depth=2
	s_or_b64 exec, exec, s[92:93]
.LBB6_3936:                             ;   in Loop: Header=BB6_3341 Depth=2
	s_or_b64 exec, exec, s[90:91]
.LBB6_3937:                             ;   in Loop: Header=BB6_3341 Depth=2
	s_or_b64 exec, exec, s[22:23]
	v_lshrrev_b16_e32 v10, 8, v12
	v_cmp_lt_i16_e32 vcc, s51, v10
	s_mov_b64 s[22:23], 0
	s_and_saveexec_b64 s[90:91], vcc
	s_xor_b64 s[90:91], exec, s[90:91]
	s_cbranch_execnz .LBB6_4133
; %bb.3938:                             ;   in Loop: Header=BB6_3341 Depth=2
	s_or_saveexec_b64 s[90:91], s[90:91]
	v_bfrev_b32_e32 v11, 1
	s_xor_b64 exec, exec, s[90:91]
	s_cbranch_execnz .LBB6_4136
.LBB6_3939:                             ;   in Loop: Header=BB6_3341 Depth=2
	s_or_b64 exec, exec, s[90:91]
	s_and_saveexec_b64 s[90:91], s[22:23]
	s_cbranch_execz .LBB6_3941
.LBB6_3940:                             ;   in Loop: Header=BB6_3341 Depth=2
	v_and_b32_e32 v27, 7, v10
	v_ffbh_u32_e32 v21, v27
	v_min_u32_e32 v35, 32, v21
	v_mov_b32_e32 v11, v53
	v_subrev_u32_e32 v21, 28, v35
	v_lshlrev_b64 v[21:22], v21, v[10:11]
	v_and_b32_e32 v30, 0x7f, v10
	v_bfe_u32 v32, v10, 3, 4
	v_sub_u32_e32 v11, 29, v35
	v_and_b32_e32 v21, 7, v21
	v_cmp_gt_u32_e32 vcc, 8, v30
	v_cndmask_b32_e32 v11, v32, v11, vcc
	v_cndmask_b32_e32 v21, v27, v21, vcc
	v_lshlrev_b32_e32 v10, 24, v10
	v_bfrev_b32_e32 v22, 60
	v_lshlrev_b32_e32 v21, 20, v21
	v_and_b32_e32 v10, 0x80000000, v10
	v_lshl_add_u32 v11, v11, 23, v22
	v_or3_b32 v10, v10, v11, v21
	v_cmp_ne_u32_e32 vcc, s51, v30
	v_mov_b32_e32 v11, 0x7f800001
	v_cndmask_b32_e32 v11, v11, v10, vcc
.LBB6_3941:                             ;   in Loop: Header=BB6_3341 Depth=2
	s_or_b64 exec, exec, s[90:91]
	v_add_f32_e32 v10, v20, v11
	v_and_b32_e32 v20, 0x7f800000, v10
	v_mov_b32_e32 v21, v53
	v_cmp_ne_u64_e32 vcc, s[56:57], v[20:21]
                                        ; implicit-def: $vgpr27
	s_and_saveexec_b64 s[22:23], vcc
	s_xor_b64 s[90:91], exec, s[22:23]
	s_cbranch_execz .LBB6_3955
; %bb.3942:                             ;   in Loop: Header=BB6_3341 Depth=2
	v_and_b32_e32 v20, 0x7fffffff, v10
	v_mov_b32_e32 v21, v53
	v_cmp_gt_u64_e32 vcc, s[58:59], v[20:21]
	v_and_b32_sdwa v22, v10, s53 dst_sel:DWORD dst_unused:UNUSED_PAD src0_sel:BYTE_3 src1_sel:DWORD
                                        ; implicit-def: $vgpr27
	s_and_saveexec_b64 s[22:23], vcc
	s_xor_b64 s[92:93], exec, s[22:23]
	s_cbranch_execz .LBB6_3952
; %bb.3943:                             ;   in Loop: Header=BB6_3341 Depth=2
	v_mov_b32_e32 v27, 0
	v_cmp_ne_u32_e32 vcc, 0, v10
	s_and_saveexec_b64 s[94:95], vcc
	s_cbranch_execz .LBB6_3951
; %bb.3944:                             ;   in Loop: Header=BB6_3341 Depth=2
	v_bfe_u32 v27, v10, 23, 8
	v_and_b32_e32 v11, 0x7fffff, v10
	v_cmp_gt_u32_e64 s[22:23], s54, v27
	v_sub_u32_e32 v10, 0x79, v27
	v_cmp_eq_u32_e32 vcc, 0, v27
	v_cndmask_b32_e64 v10, 0, v10, s[22:23]
	v_mov_b32_e32 v21, 0x78
	v_or_b32_e32 v20, 0x800000, v11
	v_cndmask_b32_e32 v30, v10, v21, vcc
	v_cndmask_b32_e32 v10, v20, v11, vcc
	v_add_u32_e32 v20, 20, v30
	v_lshlrev_b64 v[20:21], v20, -1
	v_mov_b32_e32 v11, v53
	v_add_u32_e32 v32, 19, v30
	v_bfi_b32 v20, v20, 0, v10
	v_lshlrev_b64 v[35:36], v32, 1
	v_lshrrev_b64 v[10:11], v30, v[10:11]
	v_bfi_b32 v21, v21, 0, 0
	v_cmp_eq_u64_e64 s[22:23], v[20:21], v[35:36]
	v_mov_b32_e32 v21, v11
	v_mov_b32_e32 v20, v10
	s_and_saveexec_b64 s[30:31], s[22:23]
; %bb.3945:                             ;   in Loop: Header=BB6_3341 Depth=2
	v_bfe_u32 v11, v10, 20, 1
	v_add_co_u32_e64 v11, s[22:23], v10, v11
	v_add_co_u32_e64 v20, s[22:23], -1, v11
; %bb.3946:                             ;   in Loop: Header=BB6_3341 Depth=2
	s_or_b64 exec, exec, s[30:31]
	v_add_u32_e32 v11, 0xffffff81, v27
	v_mov_b32_e32 v21, 0xffffff82
	v_cndmask_b32_e32 v11, v11, v21, vcc
	v_lshrrev_b32_e32 v21, 23, v10
	v_add3_u32 v27, v30, v11, v21
	v_add_u32_e32 v21, 6, v27
	v_and_b32_e32 v11, 0xfffff, v20
	v_add_u32_e32 v10, v11, v10
	v_mov_b32_e32 v11, v53
	v_cmp_ne_u32_e32 vcc, 0, v21
                                        ; implicit-def: $vgpr20
	s_and_saveexec_b64 s[22:23], vcc
	s_xor_b64 s[22:23], exec, s[22:23]
; %bb.3947:                             ;   in Loop: Header=BB6_3341 Depth=2
	v_cmp_lt_u64_e32 vcc, s[60:61], v[10:11]
	v_add_u32_e32 v20, 7, v27
	v_cndmask_b32_e32 v20, v21, v20, vcc
	v_cndmask_b32_e64 v21, 0, 1, vcc
	v_lshrrev_b64 v[10:11], v21, v[10:11]
; %bb.3948:                             ;   in Loop: Header=BB6_3341 Depth=2
	s_andn2_saveexec_b64 s[22:23], s[22:23]
; %bb.3949:                             ;   in Loop: Header=BB6_3341 Depth=2
	v_bfe_u32 v20, v10, 23, 1
; %bb.3950:                             ;   in Loop: Header=BB6_3341 Depth=2
	s_or_b64 exec, exec, s[22:23]
	v_lshrrev_b64 v[10:11], 20, v[10:11]
	v_cmp_gt_i32_e32 vcc, 16, v20
	v_cndmask_b32_e32 v11, 0, v11, vcc
	v_cndmask_b32_e32 v10, 7, v10, vcc
	v_cmp_eq_u64_e64 s[22:23], 0, v[10:11]
	v_min_i32_e32 v11, 15, v20
	v_lshlrev_b32_e32 v11, 3, v11
	v_cmp_eq_u32_e32 vcc, 0, v20
	v_and_b32_e32 v11, 0xf8, v11
	v_and_or_b32 v10, v10, 7, v11
	s_and_b64 s[22:23], vcc, s[22:23]
	v_cndmask_b32_e64 v10, v10, 0, s[22:23]
	v_or_b32_e32 v27, v10, v22
.LBB6_3951:                             ;   in Loop: Header=BB6_3341 Depth=2
	s_or_b64 exec, exec, s[94:95]
                                        ; implicit-def: $vgpr22
.LBB6_3952:                             ;   in Loop: Header=BB6_3341 Depth=2
	s_andn2_saveexec_b64 s[22:23], s[92:93]
; %bb.3953:                             ;   in Loop: Header=BB6_3341 Depth=2
	v_or_b32_e32 v27, 0x7e, v22
; %bb.3954:                             ;   in Loop: Header=BB6_3341 Depth=2
	s_or_b64 exec, exec, s[22:23]
                                        ; implicit-def: $vgpr10
.LBB6_3955:                             ;   in Loop: Header=BB6_3341 Depth=2
	s_andn2_saveexec_b64 s[22:23], s[90:91]
; %bb.3956:                             ;   in Loop: Header=BB6_3341 Depth=2
	v_or_b32_sdwa v27, v10, s51 dst_sel:DWORD dst_unused:UNUSED_PAD src0_sel:BYTE_3 src1_sel:DWORD
; %bb.3957:                             ;   in Loop: Header=BB6_3341 Depth=2
	s_or_b64 exec, exec, s[22:23]
	v_lshrrev_b32_e32 v10, 16, v52
	v_cmp_ne_u16_sdwa s[90:91], v10, v53 src0_sel:BYTE_0 src1_sel:DWORD
	v_mov_b32_e32 v11, 0
	s_and_saveexec_b64 s[22:23], s[90:91]
	s_cbranch_execz .LBB6_3963
; %bb.3958:                             ;   in Loop: Header=BB6_3341 Depth=2
	v_cmp_ne_u16_sdwa s[92:93], v10, s53 src0_sel:BYTE_0 src1_sel:DWORD
	v_bfrev_b32_e32 v11, 1
	s_and_saveexec_b64 s[90:91], s[92:93]
	s_cbranch_execz .LBB6_3962
; %bb.3959:                             ;   in Loop: Header=BB6_3341 Depth=2
	v_bfe_u32 v20, v52, 16, 7
	v_cmp_ne_u32_e32 vcc, s51, v20
	v_mov_b32_e32 v11, 0x7f800001
	s_and_saveexec_b64 s[92:93], vcc
	s_cbranch_execz .LBB6_3961
; %bb.3960:                             ;   in Loop: Header=BB6_3341 Depth=2
	v_and_b32_e32 v11, 7, v10
	v_lshrrev_b32_e32 v22, 3, v20
	v_cmp_gt_u32_e32 vcc, 8, v20
	v_ffbh_u32_e32 v20, v11
	v_min_u32_e32 v30, 32, v20
	v_subrev_u32_e32 v20, 28, v30
	v_lshlrev_b64 v[20:21], v20, v[10:11]
	v_sub_u32_e32 v21, 29, v30
	v_and_b32_e32 v20, 7, v20
	v_cndmask_b32_e32 v21, v22, v21, vcc
	v_cndmask_b32_e32 v11, v11, v20, vcc
	v_lshlrev_b32_e32 v10, 24, v10
	v_bfrev_b32_e32 v20, 60
	v_lshlrev_b32_e32 v11, 20, v11
	v_and_b32_e32 v10, 0x80000000, v10
	v_lshl_add_u32 v20, v21, 23, v20
	v_or3_b32 v11, v10, v20, v11
.LBB6_3961:                             ;   in Loop: Header=BB6_3341 Depth=2
	s_or_b64 exec, exec, s[92:93]
.LBB6_3962:                             ;   in Loop: Header=BB6_3341 Depth=2
	s_or_b64 exec, exec, s[90:91]
.LBB6_3963:                             ;   in Loop: Header=BB6_3341 Depth=2
	s_or_b64 exec, exec, s[22:23]
	v_lshrrev_b32_e32 v10, 16, v12
	v_cmp_gt_i16_sdwa s[90:91], v10, s51 src0_sel:BYTE_0 src1_sel:DWORD
	s_mov_b64 s[22:23], 0
	s_and_saveexec_b64 s[92:93], s[90:91]
	s_xor_b64 s[90:91], exec, s[92:93]
	s_cbranch_execnz .LBB6_4137
; %bb.3964:                             ;   in Loop: Header=BB6_3341 Depth=2
	s_or_saveexec_b64 s[90:91], s[90:91]
	v_bfrev_b32_e32 v20, 1
	s_xor_b64 exec, exec, s[90:91]
	s_cbranch_execnz .LBB6_4140
.LBB6_3965:                             ;   in Loop: Header=BB6_3341 Depth=2
	s_or_b64 exec, exec, s[90:91]
	s_and_saveexec_b64 s[90:91], s[22:23]
	s_cbranch_execz .LBB6_3967
.LBB6_3966:                             ;   in Loop: Header=BB6_3341 Depth=2
	v_and_b32_e32 v22, 7, v10
	v_ffbh_u32_e32 v20, v22
	v_min_u32_e32 v35, 32, v20
	v_subrev_u32_e32 v20, 28, v35
	v_lshlrev_b64 v[20:21], v20, v[10:11]
	v_and_b32_e32 v30, 0x7f, v10
	v_bfe_u32 v32, v10, 3, 4
	v_sub_u32_e32 v21, 29, v35
	v_and_b32_e32 v20, 7, v20
	v_cmp_gt_u32_e32 vcc, 8, v30
	v_cndmask_b32_e32 v21, v32, v21, vcc
	v_cndmask_b32_e32 v20, v22, v20, vcc
	v_lshlrev_b32_e32 v10, 24, v10
	v_bfrev_b32_e32 v22, 60
	v_lshlrev_b32_e32 v20, 20, v20
	v_and_b32_e32 v10, 0x80000000, v10
	v_lshl_add_u32 v21, v21, 23, v22
	v_or3_b32 v10, v10, v21, v20
	v_cmp_ne_u32_e32 vcc, s51, v30
	v_mov_b32_e32 v20, 0x7f800001
	v_cndmask_b32_e32 v20, v20, v10, vcc
.LBB6_3967:                             ;   in Loop: Header=BB6_3341 Depth=2
	s_or_b64 exec, exec, s[90:91]
	v_add_f32_e32 v10, v11, v20
	v_and_b32_e32 v20, 0x7f800000, v10
	v_mov_b32_e32 v21, v53
	v_cmp_ne_u64_e32 vcc, s[56:57], v[20:21]
                                        ; implicit-def: $vgpr30
	s_and_saveexec_b64 s[22:23], vcc
	s_xor_b64 s[90:91], exec, s[22:23]
	s_cbranch_execz .LBB6_3981
; %bb.3968:                             ;   in Loop: Header=BB6_3341 Depth=2
	v_and_b32_e32 v20, 0x7fffffff, v10
	v_mov_b32_e32 v21, v53
	v_cmp_gt_u64_e32 vcc, s[58:59], v[20:21]
	v_and_b32_sdwa v22, v10, s53 dst_sel:DWORD dst_unused:UNUSED_PAD src0_sel:BYTE_3 src1_sel:DWORD
                                        ; implicit-def: $vgpr30
	s_and_saveexec_b64 s[22:23], vcc
	s_xor_b64 s[92:93], exec, s[22:23]
	s_cbranch_execz .LBB6_3978
; %bb.3969:                             ;   in Loop: Header=BB6_3341 Depth=2
	v_mov_b32_e32 v30, 0
	v_cmp_ne_u32_e32 vcc, 0, v10
	s_and_saveexec_b64 s[94:95], vcc
	s_cbranch_execz .LBB6_3977
; %bb.3970:                             ;   in Loop: Header=BB6_3341 Depth=2
	v_bfe_u32 v30, v10, 23, 8
	v_and_b32_e32 v11, 0x7fffff, v10
	v_cmp_gt_u32_e64 s[22:23], s54, v30
	v_sub_u32_e32 v10, 0x79, v30
	v_cmp_eq_u32_e32 vcc, 0, v30
	v_cndmask_b32_e64 v10, 0, v10, s[22:23]
	v_mov_b32_e32 v21, 0x78
	v_or_b32_e32 v20, 0x800000, v11
	v_cndmask_b32_e32 v32, v10, v21, vcc
	v_cndmask_b32_e32 v10, v20, v11, vcc
	v_add_u32_e32 v20, 20, v32
	v_lshlrev_b64 v[20:21], v20, -1
	v_mov_b32_e32 v11, v53
	v_add_u32_e32 v35, 19, v32
	v_bfi_b32 v20, v20, 0, v10
	v_lshlrev_b64 v[35:36], v35, 1
	v_lshrrev_b64 v[10:11], v32, v[10:11]
	v_bfi_b32 v21, v21, 0, 0
	v_cmp_eq_u64_e64 s[22:23], v[20:21], v[35:36]
	v_mov_b32_e32 v21, v11
	v_mov_b32_e32 v20, v10
	s_and_saveexec_b64 s[30:31], s[22:23]
; %bb.3971:                             ;   in Loop: Header=BB6_3341 Depth=2
	v_bfe_u32 v11, v10, 20, 1
	v_add_co_u32_e64 v11, s[22:23], v10, v11
	v_add_co_u32_e64 v20, s[22:23], -1, v11
; %bb.3972:                             ;   in Loop: Header=BB6_3341 Depth=2
	s_or_b64 exec, exec, s[30:31]
	v_add_u32_e32 v11, 0xffffff81, v30
	v_mov_b32_e32 v21, 0xffffff82
	v_cndmask_b32_e32 v11, v11, v21, vcc
	v_lshrrev_b32_e32 v21, 23, v10
	v_add3_u32 v30, v32, v11, v21
	v_add_u32_e32 v21, 6, v30
	v_and_b32_e32 v11, 0xfffff, v20
	v_add_u32_e32 v10, v11, v10
	v_mov_b32_e32 v11, v53
	v_cmp_ne_u32_e32 vcc, 0, v21
                                        ; implicit-def: $vgpr20
	s_and_saveexec_b64 s[22:23], vcc
	s_xor_b64 s[22:23], exec, s[22:23]
; %bb.3973:                             ;   in Loop: Header=BB6_3341 Depth=2
	v_cmp_lt_u64_e32 vcc, s[60:61], v[10:11]
	v_add_u32_e32 v20, 7, v30
	v_cndmask_b32_e32 v20, v21, v20, vcc
	v_cndmask_b32_e64 v21, 0, 1, vcc
	v_lshrrev_b64 v[10:11], v21, v[10:11]
; %bb.3974:                             ;   in Loop: Header=BB6_3341 Depth=2
	s_andn2_saveexec_b64 s[22:23], s[22:23]
; %bb.3975:                             ;   in Loop: Header=BB6_3341 Depth=2
	v_bfe_u32 v20, v10, 23, 1
; %bb.3976:                             ;   in Loop: Header=BB6_3341 Depth=2
	s_or_b64 exec, exec, s[22:23]
	v_lshrrev_b64 v[10:11], 20, v[10:11]
	v_cmp_gt_i32_e32 vcc, 16, v20
	v_cndmask_b32_e32 v11, 0, v11, vcc
	v_cndmask_b32_e32 v10, 7, v10, vcc
	v_cmp_eq_u64_e64 s[22:23], 0, v[10:11]
	v_min_i32_e32 v11, 15, v20
	v_lshlrev_b32_e32 v11, 3, v11
	v_cmp_eq_u32_e32 vcc, 0, v20
	v_and_b32_e32 v11, 0xf8, v11
	v_and_or_b32 v10, v10, 7, v11
	s_and_b64 s[22:23], vcc, s[22:23]
	v_cndmask_b32_e64 v10, v10, 0, s[22:23]
	v_or_b32_e32 v30, v10, v22
.LBB6_3977:                             ;   in Loop: Header=BB6_3341 Depth=2
	s_or_b64 exec, exec, s[94:95]
                                        ; implicit-def: $vgpr22
.LBB6_3978:                             ;   in Loop: Header=BB6_3341 Depth=2
	s_andn2_saveexec_b64 s[22:23], s[92:93]
; %bb.3979:                             ;   in Loop: Header=BB6_3341 Depth=2
	v_or_b32_e32 v30, 0x7e, v22
; %bb.3980:                             ;   in Loop: Header=BB6_3341 Depth=2
	s_or_b64 exec, exec, s[22:23]
                                        ; implicit-def: $vgpr10
.LBB6_3981:                             ;   in Loop: Header=BB6_3341 Depth=2
	s_andn2_saveexec_b64 s[22:23], s[90:91]
; %bb.3982:                             ;   in Loop: Header=BB6_3341 Depth=2
	v_or_b32_sdwa v30, v10, s51 dst_sel:DWORD dst_unused:UNUSED_PAD src0_sel:BYTE_3 src1_sel:DWORD
; %bb.3983:                             ;   in Loop: Header=BB6_3341 Depth=2
	s_or_b64 exec, exec, s[22:23]
	v_cmp_lt_u32_e32 vcc, s63, v52
	v_mov_b32_e32 v11, 0
	s_and_saveexec_b64 s[22:23], vcc
	s_cbranch_execz .LBB6_3989
; %bb.3984:                             ;   in Loop: Header=BB6_3341 Depth=2
	v_lshrrev_b32_e32 v10, 24, v52
	v_cmp_ne_u32_sdwa s[92:93], v52, s53 src0_sel:BYTE_3 src1_sel:DWORD
	v_bfrev_b32_e32 v11, 1
	s_and_saveexec_b64 s[90:91], s[92:93]
	s_cbranch_execz .LBB6_3988
; %bb.3985:                             ;   in Loop: Header=BB6_3341 Depth=2
	v_bfe_u32 v20, v52, 24, 7
	v_cmp_ne_u32_e32 vcc, s51, v20
	v_mov_b32_e32 v11, 0x7f800001
	s_and_saveexec_b64 s[92:93], vcc
	s_cbranch_execz .LBB6_3987
; %bb.3986:                             ;   in Loop: Header=BB6_3341 Depth=2
	v_and_b32_e32 v21, 7, v10
	v_ffbh_u32_e32 v11, v21
	v_lshrrev_b32_e32 v22, 3, v20
	v_cmp_gt_u32_e32 vcc, 8, v20
	v_min_u32_e32 v20, 32, v11
	v_subrev_u32_e32 v11, 28, v20
	v_lshlrev_b64 v[10:11], v11, v[10:11]
	v_sub_u32_e32 v11, 29, v20
	v_and_b32_e32 v10, 7, v10
	v_mov_b32_e32 v20, 24
	v_cndmask_b32_e32 v11, v22, v11, vcc
	v_cndmask_b32_e32 v10, v21, v10, vcc
	v_lshlrev_b32_sdwa v20, v20, v52 dst_sel:DWORD dst_unused:UNUSED_PAD src0_sel:DWORD src1_sel:BYTE_3
	v_bfrev_b32_e32 v21, 60
	v_lshlrev_b32_e32 v10, 20, v10
	v_and_b32_e32 v20, 0x80000000, v20
	v_lshl_add_u32 v11, v11, 23, v21
	v_or3_b32 v11, v20, v11, v10
.LBB6_3987:                             ;   in Loop: Header=BB6_3341 Depth=2
	s_or_b64 exec, exec, s[92:93]
.LBB6_3988:                             ;   in Loop: Header=BB6_3341 Depth=2
	s_or_b64 exec, exec, s[90:91]
.LBB6_3989:                             ;   in Loop: Header=BB6_3341 Depth=2
	s_or_b64 exec, exec, s[22:23]
	v_bfe_u32 v22, v12, 24, 3
	v_ffbh_u32_e32 v20, v22
	v_min_u32_e32 v36, 32, v20
	v_lshrrev_b32_e32 v10, 24, v12
	v_subrev_u32_e32 v20, 28, v36
	v_lshlrev_b64 v[20:21], v20, v[10:11]
	v_bfe_u32 v32, v12, 24, 7
	v_bfe_u32 v35, v10, 3, 4
	v_sub_u32_e32 v21, 29, v36
	v_and_b32_e32 v20, 7, v20
	v_cmp_gt_u32_e32 vcc, 8, v32
	v_cndmask_b32_e32 v21, v35, v21, vcc
	v_cndmask_b32_e32 v20, v22, v20, vcc
	v_bfrev_b32_e32 v26, 60
	v_lshlrev_b32_e32 v20, 20, v20
	v_and_b32_e32 v22, 0x80000000, v12
	v_lshl_add_u32 v21, v21, 23, v26
	v_or3_b32 v20, v22, v21, v20
	v_cmp_ne_u32_e32 vcc, s51, v32
	v_mov_b32_e32 v21, 0x7f800001
	v_cndmask_b32_e32 v20, v21, v20, vcc
	v_cmp_ne_u32_e32 vcc, s53, v10
	v_bfrev_b32_e32 v10, 1
	v_cndmask_b32_e32 v10, v10, v20, vcc
	v_cmp_lt_u32_e32 vcc, s63, v12
	v_cndmask_b32_e32 v10, 0, v10, vcc
	v_add_f32_e32 v10, v10, v11
	v_and_b32_e32 v52, 0x7f800000, v10
	v_cmp_ne_u64_e32 vcc, s[56:57], v[52:53]
                                        ; implicit-def: $vgpr32
	s_and_saveexec_b64 s[22:23], vcc
	s_xor_b64 s[90:91], exec, s[22:23]
	s_cbranch_execz .LBB6_4003
; %bb.3990:                             ;   in Loop: Header=BB6_3341 Depth=2
	v_and_b32_e32 v52, 0x7fffffff, v10
	v_cmp_gt_u64_e32 vcc, s[58:59], v[52:53]
	v_and_b32_sdwa v22, v10, s53 dst_sel:DWORD dst_unused:UNUSED_PAD src0_sel:BYTE_3 src1_sel:DWORD
                                        ; implicit-def: $vgpr32
	s_and_saveexec_b64 s[22:23], vcc
	s_xor_b64 s[92:93], exec, s[22:23]
	s_cbranch_execz .LBB6_4000
; %bb.3991:                             ;   in Loop: Header=BB6_3341 Depth=2
	v_mov_b32_e32 v32, 0
	v_cmp_ne_u32_e32 vcc, 0, v10
	s_and_saveexec_b64 s[94:95], vcc
	s_cbranch_execz .LBB6_3999
; %bb.3992:                             ;   in Loop: Header=BB6_3341 Depth=2
	v_bfe_u32 v32, v10, 23, 8
	v_and_b32_e32 v11, 0x7fffff, v10
	v_cmp_gt_u32_e64 s[22:23], s54, v32
	v_sub_u32_e32 v10, 0x79, v32
	v_cmp_eq_u32_e32 vcc, 0, v32
	v_cndmask_b32_e64 v10, 0, v10, s[22:23]
	v_mov_b32_e32 v21, 0x78
	v_cndmask_b32_e32 v35, v10, v21, vcc
	v_or_b32_e32 v20, 0x800000, v11
	v_add_u32_e32 v10, 20, v35
	v_cndmask_b32_e32 v52, v20, v11, vcc
	v_lshlrev_b64 v[10:11], v10, -1
	v_add_u32_e32 v20, 19, v35
	v_lshlrev_b64 v[20:21], v20, 1
	v_bfi_b32 v11, v11, 0, 0
	v_bfi_b32 v10, v10, 0, v52
	v_cmp_eq_u64_e64 s[22:23], v[10:11], v[20:21]
	v_lshrrev_b64 v[10:11], v35, v[52:53]
	v_mov_b32_e32 v21, v11
	v_mov_b32_e32 v20, v10
	s_and_saveexec_b64 s[30:31], s[22:23]
; %bb.3993:                             ;   in Loop: Header=BB6_3341 Depth=2
	v_bfe_u32 v11, v10, 20, 1
	v_add_co_u32_e64 v11, s[22:23], v10, v11
	v_add_co_u32_e64 v20, s[22:23], -1, v11
; %bb.3994:                             ;   in Loop: Header=BB6_3341 Depth=2
	s_or_b64 exec, exec, s[30:31]
	v_add_u32_e32 v11, 0xffffff81, v32
	v_mov_b32_e32 v21, 0xffffff82
	v_cndmask_b32_e32 v11, v11, v21, vcc
	v_lshrrev_b32_e32 v21, 23, v10
	v_add3_u32 v32, v35, v11, v21
	v_add_u32_e32 v21, 6, v32
	v_and_b32_e32 v11, 0xfffff, v20
	v_add_u32_e32 v52, v11, v10
	v_cmp_ne_u32_e32 vcc, 0, v21
                                        ; implicit-def: $vgpr10_vgpr11
                                        ; implicit-def: $vgpr20
	s_and_saveexec_b64 s[22:23], vcc
	s_xor_b64 s[22:23], exec, s[22:23]
; %bb.3995:                             ;   in Loop: Header=BB6_3341 Depth=2
	v_cmp_lt_u64_e32 vcc, s[60:61], v[52:53]
	v_add_u32_e32 v10, 7, v32
	v_cndmask_b32_e32 v20, v21, v10, vcc
	v_cndmask_b32_e64 v10, 0, 1, vcc
	v_lshrrev_b64 v[10:11], v10, v[52:53]
; %bb.3996:                             ;   in Loop: Header=BB6_3341 Depth=2
	s_andn2_saveexec_b64 s[22:23], s[22:23]
; %bb.3997:                             ;   in Loop: Header=BB6_3341 Depth=2
	v_mov_b32_e32 v10, v52
	v_bfe_u32 v20, v52, 23, 1
	v_mov_b32_e32 v11, v53
; %bb.3998:                             ;   in Loop: Header=BB6_3341 Depth=2
	s_or_b64 exec, exec, s[22:23]
	v_lshrrev_b64 v[10:11], 20, v[10:11]
	v_cmp_gt_i32_e32 vcc, 16, v20
	v_cndmask_b32_e32 v11, 0, v11, vcc
	v_cndmask_b32_e32 v10, 7, v10, vcc
	v_cmp_eq_u64_e64 s[22:23], 0, v[10:11]
	v_min_i32_e32 v11, 15, v20
	v_lshlrev_b32_e32 v11, 3, v11
	v_cmp_eq_u32_e32 vcc, 0, v20
	v_and_b32_e32 v11, 0xf8, v11
	v_and_or_b32 v10, v10, 7, v11
	s_and_b64 s[22:23], vcc, s[22:23]
	v_cndmask_b32_e64 v10, v10, 0, s[22:23]
	v_or_b32_e32 v32, v10, v22
.LBB6_3999:                             ;   in Loop: Header=BB6_3341 Depth=2
	s_or_b64 exec, exec, s[94:95]
                                        ; implicit-def: $vgpr22
.LBB6_4000:                             ;   in Loop: Header=BB6_3341 Depth=2
	s_andn2_saveexec_b64 s[22:23], s[92:93]
; %bb.4001:                             ;   in Loop: Header=BB6_3341 Depth=2
	v_or_b32_e32 v32, 0x7e, v22
; %bb.4002:                             ;   in Loop: Header=BB6_3341 Depth=2
	s_or_b64 exec, exec, s[22:23]
                                        ; implicit-def: $vgpr10
.LBB6_4003:                             ;   in Loop: Header=BB6_3341 Depth=2
	s_andn2_saveexec_b64 s[22:23], s[90:91]
; %bb.4004:                             ;   in Loop: Header=BB6_3341 Depth=2
	v_or_b32_sdwa v32, v10, s51 dst_sel:DWORD dst_unused:UNUSED_PAD src0_sel:BYTE_3 src1_sel:DWORD
; %bb.4005:                             ;   in Loop: Header=BB6_3341 Depth=2
	s_or_b64 exec, exec, s[22:23]
	v_lshlrev_b32_e32 v10, 24, v28
	v_lshlrev_b32_e32 v11, 16, v25
	v_lshl_or_b32 v9, v9, 8, v0
	v_or3_b32 v52, v11, v10, v9
	v_cmp_ne_u32_e32 vcc, 0, v0
	v_mov_b32_e32 v20, 0
	s_and_saveexec_b64 s[22:23], vcc
	s_cbranch_execz .LBB6_4011
; %bb.4006:                             ;   in Loop: Header=BB6_3341 Depth=2
	v_cmp_ne_u32_e32 vcc, s53, v0
	v_bfrev_b32_e32 v20, 1
	s_and_saveexec_b64 s[90:91], vcc
	s_cbranch_execz .LBB6_4010
; %bb.4007:                             ;   in Loop: Header=BB6_3341 Depth=2
	v_and_b32_e32 v10, 0x7f, v0
	v_cmp_ne_u32_e32 vcc, s51, v10
	v_mov_b32_e32 v20, 0x7f800001
	s_and_saveexec_b64 s[92:93], vcc
	s_cbranch_execz .LBB6_4009
; %bb.4008:                             ;   in Loop: Header=BB6_3341 Depth=2
	v_and_b32_e32 v0, 7, v0
	v_ffbh_u32_e32 v0, v0
	v_min_u32_e32 v0, 32, v0
	v_lshrrev_b32_e32 v11, 3, v10
	v_cmp_gt_u32_e32 vcc, 8, v10
	v_subrev_u32_e32 v10, 28, v0
	v_sub_u32_e32 v0, 29, v0
	v_cndmask_b32_e32 v10, 0, v10, vcc
	v_cndmask_b32_e32 v0, v11, v0, vcc
	v_lshlrev_b64 v[10:11], v10, v[52:53]
	v_lshlrev_b32_e32 v11, 24, v52
	v_lshlrev_b32_e32 v10, 20, v10
	v_bfrev_b32_e32 v20, 60
	v_and_b32_e32 v10, 0x700000, v10
	v_and_b32_e32 v11, 0x80000000, v11
	v_lshl_add_u32 v0, v0, 23, v20
	v_or3_b32 v20, v11, v0, v10
.LBB6_4009:                             ;   in Loop: Header=BB6_3341 Depth=2
	s_or_b64 exec, exec, s[92:93]
.LBB6_4010:                             ;   in Loop: Header=BB6_3341 Depth=2
	s_or_b64 exec, exec, s[90:91]
.LBB6_4011:                             ;   in Loop: Header=BB6_3341 Depth=2
	s_or_b64 exec, exec, s[22:23]
	v_cmp_gt_i16_sdwa s[90:91], v13, s51 src0_sel:BYTE_0 src1_sel:DWORD
	s_mov_b64 s[22:23], 0
	s_and_saveexec_b64 s[92:93], s[90:91]
	s_xor_b64 s[90:91], exec, s[92:93]
	s_cbranch_execz .LBB6_4015
; %bb.4012:                             ;   in Loop: Header=BB6_3341 Depth=2
	v_cmp_eq_u16_sdwa s[94:95], v13, s53 src0_sel:BYTE_0 src1_sel:DWORD
	s_mov_b64 s[22:23], -1
	s_and_saveexec_b64 s[92:93], s[94:95]
; %bb.4013:                             ;   in Loop: Header=BB6_3341 Depth=2
	s_xor_b64 s[22:23], exec, -1
; %bb.4014:                             ;   in Loop: Header=BB6_3341 Depth=2
	s_or_b64 exec, exec, s[92:93]
	s_and_b64 s[22:23], s[22:23], exec
.LBB6_4015:                             ;   in Loop: Header=BB6_3341 Depth=2
	s_or_saveexec_b64 s[90:91], s[90:91]
	v_bfrev_b32_e32 v0, 1
	s_xor_b64 exec, exec, s[90:91]
; %bb.4016:                             ;   in Loop: Header=BB6_3341 Depth=2
	v_cmp_ne_u16_sdwa s[92:93], v13, v53 src0_sel:BYTE_0 src1_sel:DWORD
	s_andn2_b64 s[22:23], s[22:23], exec
	s_and_b64 s[92:93], s[92:93], exec
	v_mov_b32_e32 v0, 0
	s_or_b64 s[22:23], s[22:23], s[92:93]
; %bb.4017:                             ;   in Loop: Header=BB6_3341 Depth=2
	s_or_b64 exec, exec, s[90:91]
	v_mov_b32_e32 v10, v13
	v_mov_b32_e32 v11, v53
	s_and_saveexec_b64 s[90:91], s[22:23]
	s_cbranch_execz .LBB6_4019
; %bb.4018:                             ;   in Loop: Header=BB6_3341 Depth=2
	v_and_b32_e32 v0, 7, v13
	v_ffbh_u32_e32 v0, v0
	v_and_b32_e32 v25, 0x7f, v13
	v_min_u32_e32 v0, 32, v0
	v_bfe_u32 v21, v13, 3, 4
	v_subrev_u32_e32 v22, 28, v0
	v_sub_u32_e32 v0, 29, v0
	v_cmp_gt_u32_e32 vcc, 8, v25
	v_cndmask_b32_e32 v0, v21, v0, vcc
	v_cndmask_b32_e32 v21, 0, v22, vcc
	v_lshlrev_b64 v[21:22], v21, v[10:11]
	v_bfrev_b32_e32 v22, 60
	v_lshlrev_b32_e32 v11, 20, v21
	v_lshlrev_b32_e32 v21, 24, v10
	v_and_b32_e32 v11, 0x700000, v11
	v_and_b32_e32 v21, 0x80000000, v21
	v_lshl_add_u32 v0, v0, 23, v22
	v_or3_b32 v0, v21, v0, v11
	v_cmp_ne_u32_e32 vcc, s51, v25
	v_mov_b32_e32 v11, 0x7f800001
	v_cndmask_b32_e32 v0, v11, v0, vcc
.LBB6_4019:                             ;   in Loop: Header=BB6_3341 Depth=2
	s_or_b64 exec, exec, s[90:91]
	v_add_f32_e32 v20, v20, v0
	v_and_b32_e32 v21, 0x7f800000, v20
	v_mov_b32_e32 v22, v53
	v_cmp_ne_u64_e32 vcc, s[56:57], v[21:22]
                                        ; implicit-def: $vgpr0
	s_and_saveexec_b64 s[22:23], vcc
	s_xor_b64 s[90:91], exec, s[22:23]
	s_cbranch_execz .LBB6_4033
; %bb.4020:                             ;   in Loop: Header=BB6_3341 Depth=2
	v_and_b32_e32 v21, 0x7fffffff, v20
	v_mov_b32_e32 v22, v53
	v_cmp_gt_u64_e32 vcc, s[58:59], v[21:22]
	v_and_b32_sdwa v11, v20, s53 dst_sel:DWORD dst_unused:UNUSED_PAD src0_sel:BYTE_3 src1_sel:DWORD
                                        ; implicit-def: $vgpr0
	s_and_saveexec_b64 s[22:23], vcc
	s_xor_b64 s[92:93], exec, s[22:23]
	s_cbranch_execz .LBB6_4030
; %bb.4021:                             ;   in Loop: Header=BB6_3341 Depth=2
	v_mov_b32_e32 v0, 0
	v_cmp_ne_u32_e32 vcc, 0, v20
	s_and_saveexec_b64 s[94:95], vcc
	s_cbranch_execz .LBB6_4029
; %bb.4022:                             ;   in Loop: Header=BB6_3341 Depth=2
	v_bfe_u32 v0, v20, 23, 8
	v_and_b32_e32 v21, 0x7fffff, v20
	v_cmp_gt_u32_e64 s[22:23], s54, v0
	v_sub_u32_e32 v20, 0x79, v0
	v_cmp_eq_u32_e32 vcc, 0, v0
	v_cndmask_b32_e64 v20, 0, v20, s[22:23]
	v_mov_b32_e32 v25, 0x78
	v_or_b32_e32 v22, 0x800000, v21
	v_cndmask_b32_e32 v25, v20, v25, vcc
	v_cndmask_b32_e32 v20, v22, v21, vcc
	v_add_u32_e32 v22, 20, v25
	v_lshlrev_b64 v[35:36], v22, -1
	v_mov_b32_e32 v21, v53
	v_add_u32_e32 v22, 19, v25
	v_bfi_b32 v35, v35, 0, v20
	v_lshlrev_b64 v[37:38], v22, 1
	v_lshrrev_b64 v[20:21], v25, v[20:21]
	v_bfi_b32 v36, v36, 0, 0
	v_cmp_eq_u64_e64 s[22:23], v[35:36], v[37:38]
	v_mov_b32_e32 v22, v21
	v_mov_b32_e32 v21, v20
	s_and_saveexec_b64 s[30:31], s[22:23]
; %bb.4023:                             ;   in Loop: Header=BB6_3341 Depth=2
	v_bfe_u32 v21, v20, 20, 1
	v_add_co_u32_e64 v21, s[22:23], v20, v21
	v_add_co_u32_e64 v21, s[22:23], -1, v21
; %bb.4024:                             ;   in Loop: Header=BB6_3341 Depth=2
	s_or_b64 exec, exec, s[30:31]
	v_add_u32_e32 v0, 0xffffff81, v0
	v_mov_b32_e32 v22, 0xffffff82
	v_cndmask_b32_e32 v0, v0, v22, vcc
	v_lshrrev_b32_e32 v22, 23, v20
	v_add3_u32 v25, v25, v0, v22
	v_add_u32_e32 v22, 6, v25
	v_and_b32_e32 v0, 0xfffff, v21
	v_add_u32_e32 v20, v0, v20
	v_mov_b32_e32 v21, v53
	v_cmp_ne_u32_e32 vcc, 0, v22
                                        ; implicit-def: $vgpr0
	s_and_saveexec_b64 s[22:23], vcc
	s_xor_b64 s[22:23], exec, s[22:23]
; %bb.4025:                             ;   in Loop: Header=BB6_3341 Depth=2
	v_cmp_lt_u64_e32 vcc, s[60:61], v[20:21]
	v_add_u32_e32 v0, 7, v25
	v_cndmask_b32_e32 v0, v22, v0, vcc
	v_cndmask_b32_e64 v22, 0, 1, vcc
	v_lshrrev_b64 v[20:21], v22, v[20:21]
; %bb.4026:                             ;   in Loop: Header=BB6_3341 Depth=2
	s_andn2_saveexec_b64 s[22:23], s[22:23]
; %bb.4027:                             ;   in Loop: Header=BB6_3341 Depth=2
	v_bfe_u32 v0, v20, 23, 1
; %bb.4028:                             ;   in Loop: Header=BB6_3341 Depth=2
	s_or_b64 exec, exec, s[22:23]
	v_lshrrev_b64 v[20:21], 20, v[20:21]
	v_cmp_gt_i32_e32 vcc, 16, v0
	v_cndmask_b32_e32 v21, 0, v21, vcc
	v_cndmask_b32_e32 v20, 7, v20, vcc
	v_cmp_eq_u32_e32 vcc, 0, v0
	v_min_i32_e32 v0, 15, v0
	v_cmp_eq_u64_e64 s[22:23], 0, v[20:21]
	v_lshlrev_b32_e32 v0, 3, v0
	v_and_b32_e32 v0, 0xf8, v0
	v_and_or_b32 v0, v20, 7, v0
	s_and_b64 s[22:23], vcc, s[22:23]
	v_cndmask_b32_e64 v0, v0, 0, s[22:23]
	v_or_b32_e32 v0, v0, v11
.LBB6_4029:                             ;   in Loop: Header=BB6_3341 Depth=2
	s_or_b64 exec, exec, s[94:95]
                                        ; implicit-def: $vgpr11
.LBB6_4030:                             ;   in Loop: Header=BB6_3341 Depth=2
	s_andn2_saveexec_b64 s[22:23], s[92:93]
; %bb.4031:                             ;   in Loop: Header=BB6_3341 Depth=2
	v_or_b32_e32 v0, 0x7e, v11
; %bb.4032:                             ;   in Loop: Header=BB6_3341 Depth=2
	s_or_b64 exec, exec, s[22:23]
                                        ; implicit-def: $vgpr20
.LBB6_4033:                             ;   in Loop: Header=BB6_3341 Depth=2
	s_andn2_saveexec_b64 s[22:23], s[90:91]
; %bb.4034:                             ;   in Loop: Header=BB6_3341 Depth=2
	v_or_b32_sdwa v0, v20, s51 dst_sel:DWORD dst_unused:UNUSED_PAD src0_sel:BYTE_3 src1_sel:DWORD
; %bb.4035:                             ;   in Loop: Header=BB6_3341 Depth=2
	s_or_b64 exec, exec, s[22:23]
	v_lshrrev_b16_e32 v11, 8, v9
	v_cmp_ne_u16_e32 vcc, 0, v11
	v_mov_b32_e32 v20, 0
	s_and_saveexec_b64 s[22:23], vcc
	s_cbranch_execz .LBB6_4041
; %bb.4036:                             ;   in Loop: Header=BB6_3341 Depth=2
	v_cmp_ne_u16_e32 vcc, s53, v11
	v_bfrev_b32_e32 v20, 1
	s_and_saveexec_b64 s[90:91], vcc
	s_cbranch_execz .LBB6_4040
; %bb.4037:                             ;   in Loop: Header=BB6_3341 Depth=2
	v_and_b32_e32 v21, 0x7f, v11
	v_cmp_ne_u32_e32 vcc, s51, v21
	v_mov_b32_e32 v20, 0x7f800001
	s_and_saveexec_b64 s[92:93], vcc
	s_cbranch_execz .LBB6_4039
; %bb.4038:                             ;   in Loop: Header=BB6_3341 Depth=2
	v_and_b32_e32 v22, 7, v11
	v_ffbh_u32_e32 v20, v22
	v_min_u32_e32 v28, 32, v20
	v_subrev_u32_e32 v20, 28, v28
	v_lshrrev_b32_e32 v25, 3, v21
	v_cmp_gt_u32_e32 vcc, 8, v21
	v_lshlrev_b64 v[20:21], v20, v[11:12]
	v_sub_u32_e32 v11, 29, v28
	v_and_b32_e32 v20, 7, v20
	v_cndmask_b32_e32 v11, v25, v11, vcc
	v_cndmask_b32_e32 v20, v22, v20, vcc
	v_lshlrev_b32_e32 v9, 16, v9
	v_bfrev_b32_e32 v21, 60
	v_lshlrev_b32_e32 v20, 20, v20
	v_and_b32_e32 v9, 0x80000000, v9
	v_lshl_add_u32 v11, v11, 23, v21
	v_or3_b32 v20, v9, v11, v20
.LBB6_4039:                             ;   in Loop: Header=BB6_3341 Depth=2
	s_or_b64 exec, exec, s[92:93]
.LBB6_4040:                             ;   in Loop: Header=BB6_3341 Depth=2
	s_or_b64 exec, exec, s[90:91]
.LBB6_4041:                             ;   in Loop: Header=BB6_3341 Depth=2
	s_or_b64 exec, exec, s[22:23]
	v_lshrrev_b16_e32 v10, 8, v10
	v_cmp_lt_i16_e32 vcc, s51, v10
	s_mov_b64 s[22:23], 0
	s_and_saveexec_b64 s[90:91], vcc
	s_xor_b64 s[90:91], exec, s[90:91]
	s_cbranch_execnz .LBB6_4141
; %bb.4042:                             ;   in Loop: Header=BB6_3341 Depth=2
	s_or_saveexec_b64 s[90:91], s[90:91]
	v_bfrev_b32_e32 v9, 1
	s_xor_b64 exec, exec, s[90:91]
	s_cbranch_execnz .LBB6_4144
.LBB6_4043:                             ;   in Loop: Header=BB6_3341 Depth=2
	s_or_b64 exec, exec, s[90:91]
	s_and_saveexec_b64 s[90:91], s[22:23]
	s_cbranch_execz .LBB6_4045
.LBB6_4044:                             ;   in Loop: Header=BB6_3341 Depth=2
	v_and_b32_e32 v9, 7, v10
	v_ffbh_u32_e32 v21, v9
	v_min_u32_e32 v35, 32, v21
	v_mov_b32_e32 v11, v53
	v_subrev_u32_e32 v21, 28, v35
	v_lshlrev_b64 v[21:22], v21, v[10:11]
	v_and_b32_e32 v25, 0x7f, v10
	v_bfe_u32 v28, v10, 3, 4
	v_sub_u32_e32 v11, 29, v35
	v_and_b32_e32 v21, 7, v21
	v_cmp_gt_u32_e32 vcc, 8, v25
	v_cndmask_b32_e32 v11, v28, v11, vcc
	v_cndmask_b32_e32 v9, v9, v21, vcc
	v_lshlrev_b32_e32 v10, 24, v10
	v_bfrev_b32_e32 v21, 60
	v_lshlrev_b32_e32 v9, 20, v9
	v_and_b32_e32 v10, 0x80000000, v10
	v_lshl_add_u32 v11, v11, 23, v21
	v_or3_b32 v9, v10, v11, v9
	v_cmp_ne_u32_e32 vcc, s51, v25
	v_mov_b32_e32 v10, 0x7f800001
	v_cndmask_b32_e32 v9, v10, v9, vcc
.LBB6_4045:                             ;   in Loop: Header=BB6_3341 Depth=2
	s_or_b64 exec, exec, s[90:91]
	v_add_f32_e32 v10, v20, v9
	v_and_b32_e32 v20, 0x7f800000, v10
	v_mov_b32_e32 v21, v53
	v_cmp_ne_u64_e32 vcc, s[56:57], v[20:21]
                                        ; implicit-def: $vgpr9
	s_and_saveexec_b64 s[22:23], vcc
	s_xor_b64 s[90:91], exec, s[22:23]
	s_cbranch_execz .LBB6_4059
; %bb.4046:                             ;   in Loop: Header=BB6_3341 Depth=2
	v_and_b32_e32 v20, 0x7fffffff, v10
	v_mov_b32_e32 v21, v53
	v_cmp_gt_u64_e32 vcc, s[58:59], v[20:21]
	v_and_b32_sdwa v22, v10, s53 dst_sel:DWORD dst_unused:UNUSED_PAD src0_sel:BYTE_3 src1_sel:DWORD
                                        ; implicit-def: $vgpr9
	s_and_saveexec_b64 s[22:23], vcc
	s_xor_b64 s[92:93], exec, s[22:23]
	s_cbranch_execz .LBB6_4056
; %bb.4047:                             ;   in Loop: Header=BB6_3341 Depth=2
	v_mov_b32_e32 v9, 0
	v_cmp_ne_u32_e32 vcc, 0, v10
	s_and_saveexec_b64 s[94:95], vcc
	s_cbranch_execz .LBB6_4055
; %bb.4048:                             ;   in Loop: Header=BB6_3341 Depth=2
	v_bfe_u32 v9, v10, 23, 8
	v_and_b32_e32 v11, 0x7fffff, v10
	v_cmp_gt_u32_e64 s[22:23], s54, v9
	v_sub_u32_e32 v10, 0x79, v9
	v_cmp_eq_u32_e32 vcc, 0, v9
	v_cndmask_b32_e64 v10, 0, v10, s[22:23]
	v_mov_b32_e32 v21, 0x78
	v_or_b32_e32 v20, 0x800000, v11
	v_cndmask_b32_e32 v25, v10, v21, vcc
	v_cndmask_b32_e32 v10, v20, v11, vcc
	v_add_u32_e32 v20, 20, v25
	v_lshlrev_b64 v[20:21], v20, -1
	v_mov_b32_e32 v11, v53
	v_add_u32_e32 v28, 19, v25
	v_bfi_b32 v20, v20, 0, v10
	v_lshlrev_b64 v[35:36], v28, 1
	v_lshrrev_b64 v[10:11], v25, v[10:11]
	v_bfi_b32 v21, v21, 0, 0
	v_cmp_eq_u64_e64 s[22:23], v[20:21], v[35:36]
	v_mov_b32_e32 v21, v11
	v_mov_b32_e32 v20, v10
	s_and_saveexec_b64 s[30:31], s[22:23]
; %bb.4049:                             ;   in Loop: Header=BB6_3341 Depth=2
	v_bfe_u32 v11, v10, 20, 1
	v_add_co_u32_e64 v11, s[22:23], v10, v11
	v_add_co_u32_e64 v20, s[22:23], -1, v11
; %bb.4050:                             ;   in Loop: Header=BB6_3341 Depth=2
	s_or_b64 exec, exec, s[30:31]
	v_add_u32_e32 v9, 0xffffff81, v9
	v_mov_b32_e32 v11, 0xffffff82
	v_cndmask_b32_e32 v9, v9, v11, vcc
	v_lshrrev_b32_e32 v11, 23, v10
	v_add3_u32 v25, v25, v9, v11
	v_add_u32_e32 v21, 6, v25
	v_and_b32_e32 v9, 0xfffff, v20
	v_add_u32_e32 v10, v9, v10
	v_mov_b32_e32 v11, v53
	v_cmp_ne_u32_e32 vcc, 0, v21
                                        ; implicit-def: $vgpr9
	s_and_saveexec_b64 s[22:23], vcc
	s_xor_b64 s[22:23], exec, s[22:23]
; %bb.4051:                             ;   in Loop: Header=BB6_3341 Depth=2
	v_cmp_lt_u64_e32 vcc, s[60:61], v[10:11]
	v_add_u32_e32 v9, 7, v25
	v_cndmask_b32_e64 v20, 0, 1, vcc
	v_cndmask_b32_e32 v9, v21, v9, vcc
	v_lshrrev_b64 v[10:11], v20, v[10:11]
; %bb.4052:                             ;   in Loop: Header=BB6_3341 Depth=2
	s_andn2_saveexec_b64 s[22:23], s[22:23]
; %bb.4053:                             ;   in Loop: Header=BB6_3341 Depth=2
	v_bfe_u32 v9, v10, 23, 1
; %bb.4054:                             ;   in Loop: Header=BB6_3341 Depth=2
	s_or_b64 exec, exec, s[22:23]
	v_lshrrev_b64 v[10:11], 20, v[10:11]
	v_cmp_gt_i32_e32 vcc, 16, v9
	v_cndmask_b32_e32 v11, 0, v11, vcc
	v_cndmask_b32_e32 v10, 7, v10, vcc
	v_cmp_eq_u32_e32 vcc, 0, v9
	v_min_i32_e32 v9, 15, v9
	v_cmp_eq_u64_e64 s[22:23], 0, v[10:11]
	v_lshlrev_b32_e32 v9, 3, v9
	v_and_b32_e32 v9, 0xf8, v9
	v_and_or_b32 v9, v10, 7, v9
	s_and_b64 s[22:23], vcc, s[22:23]
	v_cndmask_b32_e64 v9, v9, 0, s[22:23]
	v_or_b32_e32 v9, v9, v22
.LBB6_4055:                             ;   in Loop: Header=BB6_3341 Depth=2
	s_or_b64 exec, exec, s[94:95]
                                        ; implicit-def: $vgpr22
.LBB6_4056:                             ;   in Loop: Header=BB6_3341 Depth=2
	s_andn2_saveexec_b64 s[22:23], s[92:93]
; %bb.4057:                             ;   in Loop: Header=BB6_3341 Depth=2
	v_or_b32_e32 v9, 0x7e, v22
; %bb.4058:                             ;   in Loop: Header=BB6_3341 Depth=2
	s_or_b64 exec, exec, s[22:23]
                                        ; implicit-def: $vgpr10
.LBB6_4059:                             ;   in Loop: Header=BB6_3341 Depth=2
	s_andn2_saveexec_b64 s[22:23], s[90:91]
; %bb.4060:                             ;   in Loop: Header=BB6_3341 Depth=2
	v_or_b32_sdwa v9, v10, s51 dst_sel:DWORD dst_unused:UNUSED_PAD src0_sel:BYTE_3 src1_sel:DWORD
; %bb.4061:                             ;   in Loop: Header=BB6_3341 Depth=2
	s_or_b64 exec, exec, s[22:23]
	v_lshrrev_b32_e32 v10, 16, v52
	v_cmp_ne_u16_sdwa s[90:91], v10, v53 src0_sel:BYTE_0 src1_sel:DWORD
	v_mov_b32_e32 v11, 0
	s_and_saveexec_b64 s[22:23], s[90:91]
	s_cbranch_execz .LBB6_4067
; %bb.4062:                             ;   in Loop: Header=BB6_3341 Depth=2
	v_cmp_ne_u16_sdwa s[92:93], v10, s53 src0_sel:BYTE_0 src1_sel:DWORD
	v_bfrev_b32_e32 v11, 1
	s_and_saveexec_b64 s[90:91], s[92:93]
	s_cbranch_execz .LBB6_4066
; %bb.4063:                             ;   in Loop: Header=BB6_3341 Depth=2
	v_bfe_u32 v20, v52, 16, 7
	v_cmp_ne_u32_e32 vcc, s51, v20
	v_mov_b32_e32 v11, 0x7f800001
	s_and_saveexec_b64 s[92:93], vcc
	s_cbranch_execz .LBB6_4065
; %bb.4064:                             ;   in Loop: Header=BB6_3341 Depth=2
	v_and_b32_e32 v11, 7, v10
	v_lshrrev_b32_e32 v22, 3, v20
	v_cmp_gt_u32_e32 vcc, 8, v20
	v_ffbh_u32_e32 v20, v11
	v_min_u32_e32 v25, 32, v20
	v_subrev_u32_e32 v20, 28, v25
	v_lshlrev_b64 v[20:21], v20, v[10:11]
	v_sub_u32_e32 v21, 29, v25
	v_and_b32_e32 v20, 7, v20
	v_cndmask_b32_e32 v21, v22, v21, vcc
	v_cndmask_b32_e32 v11, v11, v20, vcc
	v_lshlrev_b32_e32 v10, 24, v10
	v_bfrev_b32_e32 v20, 60
	v_lshlrev_b32_e32 v11, 20, v11
	v_and_b32_e32 v10, 0x80000000, v10
	v_lshl_add_u32 v20, v21, 23, v20
	v_or3_b32 v11, v10, v20, v11
.LBB6_4065:                             ;   in Loop: Header=BB6_3341 Depth=2
	s_or_b64 exec, exec, s[92:93]
.LBB6_4066:                             ;   in Loop: Header=BB6_3341 Depth=2
	s_or_b64 exec, exec, s[90:91]
.LBB6_4067:                             ;   in Loop: Header=BB6_3341 Depth=2
	s_or_b64 exec, exec, s[22:23]
	v_lshrrev_b32_e32 v10, 16, v13
	v_cmp_gt_i16_sdwa s[90:91], v10, s51 src0_sel:BYTE_0 src1_sel:DWORD
	s_mov_b64 s[22:23], 0
	s_and_saveexec_b64 s[92:93], s[90:91]
	s_xor_b64 s[90:91], exec, s[92:93]
	s_cbranch_execnz .LBB6_4145
; %bb.4068:                             ;   in Loop: Header=BB6_3341 Depth=2
	s_or_saveexec_b64 s[90:91], s[90:91]
	v_bfrev_b32_e32 v20, 1
	s_xor_b64 exec, exec, s[90:91]
	s_cbranch_execnz .LBB6_4148
.LBB6_4069:                             ;   in Loop: Header=BB6_3341 Depth=2
	s_or_b64 exec, exec, s[90:91]
	s_and_saveexec_b64 s[90:91], s[22:23]
	s_cbranch_execz .LBB6_4071
.LBB6_4070:                             ;   in Loop: Header=BB6_3341 Depth=2
	v_and_b32_e32 v22, 7, v10
	v_ffbh_u32_e32 v20, v22
	v_min_u32_e32 v35, 32, v20
	v_subrev_u32_e32 v20, 28, v35
	v_lshlrev_b64 v[20:21], v20, v[10:11]
	v_and_b32_e32 v25, 0x7f, v10
	v_bfe_u32 v28, v10, 3, 4
	v_sub_u32_e32 v21, 29, v35
	v_and_b32_e32 v20, 7, v20
	v_cmp_gt_u32_e32 vcc, 8, v25
	v_cndmask_b32_e32 v21, v28, v21, vcc
	v_cndmask_b32_e32 v20, v22, v20, vcc
	v_lshlrev_b32_e32 v10, 24, v10
	v_bfrev_b32_e32 v22, 60
	v_lshlrev_b32_e32 v20, 20, v20
	v_and_b32_e32 v10, 0x80000000, v10
	v_lshl_add_u32 v21, v21, 23, v22
	v_or3_b32 v10, v10, v21, v20
	v_cmp_ne_u32_e32 vcc, s51, v25
	v_mov_b32_e32 v20, 0x7f800001
	v_cndmask_b32_e32 v20, v20, v10, vcc
.LBB6_4071:                             ;   in Loop: Header=BB6_3341 Depth=2
	s_or_b64 exec, exec, s[90:91]
	v_add_f32_e32 v10, v11, v20
	v_and_b32_e32 v20, 0x7f800000, v10
	v_mov_b32_e32 v21, v53
	v_cmp_ne_u64_e32 vcc, s[56:57], v[20:21]
                                        ; implicit-def: $vgpr20
	s_and_saveexec_b64 s[22:23], vcc
	s_xor_b64 s[90:91], exec, s[22:23]
	s_cbranch_execz .LBB6_4085
; %bb.4072:                             ;   in Loop: Header=BB6_3341 Depth=2
	v_and_b32_e32 v20, 0x7fffffff, v10
	v_mov_b32_e32 v21, v53
	v_cmp_gt_u64_e32 vcc, s[58:59], v[20:21]
	v_and_b32_sdwa v22, v10, s53 dst_sel:DWORD dst_unused:UNUSED_PAD src0_sel:BYTE_3 src1_sel:DWORD
                                        ; implicit-def: $vgpr20
	s_and_saveexec_b64 s[22:23], vcc
	s_xor_b64 s[92:93], exec, s[22:23]
	s_cbranch_execz .LBB6_4082
; %bb.4073:                             ;   in Loop: Header=BB6_3341 Depth=2
	v_mov_b32_e32 v20, 0
	v_cmp_ne_u32_e32 vcc, 0, v10
	s_and_saveexec_b64 s[94:95], vcc
	s_cbranch_execz .LBB6_4081
; %bb.4074:                             ;   in Loop: Header=BB6_3341 Depth=2
	v_bfe_u32 v25, v10, 23, 8
	v_and_b32_e32 v11, 0x7fffff, v10
	v_cmp_gt_u32_e64 s[22:23], s54, v25
	v_sub_u32_e32 v10, 0x79, v25
	v_cmp_eq_u32_e32 vcc, 0, v25
	v_cndmask_b32_e64 v10, 0, v10, s[22:23]
	v_mov_b32_e32 v21, 0x78
	v_or_b32_e32 v20, 0x800000, v11
	v_cndmask_b32_e32 v28, v10, v21, vcc
	v_cndmask_b32_e32 v10, v20, v11, vcc
	v_add_u32_e32 v20, 20, v28
	v_lshlrev_b64 v[20:21], v20, -1
	v_mov_b32_e32 v11, v53
	v_add_u32_e32 v35, 19, v28
	v_bfi_b32 v20, v20, 0, v10
	v_lshlrev_b64 v[35:36], v35, 1
	v_lshrrev_b64 v[10:11], v28, v[10:11]
	v_bfi_b32 v21, v21, 0, 0
	v_cmp_eq_u64_e64 s[22:23], v[20:21], v[35:36]
	v_mov_b32_e32 v21, v11
	v_mov_b32_e32 v20, v10
	s_and_saveexec_b64 s[30:31], s[22:23]
; %bb.4075:                             ;   in Loop: Header=BB6_3341 Depth=2
	v_bfe_u32 v11, v10, 20, 1
	v_add_co_u32_e64 v11, s[22:23], v10, v11
	v_add_co_u32_e64 v20, s[22:23], -1, v11
; %bb.4076:                             ;   in Loop: Header=BB6_3341 Depth=2
	s_or_b64 exec, exec, s[30:31]
	v_add_u32_e32 v11, 0xffffff81, v25
	v_mov_b32_e32 v21, 0xffffff82
	v_cndmask_b32_e32 v11, v11, v21, vcc
	v_lshrrev_b32_e32 v21, 23, v10
	v_add3_u32 v25, v28, v11, v21
	v_add_u32_e32 v21, 6, v25
	v_and_b32_e32 v11, 0xfffff, v20
	v_add_u32_e32 v10, v11, v10
	v_mov_b32_e32 v11, v53
	v_cmp_ne_u32_e32 vcc, 0, v21
                                        ; implicit-def: $vgpr20
	s_and_saveexec_b64 s[22:23], vcc
	s_xor_b64 s[22:23], exec, s[22:23]
; %bb.4077:                             ;   in Loop: Header=BB6_3341 Depth=2
	v_cmp_lt_u64_e32 vcc, s[60:61], v[10:11]
	v_add_u32_e32 v20, 7, v25
	v_cndmask_b32_e32 v20, v21, v20, vcc
	v_cndmask_b32_e64 v21, 0, 1, vcc
	v_lshrrev_b64 v[10:11], v21, v[10:11]
; %bb.4078:                             ;   in Loop: Header=BB6_3341 Depth=2
	s_andn2_saveexec_b64 s[22:23], s[22:23]
; %bb.4079:                             ;   in Loop: Header=BB6_3341 Depth=2
	v_bfe_u32 v20, v10, 23, 1
; %bb.4080:                             ;   in Loop: Header=BB6_3341 Depth=2
	s_or_b64 exec, exec, s[22:23]
	v_lshrrev_b64 v[10:11], 20, v[10:11]
	v_cmp_gt_i32_e32 vcc, 16, v20
	v_cndmask_b32_e32 v11, 0, v11, vcc
	v_cndmask_b32_e32 v10, 7, v10, vcc
	v_cmp_eq_u64_e64 s[22:23], 0, v[10:11]
	v_min_i32_e32 v11, 15, v20
	v_lshlrev_b32_e32 v11, 3, v11
	v_cmp_eq_u32_e32 vcc, 0, v20
	v_and_b32_e32 v11, 0xf8, v11
	v_and_or_b32 v10, v10, 7, v11
	s_and_b64 s[22:23], vcc, s[22:23]
	v_cndmask_b32_e64 v10, v10, 0, s[22:23]
	v_or_b32_e32 v20, v10, v22
.LBB6_4081:                             ;   in Loop: Header=BB6_3341 Depth=2
	s_or_b64 exec, exec, s[94:95]
                                        ; implicit-def: $vgpr22
.LBB6_4082:                             ;   in Loop: Header=BB6_3341 Depth=2
	s_andn2_saveexec_b64 s[22:23], s[92:93]
; %bb.4083:                             ;   in Loop: Header=BB6_3341 Depth=2
	v_or_b32_e32 v20, 0x7e, v22
; %bb.4084:                             ;   in Loop: Header=BB6_3341 Depth=2
	s_or_b64 exec, exec, s[22:23]
                                        ; implicit-def: $vgpr10
.LBB6_4085:                             ;   in Loop: Header=BB6_3341 Depth=2
	s_andn2_saveexec_b64 s[22:23], s[90:91]
; %bb.4086:                             ;   in Loop: Header=BB6_3341 Depth=2
	v_or_b32_sdwa v20, v10, s51 dst_sel:DWORD dst_unused:UNUSED_PAD src0_sel:BYTE_3 src1_sel:DWORD
; %bb.4087:                             ;   in Loop: Header=BB6_3341 Depth=2
	s_or_b64 exec, exec, s[22:23]
	v_cmp_lt_u32_e32 vcc, s63, v52
	v_mov_b32_e32 v11, 0
	s_and_saveexec_b64 s[22:23], vcc
	s_cbranch_execz .LBB6_4093
; %bb.4088:                             ;   in Loop: Header=BB6_3341 Depth=2
	v_lshrrev_b32_e32 v10, 24, v52
	v_cmp_ne_u32_sdwa s[92:93], v52, s53 src0_sel:BYTE_3 src1_sel:DWORD
	v_bfrev_b32_e32 v11, 1
	s_and_saveexec_b64 s[90:91], s[92:93]
	s_cbranch_execz .LBB6_4092
; %bb.4089:                             ;   in Loop: Header=BB6_3341 Depth=2
	v_bfe_u32 v21, v52, 24, 7
	v_cmp_ne_u32_e32 vcc, s51, v21
	v_mov_b32_e32 v11, 0x7f800001
	s_and_saveexec_b64 s[92:93], vcc
	s_cbranch_execz .LBB6_4091
; %bb.4090:                             ;   in Loop: Header=BB6_3341 Depth=2
	v_and_b32_e32 v22, 7, v10
	v_ffbh_u32_e32 v11, v22
	v_lshrrev_b32_e32 v25, 3, v21
	v_cmp_gt_u32_e32 vcc, 8, v21
	v_min_u32_e32 v21, 32, v11
	v_subrev_u32_e32 v11, 28, v21
	v_lshlrev_b64 v[10:11], v11, v[10:11]
	v_sub_u32_e32 v11, 29, v21
	v_and_b32_e32 v10, 7, v10
	v_mov_b32_e32 v21, 24
	v_cndmask_b32_e32 v11, v25, v11, vcc
	v_cndmask_b32_e32 v10, v22, v10, vcc
	v_lshlrev_b32_sdwa v21, v21, v52 dst_sel:DWORD dst_unused:UNUSED_PAD src0_sel:DWORD src1_sel:BYTE_3
	v_bfrev_b32_e32 v22, 60
	v_lshlrev_b32_e32 v10, 20, v10
	v_and_b32_e32 v21, 0x80000000, v21
	v_lshl_add_u32 v11, v11, 23, v22
	v_or3_b32 v11, v21, v11, v10
.LBB6_4091:                             ;   in Loop: Header=BB6_3341 Depth=2
	s_or_b64 exec, exec, s[92:93]
.LBB6_4092:                             ;   in Loop: Header=BB6_3341 Depth=2
	s_or_b64 exec, exec, s[90:91]
.LBB6_4093:                             ;   in Loop: Header=BB6_3341 Depth=2
	s_or_b64 exec, exec, s[22:23]
	v_bfe_u32 v25, v13, 24, 3
	v_ffbh_u32_e32 v21, v25
	v_min_u32_e32 v36, 32, v21
	v_lshrrev_b32_e32 v10, 24, v13
	v_subrev_u32_e32 v21, 28, v36
	v_lshlrev_b64 v[21:22], v21, v[10:11]
	v_bfe_u32 v28, v13, 24, 7
	v_bfe_u32 v35, v10, 3, 4
	v_sub_u32_e32 v22, 29, v36
	v_and_b32_e32 v21, 7, v21
	v_cmp_gt_u32_e32 vcc, 8, v28
	v_cndmask_b32_e32 v22, v35, v22, vcc
	v_cndmask_b32_e32 v21, v25, v21, vcc
	v_bfrev_b32_e32 v26, 60
	v_lshlrev_b32_e32 v21, 20, v21
	v_and_b32_e32 v25, 0x80000000, v13
	v_lshl_add_u32 v22, v22, 23, v26
	v_or3_b32 v21, v25, v22, v21
	v_cmp_ne_u32_e32 vcc, s51, v28
	v_mov_b32_e32 v22, 0x7f800001
	v_cndmask_b32_e32 v21, v22, v21, vcc
	v_cmp_ne_u32_e32 vcc, s53, v10
	v_bfrev_b32_e32 v10, 1
	v_cndmask_b32_e32 v10, v10, v21, vcc
	v_cmp_lt_u64_e32 vcc, s[62:63], v[12:13]
	v_cndmask_b32_e32 v10, 0, v10, vcc
	v_add_f32_e32 v11, v10, v11
	v_and_b32_e32 v52, 0x7f800000, v11
	v_cmp_ne_u64_e32 vcc, s[56:57], v[52:53]
                                        ; implicit-def: $vgpr10
	s_and_saveexec_b64 s[22:23], vcc
	s_xor_b64 s[90:91], exec, s[22:23]
	s_cbranch_execz .LBB6_4107
; %bb.4094:                             ;   in Loop: Header=BB6_3341 Depth=2
	v_and_b32_e32 v52, 0x7fffffff, v11
	v_cmp_gt_u64_e32 vcc, s[58:59], v[52:53]
	v_and_b32_sdwa v13, v11, s53 dst_sel:DWORD dst_unused:UNUSED_PAD src0_sel:BYTE_3 src1_sel:DWORD
                                        ; implicit-def: $vgpr10
	s_and_saveexec_b64 s[22:23], vcc
	s_xor_b64 s[92:93], exec, s[22:23]
	s_cbranch_execz .LBB6_4104
; %bb.4095:                             ;   in Loop: Header=BB6_3341 Depth=2
	v_mov_b32_e32 v10, 0
	v_cmp_ne_u32_e32 vcc, 0, v11
	s_and_saveexec_b64 s[94:95], vcc
	s_cbranch_execz .LBB6_4103
; %bb.4096:                             ;   in Loop: Header=BB6_3341 Depth=2
	v_bfe_u32 v21, v11, 23, 8
	v_and_b32_e32 v10, 0x7fffff, v11
	v_cmp_gt_u32_e64 s[22:23], s54, v21
	v_sub_u32_e32 v11, 0x79, v21
	v_cmp_eq_u32_e32 vcc, 0, v21
	v_cndmask_b32_e64 v11, 0, v11, s[22:23]
	v_mov_b32_e32 v22, 0x78
	v_or_b32_e32 v12, 0x800000, v10
	v_cndmask_b32_e32 v22, v11, v22, vcc
	v_cndmask_b32_e32 v52, v12, v10, vcc
	v_add_u32_e32 v10, 20, v22
	v_lshlrev_b64 v[10:11], v10, -1
	v_add_u32_e32 v12, 19, v22
	v_lshlrev_b64 v[35:36], v12, 1
	v_bfi_b32 v11, v11, 0, 0
	v_bfi_b32 v10, v10, 0, v52
	v_cmp_eq_u64_e64 s[22:23], v[10:11], v[35:36]
	v_lshrrev_b64 v[10:11], v22, v[52:53]
	v_mov_b32_e32 v12, v11
	v_mov_b32_e32 v11, v10
	s_and_saveexec_b64 s[30:31], s[22:23]
; %bb.4097:                             ;   in Loop: Header=BB6_3341 Depth=2
	v_bfe_u32 v11, v10, 20, 1
	v_add_co_u32_e64 v11, s[22:23], v10, v11
	v_add_co_u32_e64 v11, s[22:23], -1, v11
; %bb.4098:                             ;   in Loop: Header=BB6_3341 Depth=2
	s_or_b64 exec, exec, s[30:31]
	v_add_u32_e32 v12, 0xffffff81, v21
	v_mov_b32_e32 v21, 0xffffff82
	v_cndmask_b32_e32 v12, v12, v21, vcc
	v_lshrrev_b32_e32 v21, 23, v10
	v_add3_u32 v22, v22, v12, v21
	v_add_u32_e32 v21, 6, v22
	v_and_b32_e32 v11, 0xfffff, v11
	v_add_u32_e32 v52, v11, v10
	v_cmp_ne_u32_e32 vcc, 0, v21
                                        ; implicit-def: $vgpr10_vgpr11
                                        ; implicit-def: $vgpr12
	s_and_saveexec_b64 s[22:23], vcc
	s_xor_b64 s[22:23], exec, s[22:23]
; %bb.4099:                             ;   in Loop: Header=BB6_3341 Depth=2
	v_cmp_lt_u64_e32 vcc, s[60:61], v[52:53]
	v_add_u32_e32 v10, 7, v22
	v_cndmask_b32_e32 v12, v21, v10, vcc
	v_cndmask_b32_e64 v10, 0, 1, vcc
	v_lshrrev_b64 v[10:11], v10, v[52:53]
; %bb.4100:                             ;   in Loop: Header=BB6_3341 Depth=2
	s_andn2_saveexec_b64 s[22:23], s[22:23]
; %bb.4101:                             ;   in Loop: Header=BB6_3341 Depth=2
	v_mov_b32_e32 v10, v52
	v_bfe_u32 v12, v52, 23, 1
	v_mov_b32_e32 v11, v53
; %bb.4102:                             ;   in Loop: Header=BB6_3341 Depth=2
	s_or_b64 exec, exec, s[22:23]
	v_lshrrev_b64 v[10:11], 20, v[10:11]
	v_cmp_gt_i32_e32 vcc, 16, v12
	v_cndmask_b32_e32 v11, 0, v11, vcc
	v_cndmask_b32_e32 v10, 7, v10, vcc
	v_cmp_eq_u64_e64 s[22:23], 0, v[10:11]
	v_min_i32_e32 v11, 15, v12
	v_lshlrev_b32_e32 v11, 3, v11
	v_cmp_eq_u32_e32 vcc, 0, v12
	v_and_b32_e32 v11, 0xf8, v11
	v_and_or_b32 v10, v10, 7, v11
	s_and_b64 s[22:23], vcc, s[22:23]
	v_cndmask_b32_e64 v10, v10, 0, s[22:23]
	v_or_b32_e32 v10, v10, v13
.LBB6_4103:                             ;   in Loop: Header=BB6_3341 Depth=2
	s_or_b64 exec, exec, s[94:95]
                                        ; implicit-def: $vgpr13
.LBB6_4104:                             ;   in Loop: Header=BB6_3341 Depth=2
	s_andn2_saveexec_b64 s[22:23], s[92:93]
; %bb.4105:                             ;   in Loop: Header=BB6_3341 Depth=2
	v_or_b32_e32 v10, 0x7e, v13
; %bb.4106:                             ;   in Loop: Header=BB6_3341 Depth=2
	s_or_b64 exec, exec, s[22:23]
                                        ; implicit-def: $vgpr11
.LBB6_4107:                             ;   in Loop: Header=BB6_3341 Depth=2
	s_andn2_saveexec_b64 s[22:23], s[90:91]
	s_cbranch_execz .LBB6_3340
; %bb.4108:                             ;   in Loop: Header=BB6_3341 Depth=2
	v_or_b32_sdwa v10, v11, s51 dst_sel:DWORD dst_unused:UNUSED_PAD src0_sel:BYTE_3 src1_sel:DWORD
	s_branch .LBB6_3340
.LBB6_4109:                             ;   in Loop: Header=BB6_3341 Depth=2
	v_cmp_eq_u16_sdwa s[94:95], v10, s53 src0_sel:BYTE_0 src1_sel:DWORD
	s_mov_b64 s[22:23], -1
	s_and_saveexec_b64 s[92:93], s[94:95]
; %bb.4110:                             ;   in Loop: Header=BB6_3341 Depth=2
	s_xor_b64 s[22:23], exec, -1
; %bb.4111:                             ;   in Loop: Header=BB6_3341 Depth=2
	s_or_b64 exec, exec, s[92:93]
	s_and_b64 s[22:23], s[22:23], exec
	s_or_saveexec_b64 s[90:91], s[90:91]
	v_bfrev_b32_e32 v6, 1
	s_xor_b64 exec, exec, s[90:91]
	s_cbranch_execz .LBB6_3709
.LBB6_4112:                             ;   in Loop: Header=BB6_3341 Depth=2
	v_cmp_ne_u16_sdwa s[92:93], v10, v53 src0_sel:BYTE_0 src1_sel:DWORD
	s_andn2_b64 s[22:23], s[22:23], exec
	s_and_b64 s[92:93], s[92:93], exec
	v_mov_b32_e32 v6, 0
	s_or_b64 s[22:23], s[22:23], s[92:93]
	s_or_b64 exec, exec, s[90:91]
	s_and_saveexec_b64 s[90:91], s[22:23]
	s_cbranch_execnz .LBB6_3710
	s_branch .LBB6_3711
.LBB6_4113:                             ;   in Loop: Header=BB6_3341 Depth=2
	v_cmp_eq_u16_e32 vcc, s53, v20
	s_mov_b64 s[22:23], -1
	s_and_saveexec_b64 s[92:93], vcc
; %bb.4114:                             ;   in Loop: Header=BB6_3341 Depth=2
	s_xor_b64 s[22:23], exec, -1
; %bb.4115:                             ;   in Loop: Header=BB6_3341 Depth=2
	s_or_b64 exec, exec, s[92:93]
	s_and_b64 s[22:23], s[22:23], exec
	s_or_saveexec_b64 s[90:91], s[90:91]
	v_bfrev_b32_e32 v7, 1
	s_xor_b64 exec, exec, s[90:91]
	s_cbranch_execz .LBB6_3735
.LBB6_4116:                             ;   in Loop: Header=BB6_3341 Depth=2
	v_cmp_ne_u16_e32 vcc, 0, v20
	s_andn2_b64 s[22:23], s[22:23], exec
	s_and_b64 s[92:93], vcc, exec
	v_mov_b32_e32 v7, 0
	s_or_b64 s[22:23], s[22:23], s[92:93]
	s_or_b64 exec, exec, s[90:91]
	s_and_saveexec_b64 s[90:91], s[22:23]
	s_cbranch_execnz .LBB6_3736
	s_branch .LBB6_3737
.LBB6_4117:                             ;   in Loop: Header=BB6_3341 Depth=2
	v_cmp_eq_u16_sdwa s[94:95], v20, s53 src0_sel:BYTE_0 src1_sel:DWORD
	s_mov_b64 s[22:23], -1
	s_and_saveexec_b64 s[92:93], s[94:95]
; %bb.4118:                             ;   in Loop: Header=BB6_3341 Depth=2
	s_xor_b64 s[22:23], exec, -1
; %bb.4119:                             ;   in Loop: Header=BB6_3341 Depth=2
	s_or_b64 exec, exec, s[92:93]
	s_and_b64 s[22:23], s[22:23], exec
	s_or_saveexec_b64 s[90:91], s[90:91]
	v_bfrev_b32_e32 v22, 1
	s_xor_b64 exec, exec, s[90:91]
	s_cbranch_execz .LBB6_3761
.LBB6_4120:                             ;   in Loop: Header=BB6_3341 Depth=2
	v_cmp_ne_u16_sdwa s[92:93], v20, v53 src0_sel:BYTE_0 src1_sel:DWORD
	s_andn2_b64 s[22:23], s[22:23], exec
	s_and_b64 s[92:93], s[92:93], exec
	v_mov_b32_e32 v22, 0
	s_or_b64 s[22:23], s[22:23], s[92:93]
	s_or_b64 exec, exec, s[90:91]
	s_and_saveexec_b64 s[90:91], s[22:23]
	s_cbranch_execnz .LBB6_3762
	s_branch .LBB6_3763
.LBB6_4121:                             ;   in Loop: Header=BB6_3341 Depth=2
	v_cmp_eq_u16_e32 vcc, s53, v20
	s_mov_b64 s[22:23], -1
	s_and_saveexec_b64 s[92:93], vcc
; %bb.4122:                             ;   in Loop: Header=BB6_3341 Depth=2
	s_xor_b64 s[22:23], exec, -1
; %bb.4123:                             ;   in Loop: Header=BB6_3341 Depth=2
	s_or_b64 exec, exec, s[92:93]
	s_and_b64 s[22:23], s[22:23], exec
	s_or_saveexec_b64 s[90:91], s[90:91]
	v_bfrev_b32_e32 v21, 1
	s_xor_b64 exec, exec, s[90:91]
	s_cbranch_execz .LBB6_3839
.LBB6_4124:                             ;   in Loop: Header=BB6_3341 Depth=2
	v_cmp_ne_u16_e32 vcc, 0, v20
	s_andn2_b64 s[22:23], s[22:23], exec
	s_and_b64 s[92:93], vcc, exec
	v_mov_b32_e32 v21, 0
	s_or_b64 s[22:23], s[22:23], s[92:93]
	s_or_b64 exec, exec, s[90:91]
	s_and_saveexec_b64 s[90:91], s[22:23]
	s_cbranch_execnz .LBB6_3840
	s_branch .LBB6_3841
.LBB6_4125:                             ;   in Loop: Header=BB6_3341 Depth=2
	v_cmp_eq_u16_sdwa s[94:95], v20, s53 src0_sel:BYTE_0 src1_sel:DWORD
	s_mov_b64 s[22:23], -1
	s_and_saveexec_b64 s[92:93], s[94:95]
; %bb.4126:                             ;   in Loop: Header=BB6_3341 Depth=2
	s_xor_b64 s[22:23], exec, -1
; %bb.4127:                             ;   in Loop: Header=BB6_3341 Depth=2
	s_or_b64 exec, exec, s[92:93]
	s_and_b64 s[22:23], s[22:23], exec
	s_or_saveexec_b64 s[90:91], s[90:91]
	v_bfrev_b32_e32 v22, 1
	s_xor_b64 exec, exec, s[90:91]
	s_cbranch_execz .LBB6_3865
.LBB6_4128:                             ;   in Loop: Header=BB6_3341 Depth=2
	v_cmp_ne_u16_sdwa s[92:93], v20, v53 src0_sel:BYTE_0 src1_sel:DWORD
	s_andn2_b64 s[22:23], s[22:23], exec
	s_and_b64 s[92:93], s[92:93], exec
	v_mov_b32_e32 v22, 0
	s_or_b64 s[22:23], s[22:23], s[92:93]
	s_or_b64 exec, exec, s[90:91]
	s_and_saveexec_b64 s[90:91], s[22:23]
	s_cbranch_execnz .LBB6_3866
	s_branch .LBB6_3867
.LBB6_4129:                             ;   in Loop: Header=BB6_3341 Depth=2
	v_cmp_eq_u16_sdwa s[94:95], v12, s53 src0_sel:BYTE_0 src1_sel:DWORD
	s_mov_b64 s[22:23], -1
	s_and_saveexec_b64 s[92:93], s[94:95]
; %bb.4130:                             ;   in Loop: Header=BB6_3341 Depth=2
	s_xor_b64 s[22:23], exec, -1
; %bb.4131:                             ;   in Loop: Header=BB6_3341 Depth=2
	s_or_b64 exec, exec, s[92:93]
	s_and_b64 s[22:23], s[22:23], exec
	s_or_saveexec_b64 s[90:91], s[90:91]
	v_bfrev_b32_e32 v8, 1
	s_xor_b64 exec, exec, s[90:91]
	s_cbranch_execz .LBB6_3913
.LBB6_4132:                             ;   in Loop: Header=BB6_3341 Depth=2
	v_cmp_ne_u16_sdwa s[92:93], v12, v53 src0_sel:BYTE_0 src1_sel:DWORD
	s_andn2_b64 s[22:23], s[22:23], exec
	s_and_b64 s[92:93], s[92:93], exec
	v_mov_b32_e32 v8, 0
	s_or_b64 s[22:23], s[22:23], s[92:93]
	s_or_b64 exec, exec, s[90:91]
	s_and_saveexec_b64 s[90:91], s[22:23]
	s_cbranch_execnz .LBB6_3914
	s_branch .LBB6_3915
.LBB6_4133:                             ;   in Loop: Header=BB6_3341 Depth=2
	v_cmp_eq_u16_e32 vcc, s53, v10
	s_mov_b64 s[22:23], -1
	s_and_saveexec_b64 s[92:93], vcc
; %bb.4134:                             ;   in Loop: Header=BB6_3341 Depth=2
	s_xor_b64 s[22:23], exec, -1
; %bb.4135:                             ;   in Loop: Header=BB6_3341 Depth=2
	s_or_b64 exec, exec, s[92:93]
	s_and_b64 s[22:23], s[22:23], exec
	s_or_saveexec_b64 s[90:91], s[90:91]
	v_bfrev_b32_e32 v11, 1
	s_xor_b64 exec, exec, s[90:91]
	s_cbranch_execz .LBB6_3939
.LBB6_4136:                             ;   in Loop: Header=BB6_3341 Depth=2
	v_cmp_ne_u16_e32 vcc, 0, v10
	s_andn2_b64 s[22:23], s[22:23], exec
	s_and_b64 s[92:93], vcc, exec
	v_mov_b32_e32 v11, 0
	s_or_b64 s[22:23], s[22:23], s[92:93]
	s_or_b64 exec, exec, s[90:91]
	s_and_saveexec_b64 s[90:91], s[22:23]
	s_cbranch_execnz .LBB6_3940
	s_branch .LBB6_3941
.LBB6_4137:                             ;   in Loop: Header=BB6_3341 Depth=2
	v_cmp_eq_u16_sdwa s[94:95], v10, s53 src0_sel:BYTE_0 src1_sel:DWORD
	s_mov_b64 s[22:23], -1
	s_and_saveexec_b64 s[92:93], s[94:95]
; %bb.4138:                             ;   in Loop: Header=BB6_3341 Depth=2
	s_xor_b64 s[22:23], exec, -1
; %bb.4139:                             ;   in Loop: Header=BB6_3341 Depth=2
	s_or_b64 exec, exec, s[92:93]
	s_and_b64 s[22:23], s[22:23], exec
	s_or_saveexec_b64 s[90:91], s[90:91]
	v_bfrev_b32_e32 v20, 1
	s_xor_b64 exec, exec, s[90:91]
	s_cbranch_execz .LBB6_3965
.LBB6_4140:                             ;   in Loop: Header=BB6_3341 Depth=2
	v_cmp_ne_u16_sdwa s[92:93], v10, v53 src0_sel:BYTE_0 src1_sel:DWORD
	s_andn2_b64 s[22:23], s[22:23], exec
	s_and_b64 s[92:93], s[92:93], exec
	v_mov_b32_e32 v20, 0
	s_or_b64 s[22:23], s[22:23], s[92:93]
	s_or_b64 exec, exec, s[90:91]
	s_and_saveexec_b64 s[90:91], s[22:23]
	s_cbranch_execnz .LBB6_3966
	s_branch .LBB6_3967
.LBB6_4141:                             ;   in Loop: Header=BB6_3341 Depth=2
	v_cmp_eq_u16_e32 vcc, s53, v10
	s_mov_b64 s[22:23], -1
	s_and_saveexec_b64 s[92:93], vcc
; %bb.4142:                             ;   in Loop: Header=BB6_3341 Depth=2
	s_xor_b64 s[22:23], exec, -1
; %bb.4143:                             ;   in Loop: Header=BB6_3341 Depth=2
	s_or_b64 exec, exec, s[92:93]
	s_and_b64 s[22:23], s[22:23], exec
	s_or_saveexec_b64 s[90:91], s[90:91]
	v_bfrev_b32_e32 v9, 1
	s_xor_b64 exec, exec, s[90:91]
	s_cbranch_execz .LBB6_4043
.LBB6_4144:                             ;   in Loop: Header=BB6_3341 Depth=2
	v_cmp_ne_u16_e32 vcc, 0, v10
	s_andn2_b64 s[22:23], s[22:23], exec
	s_and_b64 s[92:93], vcc, exec
	v_mov_b32_e32 v9, 0
	s_or_b64 s[22:23], s[22:23], s[92:93]
	s_or_b64 exec, exec, s[90:91]
	s_and_saveexec_b64 s[90:91], s[22:23]
	s_cbranch_execnz .LBB6_4044
	s_branch .LBB6_4045
.LBB6_4145:                             ;   in Loop: Header=BB6_3341 Depth=2
	v_cmp_eq_u16_sdwa s[94:95], v10, s53 src0_sel:BYTE_0 src1_sel:DWORD
	s_mov_b64 s[22:23], -1
	s_and_saveexec_b64 s[92:93], s[94:95]
; %bb.4146:                             ;   in Loop: Header=BB6_3341 Depth=2
	s_xor_b64 s[22:23], exec, -1
; %bb.4147:                             ;   in Loop: Header=BB6_3341 Depth=2
	s_or_b64 exec, exec, s[92:93]
	s_and_b64 s[22:23], s[22:23], exec
	s_or_saveexec_b64 s[90:91], s[90:91]
	v_bfrev_b32_e32 v20, 1
	s_xor_b64 exec, exec, s[90:91]
	s_cbranch_execz .LBB6_4069
.LBB6_4148:                             ;   in Loop: Header=BB6_3341 Depth=2
	v_cmp_ne_u16_sdwa s[92:93], v10, v53 src0_sel:BYTE_0 src1_sel:DWORD
	s_andn2_b64 s[22:23], s[22:23], exec
	s_and_b64 s[92:93], s[92:93], exec
	v_mov_b32_e32 v20, 0
	s_or_b64 s[22:23], s[22:23], s[92:93]
	s_or_b64 exec, exec, s[90:91]
	s_and_saveexec_b64 s[90:91], s[22:23]
	s_cbranch_execnz .LBB6_4070
	s_branch .LBB6_4071
.LBB6_4149:                             ;   in Loop: Header=BB6_49 Depth=1
	s_or_b64 exec, exec, s[88:89]
.LBB6_4150:                             ;   in Loop: Header=BB6_49 Depth=1
	s_or_b64 exec, exec, s[78:79]
	buffer_load_dword v4, off, s[0:3], s33 offset:352 ; 4-byte Folded Reload
	v_cmp_lt_i32_e32 vcc, 0, v5
	s_waitcnt vmcnt(0)
	v_and_b32_e32 v3, 0x3f0, v4
	v_and_b32_e32 v0, 15, v4
	v_cndmask_b32_e64 v3, 0, v3, s[20:21]
	v_and_or_b32 v7, v4, s64, v3
	v_cndmask_b32_e64 v3, v2, v0, s[20:21]
	buffer_load_dword v0, off, s[0:3], s33 offset:156 ; 4-byte Folded Reload
	s_waitcnt vmcnt(0)
	v_cndmask_b32_e32 v0, 0, v0, vcc
	v_sub_u32_e32 v0, v0, v5
	v_cmp_ne_u32_e32 vcc, 0, v3
	v_lshl_add_u32 v4, v0, 6, v1
	s_and_b64 s[20:21], vcc, exec
.LBB6_4151:                             ;   in Loop: Header=BB6_49 Depth=1
	s_or_b64 exec, exec, s[76:77]
	s_and_saveexec_b64 s[22:23], s[20:21]
	s_cbranch_execz .LBB6_6084
.LBB6_4152:                             ;   in Loop: Header=BB6_49 Depth=1
	s_waitcnt vmcnt(1)
	v_ashrrev_i32_e32 v0, 31, v4
	v_lshrrev_b32_e32 v0, 26, v0
	v_add_u32_e32 v0, v4, v0
	v_ashrrev_i32_e32 v2, 6, v0
	v_lshrrev_b32_e32 v1, 11, v3
	v_sub_u32_e32 v6, v1, v2
	v_cmp_lt_i32_e32 vcc, 0, v6
	s_and_saveexec_b64 s[76:77], vcc
	s_cbranch_execz .LBB6_6017
; %bb.4153:                             ;   in Loop: Header=BB6_49 Depth=1
	v_and_b32_e32 v0, 0xffffffc0, v0
	v_sub_u32_e32 v0, v4, v0
	v_lshlrev_b32_e32 v1, 11, v2
	buffer_store_dword v3, off, s[0:3], s33 offset:184 ; 4-byte Folded Spill
	buffer_store_dword v4, off, s[0:3], s33 offset:188 ; 4-byte Folded Spill
	;; [unrolled: 1-line block ×4, first 2 shown]
	v_add3_u32 v2, v7, v0, v1
	s_trap 2
	ds_read_b64 v[0:1], v0
	v_ashrrev_i32_e32 v3, 31, v2
	v_add_co_u32_e32 v10, vcc, v2, v50
	v_addc_co_u32_e32 v11, vcc, v3, v51, vcc
	s_waitcnt lgkmcnt(0)
	v_add_co_u32_e32 v12, vcc, v0, v2
	v_addc_co_u32_e32 v13, vcc, v1, v3, vcc
	v_add_co_u32_e32 v0, vcc, 0x7c0, v48
	v_addc_co_u32_e32 v1, vcc, 0, v49, vcc
	;; [unrolled: 2-line block ×3, first 2 shown]
	s_mov_b64 s[78:79], 0
	s_branch .LBB6_4155
.LBB6_4154:                             ;   in Loop: Header=BB6_4155 Depth=2
	s_or_b64 exec, exec, s[20:21]
	v_add_co_u32_e32 v24, vcc, 0xfffff840, v14
	v_addc_co_u32_e32 v25, vcc, -1, v15, vcc
	flat_store_byte v[24:25], v36 glc slc
	v_add_co_u32_e32 v24, vcc, 0xfffff880, v14
	v_addc_co_u32_e32 v25, vcc, -1, v15, vcc
	flat_store_byte v[24:25], v28 glc slc
	;; [unrolled: 3-line block ×21, first 2 shown]
	v_add_co_u32_e32 v3, vcc, 0xfffffd80, v14
	v_addc_co_u32_e32 v4, vcc, -1, v15, vcc
	v_add_co_u32_e32 v0, vcc, 0xfffffdc0, v14
	flat_store_byte v[3:4], v1 glc slc
	v_addc_co_u32_e32 v1, vcc, -1, v15, vcc
	flat_store_byte v[0:1], v2 glc slc
	v_add_co_u32_e32 v0, vcc, 0xfffffe00, v14
	v_addc_co_u32_e32 v1, vcc, -1, v15, vcc
	flat_store_byte v[0:1], v5 glc slc
	v_add_co_u32_e32 v0, vcc, 0xfffffe40, v14
	;; [unrolled: 3-line block ×8, first 2 shown]
	v_addc_co_u32_e32 v1, vcc, -1, v15, vcc
	flat_store_byte v[0:1], v23 glc slc
	flat_store_byte v[14:15], v17 glc slc
	buffer_load_dword v1, off, s[0:3], s33 offset:332 ; 4-byte Folded Reload
	s_nop 0
	buffer_load_dword v0, off, s[0:3], s33 offset:156 ; 4-byte Folded Reload
	s_waitcnt vmcnt(0)
	v_add_co_u32_e32 v10, vcc, v10, v1
	v_addc_co_u32_e32 v11, vcc, 0, v11, vcc
	v_add_co_u32_e32 v12, vcc, v12, v1
	v_addc_co_u32_e32 v13, vcc, 0, v13, vcc
	v_sub_u32_e32 v6, v6, v0
	v_cmp_gt_i32_e32 vcc, 1, v6
	s_or_b64 s[78:79], vcc, s[78:79]
	v_add_co_u32_e32 v14, vcc, v14, v1
	v_addc_co_u32_e32 v15, vcc, 0, v15, vcc
	s_andn2_b64 exec, exec, s[78:79]
	s_cbranch_execz .LBB6_6016
.LBB6_4155:                             ;   Parent Loop BB6_49 Depth=1
                                        ; =>  This Inner Loop Header: Depth=2
	s_trap 2
	ds_read_b64 v[16:17], v0
	s_waitcnt lgkmcnt(0)
	v_cmp_eq_u32_sdwa s[88:89], v16, v53 src0_sel:BYTE_0 src1_sel:DWORD
	v_readfirstlane_b32 s20, v16
	v_readfirstlane_b32 s21, v17
	s_and_b64 vcc, exec, s[88:89]
	s_cbranch_vccnz .LBB6_4159
; %bb.4156:                             ;   in Loop: Header=BB6_4155 Depth=2
	v_cmp_eq_u32_sdwa s[88:89], v16, s53 src0_sel:BYTE_0 src1_sel:DWORD
	s_brev_b32 s30, 1
	s_and_b64 vcc, exec, s[88:89]
	s_cbranch_vccnz .LBB6_4160
; %bb.4157:                             ;   in Loop: Header=BB6_4155 Depth=2
	s_and_b32 s88, s20, 0x7f
	s_cmpk_eq_i32 s88, 0x7f
	s_mov_b32 s30, 0x7f800001
	s_cbranch_scc1 .LBB6_4160
; %bb.4158:                             ;   in Loop: Header=BB6_4155 Depth=2
	s_and_b32 s89, s20, 7
	s_flbit_i32_b32 s89, s89
	s_min_u32 s89, s89, 32
	s_lshr_b32 s90, s88, 3
	s_sub_i32 s91, s89, 28
	s_sub_i32 s89, 29, s89
	s_cmp_lt_u32 s88, 8
	s_cselect_b32 s88, s91, 0
	s_cselect_b32 s90, s89, s90
	s_lshl_b64 s[88:89], s[20:21], s88
	s_lshl_b32 s21, s88, 20
	s_lshl_b32 s20, s20, 24
	;; [unrolled: 1-line block ×3, first 2 shown]
	s_and_b32 s20, s20, 0x80000000
	s_add_i32 s88, s88, 0x3c000000
	s_and_b32 s21, s21, 0x700000
	s_or_b32 s20, s20, s88
	s_or_b32 s30, s20, s21
	s_branch .LBB6_4160
.LBB6_4159:                             ;   in Loop: Header=BB6_4155 Depth=2
	s_mov_b32 s30, 0
.LBB6_4160:                             ;   in Loop: Header=BB6_4155 Depth=2
	flat_load_ubyte v0, v[10:11] glc slc
	v_mov_b32_e32 v1, 0
	s_waitcnt vmcnt(0) lgkmcnt(0)
	v_cmp_ne_u16_e32 vcc, 0, v0
	s_and_saveexec_b64 s[20:21], vcc
	s_cbranch_execz .LBB6_4166
; %bb.4161:                             ;   in Loop: Header=BB6_4155 Depth=2
	v_cmp_ne_u16_e32 vcc, s53, v0
	v_bfrev_b32_e32 v1, 1
	s_and_saveexec_b64 s[88:89], vcc
	s_cbranch_execz .LBB6_4165
; %bb.4162:                             ;   in Loop: Header=BB6_4155 Depth=2
	v_and_b32_e32 v16, 0xffff, v0
	v_and_b32_e32 v2, 0x7f, v16
	v_cmp_ne_u32_e32 vcc, s51, v2
	v_mov_b32_e32 v1, 0x7f800001
	s_and_saveexec_b64 s[90:91], vcc
	s_cbranch_execz .LBB6_4164
; %bb.4163:                             ;   in Loop: Header=BB6_4155 Depth=2
	v_and_b32_e32 v3, 7, v16
	v_ffbh_u32_e32 v1, v3
	v_min_u32_e32 v5, 32, v1
	v_subrev_u32_e32 v1, 28, v5
	v_lshrrev_b32_e32 v4, 3, v2
	v_cmp_gt_u32_e32 vcc, 8, v2
	v_lshlrev_b64 v[1:2], v1, v[16:17]
	v_sub_u32_e32 v2, 29, v5
	v_and_b32_e32 v1, 7, v1
	v_cndmask_b32_e32 v2, v4, v2, vcc
	v_cndmask_b32_e32 v1, v3, v1, vcc
	v_lshlrev_b32_e32 v0, 24, v0
	v_bfrev_b32_e32 v3, 60
	v_lshlrev_b32_e32 v1, 20, v1
	v_and_b32_e32 v0, 0x80000000, v0
	v_lshl_add_u32 v2, v2, 23, v3
	v_or3_b32 v1, v0, v2, v1
.LBB6_4164:                             ;   in Loop: Header=BB6_4155 Depth=2
	s_or_b64 exec, exec, s[90:91]
.LBB6_4165:                             ;   in Loop: Header=BB6_4155 Depth=2
	s_or_b64 exec, exec, s[88:89]
.LBB6_4166:                             ;   in Loop: Header=BB6_4155 Depth=2
	s_or_b64 exec, exec, s[20:21]
	v_mul_f32_e32 v1, s30, v1
	v_and_b32_e32 v52, 0x7f800000, v1
	v_cmp_ne_u64_e32 vcc, s[56:57], v[52:53]
                                        ; implicit-def: $vgpr9
	s_and_saveexec_b64 s[20:21], vcc
	s_xor_b64 s[88:89], exec, s[20:21]
	s_cbranch_execz .LBB6_4184
; %bb.4167:                             ;   in Loop: Header=BB6_4155 Depth=2
	v_and_b32_e32 v52, 0x7fffffff, v1
	v_cmp_gt_u64_e32 vcc, s[58:59], v[52:53]
	v_and_b32_sdwa v0, v1, s53 dst_sel:DWORD dst_unused:UNUSED_PAD src0_sel:BYTE_3 src1_sel:DWORD
                                        ; implicit-def: $vgpr9
	s_and_saveexec_b64 s[20:21], vcc
	s_xor_b64 s[90:91], exec, s[20:21]
	s_cbranch_execz .LBB6_4181
; %bb.4168:                             ;   in Loop: Header=BB6_4155 Depth=2
	v_cmp_ne_u32_e32 vcc, 0, v1
	v_mov_b32_e32 v9, 0
	s_and_saveexec_b64 s[92:93], vcc
	s_cbranch_execz .LBB6_4180
; %bb.4169:                             ;   in Loop: Header=BB6_4155 Depth=2
	v_and_b32_e32 v3, 0x7fffff, v1
	v_bfe_u32 v1, v1, 23, 8
	v_cmp_gt_u32_e64 s[20:21], s54, v1
	v_sub_u32_e32 v2, 0x79, v1
	v_cmp_eq_u32_e32 vcc, 0, v1
	v_cndmask_b32_e64 v2, 0, v2, s[20:21]
	v_mov_b32_e32 v5, 0x78
	v_or_b32_e32 v4, 0x800000, v3
	v_cndmask_b32_e32 v2, v2, v5, vcc
	v_cndmask_b32_e32 v52, v4, v3, vcc
	v_add_u32_e32 v3, 20, v2
	v_lshlrev_b64 v[3:4], v3, -1
	v_add_u32_e32 v5, 19, v2
	v_lshlrev_b64 v[7:8], v5, 1
	v_lshrrev_b64 v[16:17], v2, v[52:53]
	v_bfi_b32 v4, v4, 0, 0
	v_bfi_b32 v3, v3, 0, v52
	v_cmp_eq_u64_e64 s[20:21], v[3:4], v[7:8]
	v_mov_b32_e32 v18, v17
	v_mov_b32_e32 v17, v16
	s_and_saveexec_b64 s[94:95], s[20:21]
; %bb.4170:                             ;   in Loop: Header=BB6_4155 Depth=2
	v_bfe_u32 v3, v16, 20, 1
	v_add_co_u32_e64 v3, s[20:21], v16, v3
	v_add_co_u32_e64 v17, s[20:21], -1, v3
; %bb.4171:                             ;   in Loop: Header=BB6_4155 Depth=2
	s_or_b64 exec, exec, s[94:95]
	v_add_u32_e32 v1, 0xffffff81, v1
	v_mov_b32_e32 v3, 0xffffff82
	v_cndmask_b32_e32 v1, v1, v3, vcc
	v_lshrrev_b32_e32 v3, 23, v16
	v_add3_u32 v3, v2, v1, v3
	v_add_u32_e32 v2, 6, v3
	v_and_b32_e32 v1, 0xfffff, v17
	v_add_u32_e32 v52, v1, v16
	v_cmp_ne_u32_e32 vcc, 0, v2
                                        ; implicit-def: $vgpr16_vgpr17
                                        ; implicit-def: $vgpr1
	s_and_saveexec_b64 s[20:21], vcc
	s_xor_b64 s[20:21], exec, s[20:21]
; %bb.4172:                             ;   in Loop: Header=BB6_4155 Depth=2
	v_cmp_lt_u64_e32 vcc, s[60:61], v[52:53]
	v_add_u32_e32 v1, 7, v3
	v_cndmask_b32_e32 v1, v2, v1, vcc
	v_cndmask_b32_e64 v2, 0, 1, vcc
	v_lshrrev_b64 v[16:17], v2, v[52:53]
; %bb.4173:                             ;   in Loop: Header=BB6_4155 Depth=2
	s_andn2_saveexec_b64 s[20:21], s[20:21]
; %bb.4174:                             ;   in Loop: Header=BB6_4155 Depth=2
	v_mov_b32_e32 v16, v52
	v_bfe_u32 v1, v52, 23, 1
	v_mov_b32_e32 v17, v53
; %bb.4175:                             ;   in Loop: Header=BB6_4155 Depth=2
	s_or_b64 exec, exec, s[20:21]
	v_lshrrev_b64 v[2:3], 20, v[16:17]
	v_cmp_gt_i32_e32 vcc, 16, v1
	v_cndmask_b32_e32 v17, 0, v3, vcc
	v_cndmask_b32_e32 v16, 7, v2, vcc
	v_cmp_ne_u64_e32 vcc, 0, v[16:17]
	v_cmp_ne_u32_e64 s[20:21], 0, v1
	s_or_b64 s[20:21], s[20:21], vcc
                                        ; implicit-def: $vgpr9
	s_and_saveexec_b64 s[94:95], s[20:21]
	s_xor_b64 s[20:21], exec, s[94:95]
; %bb.4176:                             ;   in Loop: Header=BB6_4155 Depth=2
	v_min_i32_e32 v1, 15, v1
	v_lshl_or_b32 v0, v1, 3, v0
	v_and_or_b32 v9, v16, 7, v0
                                        ; implicit-def: $vgpr0
; %bb.4177:                             ;   in Loop: Header=BB6_4155 Depth=2
	s_andn2_saveexec_b64 s[20:21], s[20:21]
; %bb.4178:                             ;   in Loop: Header=BB6_4155 Depth=2
	v_mov_b32_e32 v9, v0
; %bb.4179:                             ;   in Loop: Header=BB6_4155 Depth=2
	s_or_b64 exec, exec, s[20:21]
.LBB6_4180:                             ;   in Loop: Header=BB6_4155 Depth=2
	s_or_b64 exec, exec, s[92:93]
                                        ; implicit-def: $vgpr0
.LBB6_4181:                             ;   in Loop: Header=BB6_4155 Depth=2
	s_andn2_saveexec_b64 s[20:21], s[90:91]
; %bb.4182:                             ;   in Loop: Header=BB6_4155 Depth=2
	v_or_b32_e32 v9, 0x7e, v0
; %bb.4183:                             ;   in Loop: Header=BB6_4155 Depth=2
	s_or_b64 exec, exec, s[20:21]
                                        ; implicit-def: $vgpr1
.LBB6_4184:                             ;   in Loop: Header=BB6_4155 Depth=2
	s_andn2_saveexec_b64 s[20:21], s[88:89]
; %bb.4185:                             ;   in Loop: Header=BB6_4155 Depth=2
	v_or_b32_sdwa v9, v1, s51 dst_sel:DWORD dst_unused:UNUSED_PAD src0_sel:BYTE_3 src1_sel:DWORD
; %bb.4186:                             ;   in Loop: Header=BB6_4155 Depth=2
	s_or_b64 exec, exec, s[20:21]
	flat_load_ubyte v0, v[10:11] offset:64 glc slc
	v_mov_b32_e32 v1, 0
	s_waitcnt vmcnt(0) lgkmcnt(0)
	v_cmp_ne_u16_e32 vcc, 0, v0
	s_and_saveexec_b64 s[20:21], vcc
	s_cbranch_execz .LBB6_4192
; %bb.4187:                             ;   in Loop: Header=BB6_4155 Depth=2
	v_cmp_ne_u16_e32 vcc, s53, v0
	v_bfrev_b32_e32 v1, 1
	s_and_saveexec_b64 s[88:89], vcc
	s_cbranch_execz .LBB6_4191
; %bb.4188:                             ;   in Loop: Header=BB6_4155 Depth=2
	v_and_b32_e32 v16, 0xffff, v0
	v_and_b32_e32 v2, 0x7f, v16
	v_cmp_ne_u32_e32 vcc, s51, v2
	v_mov_b32_e32 v1, 0x7f800001
	s_and_saveexec_b64 s[90:91], vcc
	s_cbranch_execz .LBB6_4190
; %bb.4189:                             ;   in Loop: Header=BB6_4155 Depth=2
	v_and_b32_e32 v3, 7, v16
	v_ffbh_u32_e32 v1, v3
	v_min_u32_e32 v5, 32, v1
	v_subrev_u32_e32 v1, 28, v5
	v_lshrrev_b32_e32 v4, 3, v2
	v_cmp_gt_u32_e32 vcc, 8, v2
	v_lshlrev_b64 v[1:2], v1, v[16:17]
	v_sub_u32_e32 v2, 29, v5
	v_and_b32_e32 v1, 7, v1
	v_cndmask_b32_e32 v2, v4, v2, vcc
	v_cndmask_b32_e32 v1, v3, v1, vcc
	v_lshlrev_b32_e32 v0, 24, v0
	v_bfrev_b32_e32 v3, 60
	v_lshlrev_b32_e32 v1, 20, v1
	v_and_b32_e32 v0, 0x80000000, v0
	v_lshl_add_u32 v2, v2, 23, v3
	v_or3_b32 v1, v0, v2, v1
.LBB6_4190:                             ;   in Loop: Header=BB6_4155 Depth=2
	s_or_b64 exec, exec, s[90:91]
.LBB6_4191:                             ;   in Loop: Header=BB6_4155 Depth=2
	s_or_b64 exec, exec, s[88:89]
.LBB6_4192:                             ;   in Loop: Header=BB6_4155 Depth=2
	s_or_b64 exec, exec, s[20:21]
	v_mul_f32_e32 v1, s30, v1
	v_and_b32_e32 v52, 0x7f800000, v1
	v_cmp_ne_u64_e32 vcc, s[56:57], v[52:53]
                                        ; implicit-def: $vgpr28
	s_and_saveexec_b64 s[20:21], vcc
	s_xor_b64 s[88:89], exec, s[20:21]
	s_cbranch_execz .LBB6_4210
; %bb.4193:                             ;   in Loop: Header=BB6_4155 Depth=2
	v_and_b32_e32 v52, 0x7fffffff, v1
	v_cmp_gt_u64_e32 vcc, s[58:59], v[52:53]
	v_and_b32_sdwa v0, v1, s53 dst_sel:DWORD dst_unused:UNUSED_PAD src0_sel:BYTE_3 src1_sel:DWORD
                                        ; implicit-def: $vgpr28
	s_and_saveexec_b64 s[20:21], vcc
	s_xor_b64 s[90:91], exec, s[20:21]
	s_cbranch_execz .LBB6_4207
; %bb.4194:                             ;   in Loop: Header=BB6_4155 Depth=2
	v_cmp_ne_u32_e32 vcc, 0, v1
	v_mov_b32_e32 v28, 0
	s_and_saveexec_b64 s[92:93], vcc
	s_cbranch_execz .LBB6_4206
; %bb.4195:                             ;   in Loop: Header=BB6_4155 Depth=2
	v_and_b32_e32 v3, 0x7fffff, v1
	v_bfe_u32 v1, v1, 23, 8
	v_cmp_gt_u32_e64 s[20:21], s54, v1
	v_sub_u32_e32 v2, 0x79, v1
	v_cmp_eq_u32_e32 vcc, 0, v1
	v_cndmask_b32_e64 v2, 0, v2, s[20:21]
	v_mov_b32_e32 v5, 0x78
	v_or_b32_e32 v4, 0x800000, v3
	v_cndmask_b32_e32 v2, v2, v5, vcc
	v_cndmask_b32_e32 v52, v4, v3, vcc
	v_add_u32_e32 v3, 20, v2
	v_lshlrev_b64 v[3:4], v3, -1
	v_add_u32_e32 v5, 19, v2
	v_lshlrev_b64 v[7:8], v5, 1
	v_lshrrev_b64 v[16:17], v2, v[52:53]
	v_bfi_b32 v4, v4, 0, 0
	v_bfi_b32 v3, v3, 0, v52
	v_cmp_eq_u64_e64 s[20:21], v[3:4], v[7:8]
	v_mov_b32_e32 v18, v17
	v_mov_b32_e32 v17, v16
	s_and_saveexec_b64 s[94:95], s[20:21]
; %bb.4196:                             ;   in Loop: Header=BB6_4155 Depth=2
	v_bfe_u32 v3, v16, 20, 1
	v_add_co_u32_e64 v3, s[20:21], v16, v3
	v_add_co_u32_e64 v17, s[20:21], -1, v3
; %bb.4197:                             ;   in Loop: Header=BB6_4155 Depth=2
	s_or_b64 exec, exec, s[94:95]
	v_add_u32_e32 v1, 0xffffff81, v1
	v_mov_b32_e32 v3, 0xffffff82
	v_cndmask_b32_e32 v1, v1, v3, vcc
	v_lshrrev_b32_e32 v3, 23, v16
	v_add3_u32 v3, v2, v1, v3
	v_add_u32_e32 v2, 6, v3
	v_and_b32_e32 v1, 0xfffff, v17
	v_add_u32_e32 v52, v1, v16
	v_cmp_ne_u32_e32 vcc, 0, v2
                                        ; implicit-def: $vgpr16_vgpr17
                                        ; implicit-def: $vgpr1
	s_and_saveexec_b64 s[20:21], vcc
	s_xor_b64 s[20:21], exec, s[20:21]
; %bb.4198:                             ;   in Loop: Header=BB6_4155 Depth=2
	v_cmp_lt_u64_e32 vcc, s[60:61], v[52:53]
	v_add_u32_e32 v1, 7, v3
	v_cndmask_b32_e32 v1, v2, v1, vcc
	v_cndmask_b32_e64 v2, 0, 1, vcc
	v_lshrrev_b64 v[16:17], v2, v[52:53]
; %bb.4199:                             ;   in Loop: Header=BB6_4155 Depth=2
	s_andn2_saveexec_b64 s[20:21], s[20:21]
; %bb.4200:                             ;   in Loop: Header=BB6_4155 Depth=2
	v_mov_b32_e32 v16, v52
	v_bfe_u32 v1, v52, 23, 1
	v_mov_b32_e32 v17, v53
; %bb.4201:                             ;   in Loop: Header=BB6_4155 Depth=2
	s_or_b64 exec, exec, s[20:21]
	v_lshrrev_b64 v[2:3], 20, v[16:17]
	v_cmp_gt_i32_e32 vcc, 16, v1
	v_cndmask_b32_e32 v17, 0, v3, vcc
	v_cndmask_b32_e32 v16, 7, v2, vcc
	v_cmp_ne_u64_e32 vcc, 0, v[16:17]
	v_cmp_ne_u32_e64 s[20:21], 0, v1
	s_or_b64 s[20:21], s[20:21], vcc
                                        ; implicit-def: $vgpr28
	s_and_saveexec_b64 s[94:95], s[20:21]
	s_xor_b64 s[20:21], exec, s[94:95]
; %bb.4202:                             ;   in Loop: Header=BB6_4155 Depth=2
	v_min_i32_e32 v1, 15, v1
	v_lshl_or_b32 v0, v1, 3, v0
	v_and_or_b32 v28, v16, 7, v0
                                        ; implicit-def: $vgpr0
; %bb.4203:                             ;   in Loop: Header=BB6_4155 Depth=2
	s_andn2_saveexec_b64 s[20:21], s[20:21]
; %bb.4204:                             ;   in Loop: Header=BB6_4155 Depth=2
	v_mov_b32_e32 v28, v0
; %bb.4205:                             ;   in Loop: Header=BB6_4155 Depth=2
	s_or_b64 exec, exec, s[20:21]
.LBB6_4206:                             ;   in Loop: Header=BB6_4155 Depth=2
	s_or_b64 exec, exec, s[92:93]
                                        ; implicit-def: $vgpr0
.LBB6_4207:                             ;   in Loop: Header=BB6_4155 Depth=2
	s_andn2_saveexec_b64 s[20:21], s[90:91]
; %bb.4208:                             ;   in Loop: Header=BB6_4155 Depth=2
	v_or_b32_e32 v28, 0x7e, v0
; %bb.4209:                             ;   in Loop: Header=BB6_4155 Depth=2
	s_or_b64 exec, exec, s[20:21]
                                        ; implicit-def: $vgpr1
.LBB6_4210:                             ;   in Loop: Header=BB6_4155 Depth=2
	s_andn2_saveexec_b64 s[20:21], s[88:89]
; %bb.4211:                             ;   in Loop: Header=BB6_4155 Depth=2
	v_or_b32_sdwa v28, v1, s51 dst_sel:DWORD dst_unused:UNUSED_PAD src0_sel:BYTE_3 src1_sel:DWORD
; %bb.4212:                             ;   in Loop: Header=BB6_4155 Depth=2
	s_or_b64 exec, exec, s[20:21]
	flat_load_ubyte v0, v[10:11] offset:128 glc slc
	v_mov_b32_e32 v1, 0
	s_waitcnt vmcnt(0) lgkmcnt(0)
	v_cmp_ne_u16_e32 vcc, 0, v0
	s_and_saveexec_b64 s[20:21], vcc
	s_cbranch_execz .LBB6_4218
; %bb.4213:                             ;   in Loop: Header=BB6_4155 Depth=2
	v_cmp_ne_u16_e32 vcc, s53, v0
	v_bfrev_b32_e32 v1, 1
	s_and_saveexec_b64 s[88:89], vcc
	s_cbranch_execz .LBB6_4217
; %bb.4214:                             ;   in Loop: Header=BB6_4155 Depth=2
	v_and_b32_e32 v16, 0xffff, v0
	v_and_b32_e32 v2, 0x7f, v16
	v_cmp_ne_u32_e32 vcc, s51, v2
	v_mov_b32_e32 v1, 0x7f800001
	s_and_saveexec_b64 s[90:91], vcc
	s_cbranch_execz .LBB6_4216
; %bb.4215:                             ;   in Loop: Header=BB6_4155 Depth=2
	v_and_b32_e32 v3, 7, v16
	v_ffbh_u32_e32 v1, v3
	v_min_u32_e32 v5, 32, v1
	v_subrev_u32_e32 v1, 28, v5
	v_lshrrev_b32_e32 v4, 3, v2
	v_cmp_gt_u32_e32 vcc, 8, v2
	v_lshlrev_b64 v[1:2], v1, v[16:17]
	v_sub_u32_e32 v2, 29, v5
	v_and_b32_e32 v1, 7, v1
	v_cndmask_b32_e32 v2, v4, v2, vcc
	v_cndmask_b32_e32 v1, v3, v1, vcc
	v_lshlrev_b32_e32 v0, 24, v0
	v_bfrev_b32_e32 v3, 60
	v_lshlrev_b32_e32 v1, 20, v1
	v_and_b32_e32 v0, 0x80000000, v0
	v_lshl_add_u32 v2, v2, 23, v3
	v_or3_b32 v1, v0, v2, v1
.LBB6_4216:                             ;   in Loop: Header=BB6_4155 Depth=2
	s_or_b64 exec, exec, s[90:91]
.LBB6_4217:                             ;   in Loop: Header=BB6_4155 Depth=2
	s_or_b64 exec, exec, s[88:89]
.LBB6_4218:                             ;   in Loop: Header=BB6_4155 Depth=2
	s_or_b64 exec, exec, s[20:21]
	v_mul_f32_e32 v1, s30, v1
	v_and_b32_e32 v52, 0x7f800000, v1
	v_cmp_ne_u64_e32 vcc, s[56:57], v[52:53]
                                        ; implicit-def: $vgpr35
	s_and_saveexec_b64 s[20:21], vcc
	s_xor_b64 s[88:89], exec, s[20:21]
	s_cbranch_execz .LBB6_4236
; %bb.4219:                             ;   in Loop: Header=BB6_4155 Depth=2
	v_and_b32_e32 v52, 0x7fffffff, v1
	v_cmp_gt_u64_e32 vcc, s[58:59], v[52:53]
	v_and_b32_sdwa v0, v1, s53 dst_sel:DWORD dst_unused:UNUSED_PAD src0_sel:BYTE_3 src1_sel:DWORD
                                        ; implicit-def: $vgpr35
	s_and_saveexec_b64 s[20:21], vcc
	s_xor_b64 s[90:91], exec, s[20:21]
	s_cbranch_execz .LBB6_4233
; %bb.4220:                             ;   in Loop: Header=BB6_4155 Depth=2
	v_cmp_ne_u32_e32 vcc, 0, v1
	v_mov_b32_e32 v35, 0
	s_and_saveexec_b64 s[92:93], vcc
	s_cbranch_execz .LBB6_4232
; %bb.4221:                             ;   in Loop: Header=BB6_4155 Depth=2
	v_and_b32_e32 v3, 0x7fffff, v1
	v_bfe_u32 v1, v1, 23, 8
	v_cmp_gt_u32_e64 s[20:21], s54, v1
	v_sub_u32_e32 v2, 0x79, v1
	v_cmp_eq_u32_e32 vcc, 0, v1
	v_cndmask_b32_e64 v2, 0, v2, s[20:21]
	v_mov_b32_e32 v5, 0x78
	v_or_b32_e32 v4, 0x800000, v3
	v_cndmask_b32_e32 v2, v2, v5, vcc
	v_cndmask_b32_e32 v52, v4, v3, vcc
	v_add_u32_e32 v3, 20, v2
	v_lshlrev_b64 v[3:4], v3, -1
	v_add_u32_e32 v5, 19, v2
	v_lshlrev_b64 v[7:8], v5, 1
	v_lshrrev_b64 v[16:17], v2, v[52:53]
	v_bfi_b32 v4, v4, 0, 0
	v_bfi_b32 v3, v3, 0, v52
	v_cmp_eq_u64_e64 s[20:21], v[3:4], v[7:8]
	v_mov_b32_e32 v18, v17
	v_mov_b32_e32 v17, v16
	s_and_saveexec_b64 s[94:95], s[20:21]
; %bb.4222:                             ;   in Loop: Header=BB6_4155 Depth=2
	v_bfe_u32 v3, v16, 20, 1
	v_add_co_u32_e64 v3, s[20:21], v16, v3
	v_add_co_u32_e64 v17, s[20:21], -1, v3
; %bb.4223:                             ;   in Loop: Header=BB6_4155 Depth=2
	s_or_b64 exec, exec, s[94:95]
	v_add_u32_e32 v1, 0xffffff81, v1
	v_mov_b32_e32 v3, 0xffffff82
	v_cndmask_b32_e32 v1, v1, v3, vcc
	v_lshrrev_b32_e32 v3, 23, v16
	v_add3_u32 v3, v2, v1, v3
	v_add_u32_e32 v2, 6, v3
	v_and_b32_e32 v1, 0xfffff, v17
	v_add_u32_e32 v52, v1, v16
	v_cmp_ne_u32_e32 vcc, 0, v2
                                        ; implicit-def: $vgpr16_vgpr17
                                        ; implicit-def: $vgpr1
	s_and_saveexec_b64 s[20:21], vcc
	s_xor_b64 s[20:21], exec, s[20:21]
; %bb.4224:                             ;   in Loop: Header=BB6_4155 Depth=2
	v_cmp_lt_u64_e32 vcc, s[60:61], v[52:53]
	v_add_u32_e32 v1, 7, v3
	v_cndmask_b32_e32 v1, v2, v1, vcc
	v_cndmask_b32_e64 v2, 0, 1, vcc
	v_lshrrev_b64 v[16:17], v2, v[52:53]
; %bb.4225:                             ;   in Loop: Header=BB6_4155 Depth=2
	s_andn2_saveexec_b64 s[20:21], s[20:21]
; %bb.4226:                             ;   in Loop: Header=BB6_4155 Depth=2
	v_mov_b32_e32 v16, v52
	v_bfe_u32 v1, v52, 23, 1
	v_mov_b32_e32 v17, v53
; %bb.4227:                             ;   in Loop: Header=BB6_4155 Depth=2
	s_or_b64 exec, exec, s[20:21]
	v_lshrrev_b64 v[2:3], 20, v[16:17]
	v_cmp_gt_i32_e32 vcc, 16, v1
	v_cndmask_b32_e32 v17, 0, v3, vcc
	v_cndmask_b32_e32 v16, 7, v2, vcc
	v_cmp_ne_u64_e32 vcc, 0, v[16:17]
	v_cmp_ne_u32_e64 s[20:21], 0, v1
	s_or_b64 s[20:21], s[20:21], vcc
                                        ; implicit-def: $vgpr35
	s_and_saveexec_b64 s[94:95], s[20:21]
	s_xor_b64 s[20:21], exec, s[94:95]
; %bb.4228:                             ;   in Loop: Header=BB6_4155 Depth=2
	v_min_i32_e32 v1, 15, v1
	v_lshl_or_b32 v0, v1, 3, v0
	v_and_or_b32 v35, v16, 7, v0
                                        ; implicit-def: $vgpr0
; %bb.4229:                             ;   in Loop: Header=BB6_4155 Depth=2
	s_andn2_saveexec_b64 s[20:21], s[20:21]
; %bb.4230:                             ;   in Loop: Header=BB6_4155 Depth=2
	v_mov_b32_e32 v35, v0
; %bb.4231:                             ;   in Loop: Header=BB6_4155 Depth=2
	s_or_b64 exec, exec, s[20:21]
.LBB6_4232:                             ;   in Loop: Header=BB6_4155 Depth=2
	s_or_b64 exec, exec, s[92:93]
                                        ; implicit-def: $vgpr0
.LBB6_4233:                             ;   in Loop: Header=BB6_4155 Depth=2
	s_andn2_saveexec_b64 s[20:21], s[90:91]
; %bb.4234:                             ;   in Loop: Header=BB6_4155 Depth=2
	v_or_b32_e32 v35, 0x7e, v0
; %bb.4235:                             ;   in Loop: Header=BB6_4155 Depth=2
	s_or_b64 exec, exec, s[20:21]
                                        ; implicit-def: $vgpr1
.LBB6_4236:                             ;   in Loop: Header=BB6_4155 Depth=2
	s_andn2_saveexec_b64 s[20:21], s[88:89]
; %bb.4237:                             ;   in Loop: Header=BB6_4155 Depth=2
	v_or_b32_sdwa v35, v1, s51 dst_sel:DWORD dst_unused:UNUSED_PAD src0_sel:BYTE_3 src1_sel:DWORD
; %bb.4238:                             ;   in Loop: Header=BB6_4155 Depth=2
	s_or_b64 exec, exec, s[20:21]
	flat_load_ubyte v0, v[10:11] offset:192 glc slc
	v_mov_b32_e32 v1, 0
	s_waitcnt vmcnt(0) lgkmcnt(0)
	v_cmp_ne_u16_e32 vcc, 0, v0
	s_and_saveexec_b64 s[20:21], vcc
	s_cbranch_execz .LBB6_4244
; %bb.4239:                             ;   in Loop: Header=BB6_4155 Depth=2
	v_cmp_ne_u16_e32 vcc, s53, v0
	v_bfrev_b32_e32 v1, 1
	s_and_saveexec_b64 s[88:89], vcc
	s_cbranch_execz .LBB6_4243
; %bb.4240:                             ;   in Loop: Header=BB6_4155 Depth=2
	v_and_b32_e32 v16, 0xffff, v0
	v_and_b32_e32 v2, 0x7f, v16
	v_cmp_ne_u32_e32 vcc, s51, v2
	v_mov_b32_e32 v1, 0x7f800001
	s_and_saveexec_b64 s[90:91], vcc
	s_cbranch_execz .LBB6_4242
; %bb.4241:                             ;   in Loop: Header=BB6_4155 Depth=2
	v_and_b32_e32 v3, 7, v16
	v_ffbh_u32_e32 v1, v3
	v_min_u32_e32 v5, 32, v1
	v_subrev_u32_e32 v1, 28, v5
	v_lshrrev_b32_e32 v4, 3, v2
	v_cmp_gt_u32_e32 vcc, 8, v2
	v_lshlrev_b64 v[1:2], v1, v[16:17]
	v_sub_u32_e32 v2, 29, v5
	v_and_b32_e32 v1, 7, v1
	v_cndmask_b32_e32 v2, v4, v2, vcc
	v_cndmask_b32_e32 v1, v3, v1, vcc
	v_lshlrev_b32_e32 v0, 24, v0
	v_bfrev_b32_e32 v3, 60
	v_lshlrev_b32_e32 v1, 20, v1
	v_and_b32_e32 v0, 0x80000000, v0
	v_lshl_add_u32 v2, v2, 23, v3
	v_or3_b32 v1, v0, v2, v1
.LBB6_4242:                             ;   in Loop: Header=BB6_4155 Depth=2
	s_or_b64 exec, exec, s[90:91]
.LBB6_4243:                             ;   in Loop: Header=BB6_4155 Depth=2
	s_or_b64 exec, exec, s[88:89]
.LBB6_4244:                             ;   in Loop: Header=BB6_4155 Depth=2
	s_or_b64 exec, exec, s[20:21]
	v_mul_f32_e32 v1, s30, v1
	v_and_b32_e32 v52, 0x7f800000, v1
	v_cmp_ne_u64_e32 vcc, s[56:57], v[52:53]
                                        ; implicit-def: $vgpr39
	s_and_saveexec_b64 s[20:21], vcc
	s_xor_b64 s[88:89], exec, s[20:21]
	s_cbranch_execz .LBB6_4262
; %bb.4245:                             ;   in Loop: Header=BB6_4155 Depth=2
	v_and_b32_e32 v52, 0x7fffffff, v1
	v_cmp_gt_u64_e32 vcc, s[58:59], v[52:53]
	v_and_b32_sdwa v0, v1, s53 dst_sel:DWORD dst_unused:UNUSED_PAD src0_sel:BYTE_3 src1_sel:DWORD
                                        ; implicit-def: $vgpr39
	s_and_saveexec_b64 s[20:21], vcc
	s_xor_b64 s[90:91], exec, s[20:21]
	s_cbranch_execz .LBB6_4259
; %bb.4246:                             ;   in Loop: Header=BB6_4155 Depth=2
	v_cmp_ne_u32_e32 vcc, 0, v1
	v_mov_b32_e32 v39, 0
	s_and_saveexec_b64 s[92:93], vcc
	s_cbranch_execz .LBB6_4258
; %bb.4247:                             ;   in Loop: Header=BB6_4155 Depth=2
	v_and_b32_e32 v3, 0x7fffff, v1
	v_bfe_u32 v1, v1, 23, 8
	v_cmp_gt_u32_e64 s[20:21], s54, v1
	v_sub_u32_e32 v2, 0x79, v1
	v_cmp_eq_u32_e32 vcc, 0, v1
	v_cndmask_b32_e64 v2, 0, v2, s[20:21]
	v_mov_b32_e32 v5, 0x78
	v_or_b32_e32 v4, 0x800000, v3
	v_cndmask_b32_e32 v2, v2, v5, vcc
	v_cndmask_b32_e32 v52, v4, v3, vcc
	v_add_u32_e32 v3, 20, v2
	v_lshlrev_b64 v[3:4], v3, -1
	v_add_u32_e32 v5, 19, v2
	v_lshlrev_b64 v[7:8], v5, 1
	v_lshrrev_b64 v[16:17], v2, v[52:53]
	v_bfi_b32 v4, v4, 0, 0
	v_bfi_b32 v3, v3, 0, v52
	v_cmp_eq_u64_e64 s[20:21], v[3:4], v[7:8]
	v_mov_b32_e32 v18, v17
	v_mov_b32_e32 v17, v16
	s_and_saveexec_b64 s[94:95], s[20:21]
; %bb.4248:                             ;   in Loop: Header=BB6_4155 Depth=2
	v_bfe_u32 v3, v16, 20, 1
	v_add_co_u32_e64 v3, s[20:21], v16, v3
	v_add_co_u32_e64 v17, s[20:21], -1, v3
; %bb.4249:                             ;   in Loop: Header=BB6_4155 Depth=2
	s_or_b64 exec, exec, s[94:95]
	v_add_u32_e32 v1, 0xffffff81, v1
	v_mov_b32_e32 v3, 0xffffff82
	v_cndmask_b32_e32 v1, v1, v3, vcc
	v_lshrrev_b32_e32 v3, 23, v16
	v_add3_u32 v3, v2, v1, v3
	v_add_u32_e32 v2, 6, v3
	v_and_b32_e32 v1, 0xfffff, v17
	v_add_u32_e32 v52, v1, v16
	v_cmp_ne_u32_e32 vcc, 0, v2
                                        ; implicit-def: $vgpr16_vgpr17
                                        ; implicit-def: $vgpr1
	s_and_saveexec_b64 s[20:21], vcc
	s_xor_b64 s[20:21], exec, s[20:21]
; %bb.4250:                             ;   in Loop: Header=BB6_4155 Depth=2
	v_cmp_lt_u64_e32 vcc, s[60:61], v[52:53]
	v_add_u32_e32 v1, 7, v3
	v_cndmask_b32_e32 v1, v2, v1, vcc
	v_cndmask_b32_e64 v2, 0, 1, vcc
	v_lshrrev_b64 v[16:17], v2, v[52:53]
; %bb.4251:                             ;   in Loop: Header=BB6_4155 Depth=2
	s_andn2_saveexec_b64 s[20:21], s[20:21]
; %bb.4252:                             ;   in Loop: Header=BB6_4155 Depth=2
	v_mov_b32_e32 v16, v52
	v_bfe_u32 v1, v52, 23, 1
	v_mov_b32_e32 v17, v53
; %bb.4253:                             ;   in Loop: Header=BB6_4155 Depth=2
	s_or_b64 exec, exec, s[20:21]
	v_lshrrev_b64 v[2:3], 20, v[16:17]
	v_cmp_gt_i32_e32 vcc, 16, v1
	v_cndmask_b32_e32 v17, 0, v3, vcc
	v_cndmask_b32_e32 v16, 7, v2, vcc
	v_cmp_ne_u64_e32 vcc, 0, v[16:17]
	v_cmp_ne_u32_e64 s[20:21], 0, v1
	s_or_b64 s[20:21], s[20:21], vcc
                                        ; implicit-def: $vgpr39
	s_and_saveexec_b64 s[94:95], s[20:21]
	s_xor_b64 s[20:21], exec, s[94:95]
; %bb.4254:                             ;   in Loop: Header=BB6_4155 Depth=2
	v_min_i32_e32 v1, 15, v1
	v_lshl_or_b32 v0, v1, 3, v0
	v_and_or_b32 v39, v16, 7, v0
                                        ; implicit-def: $vgpr0
; %bb.4255:                             ;   in Loop: Header=BB6_4155 Depth=2
	s_andn2_saveexec_b64 s[20:21], s[20:21]
; %bb.4256:                             ;   in Loop: Header=BB6_4155 Depth=2
	v_mov_b32_e32 v39, v0
; %bb.4257:                             ;   in Loop: Header=BB6_4155 Depth=2
	s_or_b64 exec, exec, s[20:21]
.LBB6_4258:                             ;   in Loop: Header=BB6_4155 Depth=2
	s_or_b64 exec, exec, s[92:93]
                                        ; implicit-def: $vgpr0
.LBB6_4259:                             ;   in Loop: Header=BB6_4155 Depth=2
	s_andn2_saveexec_b64 s[20:21], s[90:91]
; %bb.4260:                             ;   in Loop: Header=BB6_4155 Depth=2
	v_or_b32_e32 v39, 0x7e, v0
; %bb.4261:                             ;   in Loop: Header=BB6_4155 Depth=2
	s_or_b64 exec, exec, s[20:21]
                                        ; implicit-def: $vgpr1
.LBB6_4262:                             ;   in Loop: Header=BB6_4155 Depth=2
	s_andn2_saveexec_b64 s[20:21], s[88:89]
; %bb.4263:                             ;   in Loop: Header=BB6_4155 Depth=2
	v_or_b32_sdwa v39, v1, s51 dst_sel:DWORD dst_unused:UNUSED_PAD src0_sel:BYTE_3 src1_sel:DWORD
; %bb.4264:                             ;   in Loop: Header=BB6_4155 Depth=2
	s_or_b64 exec, exec, s[20:21]
	flat_load_ubyte v0, v[10:11] offset:256 glc slc
	v_mov_b32_e32 v1, 0
	s_waitcnt vmcnt(0) lgkmcnt(0)
	v_cmp_ne_u16_e32 vcc, 0, v0
	s_and_saveexec_b64 s[20:21], vcc
	s_cbranch_execz .LBB6_4270
; %bb.4265:                             ;   in Loop: Header=BB6_4155 Depth=2
	v_cmp_ne_u16_e32 vcc, s53, v0
	v_bfrev_b32_e32 v1, 1
	s_and_saveexec_b64 s[88:89], vcc
	s_cbranch_execz .LBB6_4269
; %bb.4266:                             ;   in Loop: Header=BB6_4155 Depth=2
	v_and_b32_e32 v16, 0xffff, v0
	v_and_b32_e32 v2, 0x7f, v16
	v_cmp_ne_u32_e32 vcc, s51, v2
	v_mov_b32_e32 v1, 0x7f800001
	s_and_saveexec_b64 s[90:91], vcc
	s_cbranch_execz .LBB6_4268
; %bb.4267:                             ;   in Loop: Header=BB6_4155 Depth=2
	v_and_b32_e32 v3, 7, v16
	v_ffbh_u32_e32 v1, v3
	v_min_u32_e32 v5, 32, v1
	v_subrev_u32_e32 v1, 28, v5
	v_lshrrev_b32_e32 v4, 3, v2
	v_cmp_gt_u32_e32 vcc, 8, v2
	v_lshlrev_b64 v[1:2], v1, v[16:17]
	v_sub_u32_e32 v2, 29, v5
	v_and_b32_e32 v1, 7, v1
	v_cndmask_b32_e32 v2, v4, v2, vcc
	v_cndmask_b32_e32 v1, v3, v1, vcc
	v_lshlrev_b32_e32 v0, 24, v0
	v_bfrev_b32_e32 v3, 60
	v_lshlrev_b32_e32 v1, 20, v1
	v_and_b32_e32 v0, 0x80000000, v0
	v_lshl_add_u32 v2, v2, 23, v3
	v_or3_b32 v1, v0, v2, v1
.LBB6_4268:                             ;   in Loop: Header=BB6_4155 Depth=2
	s_or_b64 exec, exec, s[90:91]
.LBB6_4269:                             ;   in Loop: Header=BB6_4155 Depth=2
	s_or_b64 exec, exec, s[88:89]
.LBB6_4270:                             ;   in Loop: Header=BB6_4155 Depth=2
	s_or_b64 exec, exec, s[20:21]
	v_mul_f32_e32 v1, s30, v1
	v_and_b32_e32 v52, 0x7f800000, v1
	v_cmp_ne_u64_e32 vcc, s[56:57], v[52:53]
                                        ; implicit-def: $vgpr46
	s_and_saveexec_b64 s[20:21], vcc
	s_xor_b64 s[88:89], exec, s[20:21]
	s_cbranch_execz .LBB6_4288
; %bb.4271:                             ;   in Loop: Header=BB6_4155 Depth=2
	v_and_b32_e32 v52, 0x7fffffff, v1
	v_cmp_gt_u64_e32 vcc, s[58:59], v[52:53]
	v_and_b32_sdwa v0, v1, s53 dst_sel:DWORD dst_unused:UNUSED_PAD src0_sel:BYTE_3 src1_sel:DWORD
                                        ; implicit-def: $vgpr46
	s_and_saveexec_b64 s[20:21], vcc
	s_xor_b64 s[90:91], exec, s[20:21]
	s_cbranch_execz .LBB6_4285
; %bb.4272:                             ;   in Loop: Header=BB6_4155 Depth=2
	v_cmp_ne_u32_e32 vcc, 0, v1
	v_mov_b32_e32 v46, 0
	s_and_saveexec_b64 s[92:93], vcc
	s_cbranch_execz .LBB6_4284
; %bb.4273:                             ;   in Loop: Header=BB6_4155 Depth=2
	v_and_b32_e32 v3, 0x7fffff, v1
	v_bfe_u32 v1, v1, 23, 8
	v_cmp_gt_u32_e64 s[20:21], s54, v1
	v_sub_u32_e32 v2, 0x79, v1
	v_cmp_eq_u32_e32 vcc, 0, v1
	v_cndmask_b32_e64 v2, 0, v2, s[20:21]
	v_mov_b32_e32 v5, 0x78
	v_or_b32_e32 v4, 0x800000, v3
	v_cndmask_b32_e32 v2, v2, v5, vcc
	v_cndmask_b32_e32 v52, v4, v3, vcc
	v_add_u32_e32 v3, 20, v2
	v_lshlrev_b64 v[3:4], v3, -1
	v_add_u32_e32 v5, 19, v2
	v_lshlrev_b64 v[7:8], v5, 1
	v_lshrrev_b64 v[16:17], v2, v[52:53]
	v_bfi_b32 v4, v4, 0, 0
	v_bfi_b32 v3, v3, 0, v52
	v_cmp_eq_u64_e64 s[20:21], v[3:4], v[7:8]
	v_mov_b32_e32 v18, v17
	v_mov_b32_e32 v17, v16
	s_and_saveexec_b64 s[94:95], s[20:21]
; %bb.4274:                             ;   in Loop: Header=BB6_4155 Depth=2
	v_bfe_u32 v3, v16, 20, 1
	v_add_co_u32_e64 v3, s[20:21], v16, v3
	v_add_co_u32_e64 v17, s[20:21], -1, v3
; %bb.4275:                             ;   in Loop: Header=BB6_4155 Depth=2
	s_or_b64 exec, exec, s[94:95]
	v_add_u32_e32 v1, 0xffffff81, v1
	v_mov_b32_e32 v3, 0xffffff82
	v_cndmask_b32_e32 v1, v1, v3, vcc
	v_lshrrev_b32_e32 v3, 23, v16
	v_add3_u32 v3, v2, v1, v3
	v_add_u32_e32 v2, 6, v3
	v_and_b32_e32 v1, 0xfffff, v17
	v_add_u32_e32 v52, v1, v16
	v_cmp_ne_u32_e32 vcc, 0, v2
                                        ; implicit-def: $vgpr16_vgpr17
                                        ; implicit-def: $vgpr1
	s_and_saveexec_b64 s[20:21], vcc
	s_xor_b64 s[20:21], exec, s[20:21]
; %bb.4276:                             ;   in Loop: Header=BB6_4155 Depth=2
	v_cmp_lt_u64_e32 vcc, s[60:61], v[52:53]
	v_add_u32_e32 v1, 7, v3
	v_cndmask_b32_e32 v1, v2, v1, vcc
	v_cndmask_b32_e64 v2, 0, 1, vcc
	v_lshrrev_b64 v[16:17], v2, v[52:53]
; %bb.4277:                             ;   in Loop: Header=BB6_4155 Depth=2
	s_andn2_saveexec_b64 s[20:21], s[20:21]
; %bb.4278:                             ;   in Loop: Header=BB6_4155 Depth=2
	v_mov_b32_e32 v16, v52
	v_bfe_u32 v1, v52, 23, 1
	v_mov_b32_e32 v17, v53
; %bb.4279:                             ;   in Loop: Header=BB6_4155 Depth=2
	s_or_b64 exec, exec, s[20:21]
	v_lshrrev_b64 v[2:3], 20, v[16:17]
	v_cmp_gt_i32_e32 vcc, 16, v1
	v_cndmask_b32_e32 v17, 0, v3, vcc
	v_cndmask_b32_e32 v16, 7, v2, vcc
	v_cmp_ne_u64_e32 vcc, 0, v[16:17]
	v_cmp_ne_u32_e64 s[20:21], 0, v1
	s_or_b64 s[20:21], s[20:21], vcc
                                        ; implicit-def: $vgpr46
	s_and_saveexec_b64 s[94:95], s[20:21]
	s_xor_b64 s[20:21], exec, s[94:95]
; %bb.4280:                             ;   in Loop: Header=BB6_4155 Depth=2
	v_min_i32_e32 v1, 15, v1
	v_lshl_or_b32 v0, v1, 3, v0
	v_and_or_b32 v46, v16, 7, v0
                                        ; implicit-def: $vgpr0
; %bb.4281:                             ;   in Loop: Header=BB6_4155 Depth=2
	s_andn2_saveexec_b64 s[20:21], s[20:21]
; %bb.4282:                             ;   in Loop: Header=BB6_4155 Depth=2
	v_mov_b32_e32 v46, v0
; %bb.4283:                             ;   in Loop: Header=BB6_4155 Depth=2
	s_or_b64 exec, exec, s[20:21]
.LBB6_4284:                             ;   in Loop: Header=BB6_4155 Depth=2
	s_or_b64 exec, exec, s[92:93]
                                        ; implicit-def: $vgpr0
.LBB6_4285:                             ;   in Loop: Header=BB6_4155 Depth=2
	s_andn2_saveexec_b64 s[20:21], s[90:91]
; %bb.4286:                             ;   in Loop: Header=BB6_4155 Depth=2
	v_or_b32_e32 v46, 0x7e, v0
; %bb.4287:                             ;   in Loop: Header=BB6_4155 Depth=2
	s_or_b64 exec, exec, s[20:21]
                                        ; implicit-def: $vgpr1
.LBB6_4288:                             ;   in Loop: Header=BB6_4155 Depth=2
	s_andn2_saveexec_b64 s[20:21], s[88:89]
; %bb.4289:                             ;   in Loop: Header=BB6_4155 Depth=2
	v_or_b32_sdwa v46, v1, s51 dst_sel:DWORD dst_unused:UNUSED_PAD src0_sel:BYTE_3 src1_sel:DWORD
; %bb.4290:                             ;   in Loop: Header=BB6_4155 Depth=2
	s_or_b64 exec, exec, s[20:21]
	flat_load_ubyte v0, v[10:11] offset:320 glc slc
	v_mov_b32_e32 v1, 0
	s_waitcnt vmcnt(0) lgkmcnt(0)
	v_cmp_ne_u16_e32 vcc, 0, v0
	s_and_saveexec_b64 s[20:21], vcc
	s_cbranch_execz .LBB6_4296
; %bb.4291:                             ;   in Loop: Header=BB6_4155 Depth=2
	v_cmp_ne_u16_e32 vcc, s53, v0
	v_bfrev_b32_e32 v1, 1
	s_and_saveexec_b64 s[88:89], vcc
	s_cbranch_execz .LBB6_4295
; %bb.4292:                             ;   in Loop: Header=BB6_4155 Depth=2
	v_and_b32_e32 v16, 0xffff, v0
	v_and_b32_e32 v2, 0x7f, v16
	v_cmp_ne_u32_e32 vcc, s51, v2
	v_mov_b32_e32 v1, 0x7f800001
	s_and_saveexec_b64 s[90:91], vcc
	s_cbranch_execz .LBB6_4294
; %bb.4293:                             ;   in Loop: Header=BB6_4155 Depth=2
	v_and_b32_e32 v3, 7, v16
	v_ffbh_u32_e32 v1, v3
	v_min_u32_e32 v5, 32, v1
	v_subrev_u32_e32 v1, 28, v5
	v_lshrrev_b32_e32 v4, 3, v2
	v_cmp_gt_u32_e32 vcc, 8, v2
	v_lshlrev_b64 v[1:2], v1, v[16:17]
	v_sub_u32_e32 v2, 29, v5
	v_and_b32_e32 v1, 7, v1
	v_cndmask_b32_e32 v2, v4, v2, vcc
	v_cndmask_b32_e32 v1, v3, v1, vcc
	v_lshlrev_b32_e32 v0, 24, v0
	v_bfrev_b32_e32 v3, 60
	v_lshlrev_b32_e32 v1, 20, v1
	v_and_b32_e32 v0, 0x80000000, v0
	v_lshl_add_u32 v2, v2, 23, v3
	v_or3_b32 v1, v0, v2, v1
.LBB6_4294:                             ;   in Loop: Header=BB6_4155 Depth=2
	s_or_b64 exec, exec, s[90:91]
.LBB6_4295:                             ;   in Loop: Header=BB6_4155 Depth=2
	s_or_b64 exec, exec, s[88:89]
.LBB6_4296:                             ;   in Loop: Header=BB6_4155 Depth=2
	s_or_b64 exec, exec, s[20:21]
	v_mul_f32_e32 v1, s30, v1
	v_and_b32_e32 v52, 0x7f800000, v1
	v_cmp_ne_u64_e32 vcc, s[56:57], v[52:53]
                                        ; implicit-def: $vgpr57
	s_and_saveexec_b64 s[20:21], vcc
	s_xor_b64 s[88:89], exec, s[20:21]
	s_cbranch_execz .LBB6_4314
; %bb.4297:                             ;   in Loop: Header=BB6_4155 Depth=2
	v_and_b32_e32 v52, 0x7fffffff, v1
	v_cmp_gt_u64_e32 vcc, s[58:59], v[52:53]
	v_and_b32_sdwa v0, v1, s53 dst_sel:DWORD dst_unused:UNUSED_PAD src0_sel:BYTE_3 src1_sel:DWORD
                                        ; implicit-def: $vgpr57
	s_and_saveexec_b64 s[20:21], vcc
	s_xor_b64 s[90:91], exec, s[20:21]
	s_cbranch_execz .LBB6_4311
; %bb.4298:                             ;   in Loop: Header=BB6_4155 Depth=2
	v_cmp_ne_u32_e32 vcc, 0, v1
	v_mov_b32_e32 v57, 0
	s_and_saveexec_b64 s[92:93], vcc
	s_cbranch_execz .LBB6_4310
; %bb.4299:                             ;   in Loop: Header=BB6_4155 Depth=2
	v_and_b32_e32 v3, 0x7fffff, v1
	v_bfe_u32 v1, v1, 23, 8
	v_cmp_gt_u32_e64 s[20:21], s54, v1
	v_sub_u32_e32 v2, 0x79, v1
	v_cmp_eq_u32_e32 vcc, 0, v1
	v_cndmask_b32_e64 v2, 0, v2, s[20:21]
	v_mov_b32_e32 v5, 0x78
	v_or_b32_e32 v4, 0x800000, v3
	v_cndmask_b32_e32 v2, v2, v5, vcc
	v_cndmask_b32_e32 v52, v4, v3, vcc
	v_add_u32_e32 v3, 20, v2
	v_lshlrev_b64 v[3:4], v3, -1
	v_add_u32_e32 v5, 19, v2
	v_lshlrev_b64 v[7:8], v5, 1
	v_lshrrev_b64 v[16:17], v2, v[52:53]
	v_bfi_b32 v4, v4, 0, 0
	v_bfi_b32 v3, v3, 0, v52
	v_cmp_eq_u64_e64 s[20:21], v[3:4], v[7:8]
	v_mov_b32_e32 v18, v17
	v_mov_b32_e32 v17, v16
	s_and_saveexec_b64 s[94:95], s[20:21]
; %bb.4300:                             ;   in Loop: Header=BB6_4155 Depth=2
	v_bfe_u32 v3, v16, 20, 1
	v_add_co_u32_e64 v3, s[20:21], v16, v3
	v_add_co_u32_e64 v17, s[20:21], -1, v3
; %bb.4301:                             ;   in Loop: Header=BB6_4155 Depth=2
	s_or_b64 exec, exec, s[94:95]
	v_add_u32_e32 v1, 0xffffff81, v1
	v_mov_b32_e32 v3, 0xffffff82
	v_cndmask_b32_e32 v1, v1, v3, vcc
	v_lshrrev_b32_e32 v3, 23, v16
	v_add3_u32 v3, v2, v1, v3
	v_add_u32_e32 v2, 6, v3
	v_and_b32_e32 v1, 0xfffff, v17
	v_add_u32_e32 v52, v1, v16
	v_cmp_ne_u32_e32 vcc, 0, v2
                                        ; implicit-def: $vgpr16_vgpr17
                                        ; implicit-def: $vgpr1
	s_and_saveexec_b64 s[20:21], vcc
	s_xor_b64 s[20:21], exec, s[20:21]
; %bb.4302:                             ;   in Loop: Header=BB6_4155 Depth=2
	v_cmp_lt_u64_e32 vcc, s[60:61], v[52:53]
	v_add_u32_e32 v1, 7, v3
	v_cndmask_b32_e32 v1, v2, v1, vcc
	v_cndmask_b32_e64 v2, 0, 1, vcc
	v_lshrrev_b64 v[16:17], v2, v[52:53]
; %bb.4303:                             ;   in Loop: Header=BB6_4155 Depth=2
	s_andn2_saveexec_b64 s[20:21], s[20:21]
; %bb.4304:                             ;   in Loop: Header=BB6_4155 Depth=2
	v_mov_b32_e32 v16, v52
	v_bfe_u32 v1, v52, 23, 1
	v_mov_b32_e32 v17, v53
; %bb.4305:                             ;   in Loop: Header=BB6_4155 Depth=2
	s_or_b64 exec, exec, s[20:21]
	v_lshrrev_b64 v[2:3], 20, v[16:17]
	v_cmp_gt_i32_e32 vcc, 16, v1
	v_cndmask_b32_e32 v17, 0, v3, vcc
	v_cndmask_b32_e32 v16, 7, v2, vcc
	v_cmp_ne_u64_e32 vcc, 0, v[16:17]
	v_cmp_ne_u32_e64 s[20:21], 0, v1
	s_or_b64 s[20:21], s[20:21], vcc
                                        ; implicit-def: $vgpr57
	s_and_saveexec_b64 s[94:95], s[20:21]
	s_xor_b64 s[20:21], exec, s[94:95]
; %bb.4306:                             ;   in Loop: Header=BB6_4155 Depth=2
	v_min_i32_e32 v1, 15, v1
	v_lshl_or_b32 v0, v1, 3, v0
	v_and_or_b32 v57, v16, 7, v0
                                        ; implicit-def: $vgpr0
; %bb.4307:                             ;   in Loop: Header=BB6_4155 Depth=2
	s_andn2_saveexec_b64 s[20:21], s[20:21]
; %bb.4308:                             ;   in Loop: Header=BB6_4155 Depth=2
	v_mov_b32_e32 v57, v0
; %bb.4309:                             ;   in Loop: Header=BB6_4155 Depth=2
	s_or_b64 exec, exec, s[20:21]
.LBB6_4310:                             ;   in Loop: Header=BB6_4155 Depth=2
	s_or_b64 exec, exec, s[92:93]
                                        ; implicit-def: $vgpr0
.LBB6_4311:                             ;   in Loop: Header=BB6_4155 Depth=2
	s_andn2_saveexec_b64 s[20:21], s[90:91]
; %bb.4312:                             ;   in Loop: Header=BB6_4155 Depth=2
	v_or_b32_e32 v57, 0x7e, v0
; %bb.4313:                             ;   in Loop: Header=BB6_4155 Depth=2
	s_or_b64 exec, exec, s[20:21]
                                        ; implicit-def: $vgpr1
.LBB6_4314:                             ;   in Loop: Header=BB6_4155 Depth=2
	s_andn2_saveexec_b64 s[20:21], s[88:89]
; %bb.4315:                             ;   in Loop: Header=BB6_4155 Depth=2
	v_or_b32_sdwa v57, v1, s51 dst_sel:DWORD dst_unused:UNUSED_PAD src0_sel:BYTE_3 src1_sel:DWORD
; %bb.4316:                             ;   in Loop: Header=BB6_4155 Depth=2
	s_or_b64 exec, exec, s[20:21]
	flat_load_ubyte v0, v[10:11] offset:384 glc slc
	v_mov_b32_e32 v1, 0
	s_waitcnt vmcnt(0) lgkmcnt(0)
	v_cmp_ne_u16_e32 vcc, 0, v0
	s_and_saveexec_b64 s[20:21], vcc
	s_cbranch_execz .LBB6_4322
; %bb.4317:                             ;   in Loop: Header=BB6_4155 Depth=2
	v_cmp_ne_u16_e32 vcc, s53, v0
	v_bfrev_b32_e32 v1, 1
	s_and_saveexec_b64 s[88:89], vcc
	s_cbranch_execz .LBB6_4321
; %bb.4318:                             ;   in Loop: Header=BB6_4155 Depth=2
	v_and_b32_e32 v16, 0xffff, v0
	v_and_b32_e32 v2, 0x7f, v16
	v_cmp_ne_u32_e32 vcc, s51, v2
	v_mov_b32_e32 v1, 0x7f800001
	s_and_saveexec_b64 s[90:91], vcc
	s_cbranch_execz .LBB6_4320
; %bb.4319:                             ;   in Loop: Header=BB6_4155 Depth=2
	v_and_b32_e32 v3, 7, v16
	v_ffbh_u32_e32 v1, v3
	v_min_u32_e32 v5, 32, v1
	v_subrev_u32_e32 v1, 28, v5
	v_lshrrev_b32_e32 v4, 3, v2
	v_cmp_gt_u32_e32 vcc, 8, v2
	v_lshlrev_b64 v[1:2], v1, v[16:17]
	v_sub_u32_e32 v2, 29, v5
	v_and_b32_e32 v1, 7, v1
	v_cndmask_b32_e32 v2, v4, v2, vcc
	v_cndmask_b32_e32 v1, v3, v1, vcc
	v_lshlrev_b32_e32 v0, 24, v0
	v_bfrev_b32_e32 v3, 60
	v_lshlrev_b32_e32 v1, 20, v1
	v_and_b32_e32 v0, 0x80000000, v0
	v_lshl_add_u32 v2, v2, 23, v3
	v_or3_b32 v1, v0, v2, v1
.LBB6_4320:                             ;   in Loop: Header=BB6_4155 Depth=2
	s_or_b64 exec, exec, s[90:91]
.LBB6_4321:                             ;   in Loop: Header=BB6_4155 Depth=2
	s_or_b64 exec, exec, s[88:89]
.LBB6_4322:                             ;   in Loop: Header=BB6_4155 Depth=2
	s_or_b64 exec, exec, s[20:21]
	v_mul_f32_e32 v1, s30, v1
	v_and_b32_e32 v52, 0x7f800000, v1
	v_cmp_ne_u64_e32 vcc, s[56:57], v[52:53]
                                        ; implicit-def: $vgpr56
	s_and_saveexec_b64 s[20:21], vcc
	s_xor_b64 s[88:89], exec, s[20:21]
	s_cbranch_execz .LBB6_4340
; %bb.4323:                             ;   in Loop: Header=BB6_4155 Depth=2
	v_and_b32_e32 v52, 0x7fffffff, v1
	v_cmp_gt_u64_e32 vcc, s[58:59], v[52:53]
	v_and_b32_sdwa v0, v1, s53 dst_sel:DWORD dst_unused:UNUSED_PAD src0_sel:BYTE_3 src1_sel:DWORD
                                        ; implicit-def: $vgpr56
	s_and_saveexec_b64 s[20:21], vcc
	s_xor_b64 s[90:91], exec, s[20:21]
	s_cbranch_execz .LBB6_4337
; %bb.4324:                             ;   in Loop: Header=BB6_4155 Depth=2
	v_cmp_ne_u32_e32 vcc, 0, v1
	v_mov_b32_e32 v56, 0
	s_and_saveexec_b64 s[92:93], vcc
	s_cbranch_execz .LBB6_4336
; %bb.4325:                             ;   in Loop: Header=BB6_4155 Depth=2
	v_and_b32_e32 v3, 0x7fffff, v1
	v_bfe_u32 v1, v1, 23, 8
	v_cmp_gt_u32_e64 s[20:21], s54, v1
	v_sub_u32_e32 v2, 0x79, v1
	v_cmp_eq_u32_e32 vcc, 0, v1
	v_cndmask_b32_e64 v2, 0, v2, s[20:21]
	v_mov_b32_e32 v5, 0x78
	v_or_b32_e32 v4, 0x800000, v3
	v_cndmask_b32_e32 v2, v2, v5, vcc
	v_cndmask_b32_e32 v52, v4, v3, vcc
	v_add_u32_e32 v3, 20, v2
	v_lshlrev_b64 v[3:4], v3, -1
	v_add_u32_e32 v5, 19, v2
	v_lshlrev_b64 v[7:8], v5, 1
	v_lshrrev_b64 v[16:17], v2, v[52:53]
	v_bfi_b32 v4, v4, 0, 0
	v_bfi_b32 v3, v3, 0, v52
	v_cmp_eq_u64_e64 s[20:21], v[3:4], v[7:8]
	v_mov_b32_e32 v18, v17
	v_mov_b32_e32 v17, v16
	s_and_saveexec_b64 s[94:95], s[20:21]
; %bb.4326:                             ;   in Loop: Header=BB6_4155 Depth=2
	v_bfe_u32 v3, v16, 20, 1
	v_add_co_u32_e64 v3, s[20:21], v16, v3
	v_add_co_u32_e64 v17, s[20:21], -1, v3
; %bb.4327:                             ;   in Loop: Header=BB6_4155 Depth=2
	s_or_b64 exec, exec, s[94:95]
	v_add_u32_e32 v1, 0xffffff81, v1
	v_mov_b32_e32 v3, 0xffffff82
	v_cndmask_b32_e32 v1, v1, v3, vcc
	v_lshrrev_b32_e32 v3, 23, v16
	v_add3_u32 v3, v2, v1, v3
	v_add_u32_e32 v2, 6, v3
	v_and_b32_e32 v1, 0xfffff, v17
	v_add_u32_e32 v52, v1, v16
	v_cmp_ne_u32_e32 vcc, 0, v2
                                        ; implicit-def: $vgpr16_vgpr17
                                        ; implicit-def: $vgpr1
	s_and_saveexec_b64 s[20:21], vcc
	s_xor_b64 s[20:21], exec, s[20:21]
; %bb.4328:                             ;   in Loop: Header=BB6_4155 Depth=2
	v_cmp_lt_u64_e32 vcc, s[60:61], v[52:53]
	v_add_u32_e32 v1, 7, v3
	v_cndmask_b32_e32 v1, v2, v1, vcc
	v_cndmask_b32_e64 v2, 0, 1, vcc
	v_lshrrev_b64 v[16:17], v2, v[52:53]
; %bb.4329:                             ;   in Loop: Header=BB6_4155 Depth=2
	s_andn2_saveexec_b64 s[20:21], s[20:21]
; %bb.4330:                             ;   in Loop: Header=BB6_4155 Depth=2
	v_mov_b32_e32 v16, v52
	v_bfe_u32 v1, v52, 23, 1
	v_mov_b32_e32 v17, v53
; %bb.4331:                             ;   in Loop: Header=BB6_4155 Depth=2
	s_or_b64 exec, exec, s[20:21]
	v_lshrrev_b64 v[2:3], 20, v[16:17]
	v_cmp_gt_i32_e32 vcc, 16, v1
	v_cndmask_b32_e32 v17, 0, v3, vcc
	v_cndmask_b32_e32 v16, 7, v2, vcc
	v_cmp_ne_u64_e32 vcc, 0, v[16:17]
	v_cmp_ne_u32_e64 s[20:21], 0, v1
	s_or_b64 s[20:21], s[20:21], vcc
                                        ; implicit-def: $vgpr56
	s_and_saveexec_b64 s[94:95], s[20:21]
	s_xor_b64 s[20:21], exec, s[94:95]
; %bb.4332:                             ;   in Loop: Header=BB6_4155 Depth=2
	v_min_i32_e32 v1, 15, v1
	v_lshl_or_b32 v0, v1, 3, v0
	v_and_or_b32 v56, v16, 7, v0
                                        ; implicit-def: $vgpr0
; %bb.4333:                             ;   in Loop: Header=BB6_4155 Depth=2
	s_andn2_saveexec_b64 s[20:21], s[20:21]
; %bb.4334:                             ;   in Loop: Header=BB6_4155 Depth=2
	v_mov_b32_e32 v56, v0
; %bb.4335:                             ;   in Loop: Header=BB6_4155 Depth=2
	s_or_b64 exec, exec, s[20:21]
.LBB6_4336:                             ;   in Loop: Header=BB6_4155 Depth=2
	s_or_b64 exec, exec, s[92:93]
                                        ; implicit-def: $vgpr0
.LBB6_4337:                             ;   in Loop: Header=BB6_4155 Depth=2
	s_andn2_saveexec_b64 s[20:21], s[90:91]
; %bb.4338:                             ;   in Loop: Header=BB6_4155 Depth=2
	v_or_b32_e32 v56, 0x7e, v0
; %bb.4339:                             ;   in Loop: Header=BB6_4155 Depth=2
	s_or_b64 exec, exec, s[20:21]
                                        ; implicit-def: $vgpr1
.LBB6_4340:                             ;   in Loop: Header=BB6_4155 Depth=2
	s_andn2_saveexec_b64 s[20:21], s[88:89]
; %bb.4341:                             ;   in Loop: Header=BB6_4155 Depth=2
	v_or_b32_sdwa v56, v1, s51 dst_sel:DWORD dst_unused:UNUSED_PAD src0_sel:BYTE_3 src1_sel:DWORD
; %bb.4342:                             ;   in Loop: Header=BB6_4155 Depth=2
	s_or_b64 exec, exec, s[20:21]
	flat_load_ubyte v0, v[10:11] offset:448 glc slc
	v_mov_b32_e32 v1, 0
	s_waitcnt vmcnt(0) lgkmcnt(0)
	v_cmp_ne_u16_e32 vcc, 0, v0
	s_and_saveexec_b64 s[20:21], vcc
	s_cbranch_execz .LBB6_4348
; %bb.4343:                             ;   in Loop: Header=BB6_4155 Depth=2
	v_cmp_ne_u16_e32 vcc, s53, v0
	v_bfrev_b32_e32 v1, 1
	s_and_saveexec_b64 s[88:89], vcc
	s_cbranch_execz .LBB6_4347
; %bb.4344:                             ;   in Loop: Header=BB6_4155 Depth=2
	v_and_b32_e32 v16, 0xffff, v0
	v_and_b32_e32 v2, 0x7f, v16
	v_cmp_ne_u32_e32 vcc, s51, v2
	v_mov_b32_e32 v1, 0x7f800001
	s_and_saveexec_b64 s[90:91], vcc
	s_cbranch_execz .LBB6_4346
; %bb.4345:                             ;   in Loop: Header=BB6_4155 Depth=2
	v_and_b32_e32 v3, 7, v16
	v_ffbh_u32_e32 v1, v3
	v_min_u32_e32 v5, 32, v1
	v_subrev_u32_e32 v1, 28, v5
	v_lshrrev_b32_e32 v4, 3, v2
	v_cmp_gt_u32_e32 vcc, 8, v2
	v_lshlrev_b64 v[1:2], v1, v[16:17]
	v_sub_u32_e32 v2, 29, v5
	v_and_b32_e32 v1, 7, v1
	v_cndmask_b32_e32 v2, v4, v2, vcc
	v_cndmask_b32_e32 v1, v3, v1, vcc
	v_lshlrev_b32_e32 v0, 24, v0
	v_bfrev_b32_e32 v3, 60
	v_lshlrev_b32_e32 v1, 20, v1
	v_and_b32_e32 v0, 0x80000000, v0
	v_lshl_add_u32 v2, v2, 23, v3
	v_or3_b32 v1, v0, v2, v1
.LBB6_4346:                             ;   in Loop: Header=BB6_4155 Depth=2
	s_or_b64 exec, exec, s[90:91]
.LBB6_4347:                             ;   in Loop: Header=BB6_4155 Depth=2
	s_or_b64 exec, exec, s[88:89]
.LBB6_4348:                             ;   in Loop: Header=BB6_4155 Depth=2
	s_or_b64 exec, exec, s[20:21]
	v_mul_f32_e32 v1, s30, v1
	v_and_b32_e32 v52, 0x7f800000, v1
	v_cmp_ne_u64_e32 vcc, s[56:57], v[52:53]
                                        ; implicit-def: $vgpr45
	s_and_saveexec_b64 s[20:21], vcc
	s_xor_b64 s[88:89], exec, s[20:21]
	s_cbranch_execz .LBB6_4366
; %bb.4349:                             ;   in Loop: Header=BB6_4155 Depth=2
	v_and_b32_e32 v52, 0x7fffffff, v1
	v_cmp_gt_u64_e32 vcc, s[58:59], v[52:53]
	v_and_b32_sdwa v0, v1, s53 dst_sel:DWORD dst_unused:UNUSED_PAD src0_sel:BYTE_3 src1_sel:DWORD
                                        ; implicit-def: $vgpr45
	s_and_saveexec_b64 s[20:21], vcc
	s_xor_b64 s[90:91], exec, s[20:21]
	s_cbranch_execz .LBB6_4363
; %bb.4350:                             ;   in Loop: Header=BB6_4155 Depth=2
	v_cmp_ne_u32_e32 vcc, 0, v1
	v_mov_b32_e32 v45, 0
	s_and_saveexec_b64 s[92:93], vcc
	s_cbranch_execz .LBB6_4362
; %bb.4351:                             ;   in Loop: Header=BB6_4155 Depth=2
	v_and_b32_e32 v3, 0x7fffff, v1
	v_bfe_u32 v1, v1, 23, 8
	v_cmp_gt_u32_e64 s[20:21], s54, v1
	v_sub_u32_e32 v2, 0x79, v1
	v_cmp_eq_u32_e32 vcc, 0, v1
	v_cndmask_b32_e64 v2, 0, v2, s[20:21]
	v_mov_b32_e32 v5, 0x78
	v_or_b32_e32 v4, 0x800000, v3
	v_cndmask_b32_e32 v2, v2, v5, vcc
	v_cndmask_b32_e32 v52, v4, v3, vcc
	v_add_u32_e32 v3, 20, v2
	v_lshlrev_b64 v[3:4], v3, -1
	v_add_u32_e32 v5, 19, v2
	v_lshlrev_b64 v[7:8], v5, 1
	v_lshrrev_b64 v[16:17], v2, v[52:53]
	v_bfi_b32 v4, v4, 0, 0
	v_bfi_b32 v3, v3, 0, v52
	v_cmp_eq_u64_e64 s[20:21], v[3:4], v[7:8]
	v_mov_b32_e32 v18, v17
	v_mov_b32_e32 v17, v16
	s_and_saveexec_b64 s[94:95], s[20:21]
; %bb.4352:                             ;   in Loop: Header=BB6_4155 Depth=2
	v_bfe_u32 v3, v16, 20, 1
	v_add_co_u32_e64 v3, s[20:21], v16, v3
	v_add_co_u32_e64 v17, s[20:21], -1, v3
; %bb.4353:                             ;   in Loop: Header=BB6_4155 Depth=2
	s_or_b64 exec, exec, s[94:95]
	v_add_u32_e32 v1, 0xffffff81, v1
	v_mov_b32_e32 v3, 0xffffff82
	v_cndmask_b32_e32 v1, v1, v3, vcc
	v_lshrrev_b32_e32 v3, 23, v16
	v_add3_u32 v3, v2, v1, v3
	v_add_u32_e32 v2, 6, v3
	v_and_b32_e32 v1, 0xfffff, v17
	v_add_u32_e32 v52, v1, v16
	v_cmp_ne_u32_e32 vcc, 0, v2
                                        ; implicit-def: $vgpr16_vgpr17
                                        ; implicit-def: $vgpr1
	s_and_saveexec_b64 s[20:21], vcc
	s_xor_b64 s[20:21], exec, s[20:21]
; %bb.4354:                             ;   in Loop: Header=BB6_4155 Depth=2
	v_cmp_lt_u64_e32 vcc, s[60:61], v[52:53]
	v_add_u32_e32 v1, 7, v3
	v_cndmask_b32_e32 v1, v2, v1, vcc
	v_cndmask_b32_e64 v2, 0, 1, vcc
	v_lshrrev_b64 v[16:17], v2, v[52:53]
; %bb.4355:                             ;   in Loop: Header=BB6_4155 Depth=2
	s_andn2_saveexec_b64 s[20:21], s[20:21]
; %bb.4356:                             ;   in Loop: Header=BB6_4155 Depth=2
	v_mov_b32_e32 v16, v52
	v_bfe_u32 v1, v52, 23, 1
	v_mov_b32_e32 v17, v53
; %bb.4357:                             ;   in Loop: Header=BB6_4155 Depth=2
	s_or_b64 exec, exec, s[20:21]
	v_lshrrev_b64 v[2:3], 20, v[16:17]
	v_cmp_gt_i32_e32 vcc, 16, v1
	v_cndmask_b32_e32 v17, 0, v3, vcc
	v_cndmask_b32_e32 v16, 7, v2, vcc
	v_cmp_ne_u64_e32 vcc, 0, v[16:17]
	v_cmp_ne_u32_e64 s[20:21], 0, v1
	s_or_b64 s[20:21], s[20:21], vcc
                                        ; implicit-def: $vgpr45
	s_and_saveexec_b64 s[94:95], s[20:21]
	s_xor_b64 s[20:21], exec, s[94:95]
; %bb.4358:                             ;   in Loop: Header=BB6_4155 Depth=2
	v_min_i32_e32 v1, 15, v1
	v_lshl_or_b32 v0, v1, 3, v0
	v_and_or_b32 v45, v16, 7, v0
                                        ; implicit-def: $vgpr0
; %bb.4359:                             ;   in Loop: Header=BB6_4155 Depth=2
	s_andn2_saveexec_b64 s[20:21], s[20:21]
; %bb.4360:                             ;   in Loop: Header=BB6_4155 Depth=2
	v_mov_b32_e32 v45, v0
; %bb.4361:                             ;   in Loop: Header=BB6_4155 Depth=2
	s_or_b64 exec, exec, s[20:21]
.LBB6_4362:                             ;   in Loop: Header=BB6_4155 Depth=2
	s_or_b64 exec, exec, s[92:93]
                                        ; implicit-def: $vgpr0
.LBB6_4363:                             ;   in Loop: Header=BB6_4155 Depth=2
	s_andn2_saveexec_b64 s[20:21], s[90:91]
; %bb.4364:                             ;   in Loop: Header=BB6_4155 Depth=2
	v_or_b32_e32 v45, 0x7e, v0
; %bb.4365:                             ;   in Loop: Header=BB6_4155 Depth=2
	s_or_b64 exec, exec, s[20:21]
                                        ; implicit-def: $vgpr1
.LBB6_4366:                             ;   in Loop: Header=BB6_4155 Depth=2
	s_andn2_saveexec_b64 s[20:21], s[88:89]
; %bb.4367:                             ;   in Loop: Header=BB6_4155 Depth=2
	v_or_b32_sdwa v45, v1, s51 dst_sel:DWORD dst_unused:UNUSED_PAD src0_sel:BYTE_3 src1_sel:DWORD
; %bb.4368:                             ;   in Loop: Header=BB6_4155 Depth=2
	s_or_b64 exec, exec, s[20:21]
	flat_load_ubyte v0, v[10:11] offset:512 glc slc
	v_mov_b32_e32 v1, 0
	s_waitcnt vmcnt(0) lgkmcnt(0)
	v_cmp_ne_u16_e32 vcc, 0, v0
	s_and_saveexec_b64 s[20:21], vcc
	s_cbranch_execz .LBB6_4374
; %bb.4369:                             ;   in Loop: Header=BB6_4155 Depth=2
	v_cmp_ne_u16_e32 vcc, s53, v0
	v_bfrev_b32_e32 v1, 1
	s_and_saveexec_b64 s[88:89], vcc
	s_cbranch_execz .LBB6_4373
; %bb.4370:                             ;   in Loop: Header=BB6_4155 Depth=2
	v_and_b32_e32 v16, 0xffff, v0
	v_and_b32_e32 v2, 0x7f, v16
	v_cmp_ne_u32_e32 vcc, s51, v2
	v_mov_b32_e32 v1, 0x7f800001
	s_and_saveexec_b64 s[90:91], vcc
	s_cbranch_execz .LBB6_4372
; %bb.4371:                             ;   in Loop: Header=BB6_4155 Depth=2
	v_and_b32_e32 v3, 7, v16
	v_ffbh_u32_e32 v1, v3
	v_min_u32_e32 v5, 32, v1
	v_subrev_u32_e32 v1, 28, v5
	v_lshrrev_b32_e32 v4, 3, v2
	v_cmp_gt_u32_e32 vcc, 8, v2
	v_lshlrev_b64 v[1:2], v1, v[16:17]
	v_sub_u32_e32 v2, 29, v5
	v_and_b32_e32 v1, 7, v1
	v_cndmask_b32_e32 v2, v4, v2, vcc
	v_cndmask_b32_e32 v1, v3, v1, vcc
	v_lshlrev_b32_e32 v0, 24, v0
	v_bfrev_b32_e32 v3, 60
	v_lshlrev_b32_e32 v1, 20, v1
	v_and_b32_e32 v0, 0x80000000, v0
	v_lshl_add_u32 v2, v2, 23, v3
	v_or3_b32 v1, v0, v2, v1
.LBB6_4372:                             ;   in Loop: Header=BB6_4155 Depth=2
	s_or_b64 exec, exec, s[90:91]
.LBB6_4373:                             ;   in Loop: Header=BB6_4155 Depth=2
	s_or_b64 exec, exec, s[88:89]
.LBB6_4374:                             ;   in Loop: Header=BB6_4155 Depth=2
	s_or_b64 exec, exec, s[20:21]
	v_mul_f32_e32 v1, s30, v1
	v_and_b32_e32 v52, 0x7f800000, v1
	v_cmp_ne_u64_e32 vcc, s[56:57], v[52:53]
                                        ; implicit-def: $vgpr44
	s_and_saveexec_b64 s[20:21], vcc
	s_xor_b64 s[88:89], exec, s[20:21]
	s_cbranch_execz .LBB6_4392
; %bb.4375:                             ;   in Loop: Header=BB6_4155 Depth=2
	v_and_b32_e32 v52, 0x7fffffff, v1
	v_cmp_gt_u64_e32 vcc, s[58:59], v[52:53]
	v_and_b32_sdwa v0, v1, s53 dst_sel:DWORD dst_unused:UNUSED_PAD src0_sel:BYTE_3 src1_sel:DWORD
                                        ; implicit-def: $vgpr44
	s_and_saveexec_b64 s[20:21], vcc
	s_xor_b64 s[90:91], exec, s[20:21]
	s_cbranch_execz .LBB6_4389
; %bb.4376:                             ;   in Loop: Header=BB6_4155 Depth=2
	v_cmp_ne_u32_e32 vcc, 0, v1
	v_mov_b32_e32 v44, 0
	s_and_saveexec_b64 s[92:93], vcc
	s_cbranch_execz .LBB6_4388
; %bb.4377:                             ;   in Loop: Header=BB6_4155 Depth=2
	v_and_b32_e32 v3, 0x7fffff, v1
	v_bfe_u32 v1, v1, 23, 8
	v_cmp_gt_u32_e64 s[20:21], s54, v1
	v_sub_u32_e32 v2, 0x79, v1
	v_cmp_eq_u32_e32 vcc, 0, v1
	v_cndmask_b32_e64 v2, 0, v2, s[20:21]
	v_mov_b32_e32 v5, 0x78
	v_or_b32_e32 v4, 0x800000, v3
	v_cndmask_b32_e32 v2, v2, v5, vcc
	v_cndmask_b32_e32 v52, v4, v3, vcc
	v_add_u32_e32 v3, 20, v2
	v_lshlrev_b64 v[3:4], v3, -1
	v_add_u32_e32 v5, 19, v2
	v_lshlrev_b64 v[7:8], v5, 1
	v_lshrrev_b64 v[16:17], v2, v[52:53]
	v_bfi_b32 v4, v4, 0, 0
	v_bfi_b32 v3, v3, 0, v52
	v_cmp_eq_u64_e64 s[20:21], v[3:4], v[7:8]
	v_mov_b32_e32 v18, v17
	v_mov_b32_e32 v17, v16
	s_and_saveexec_b64 s[94:95], s[20:21]
; %bb.4378:                             ;   in Loop: Header=BB6_4155 Depth=2
	v_bfe_u32 v3, v16, 20, 1
	v_add_co_u32_e64 v3, s[20:21], v16, v3
	v_add_co_u32_e64 v17, s[20:21], -1, v3
; %bb.4379:                             ;   in Loop: Header=BB6_4155 Depth=2
	s_or_b64 exec, exec, s[94:95]
	v_add_u32_e32 v1, 0xffffff81, v1
	v_mov_b32_e32 v3, 0xffffff82
	v_cndmask_b32_e32 v1, v1, v3, vcc
	v_lshrrev_b32_e32 v3, 23, v16
	v_add3_u32 v3, v2, v1, v3
	v_add_u32_e32 v2, 6, v3
	v_and_b32_e32 v1, 0xfffff, v17
	v_add_u32_e32 v52, v1, v16
	v_cmp_ne_u32_e32 vcc, 0, v2
                                        ; implicit-def: $vgpr16_vgpr17
                                        ; implicit-def: $vgpr1
	s_and_saveexec_b64 s[20:21], vcc
	s_xor_b64 s[20:21], exec, s[20:21]
; %bb.4380:                             ;   in Loop: Header=BB6_4155 Depth=2
	v_cmp_lt_u64_e32 vcc, s[60:61], v[52:53]
	v_add_u32_e32 v1, 7, v3
	v_cndmask_b32_e32 v1, v2, v1, vcc
	v_cndmask_b32_e64 v2, 0, 1, vcc
	v_lshrrev_b64 v[16:17], v2, v[52:53]
; %bb.4381:                             ;   in Loop: Header=BB6_4155 Depth=2
	s_andn2_saveexec_b64 s[20:21], s[20:21]
; %bb.4382:                             ;   in Loop: Header=BB6_4155 Depth=2
	v_mov_b32_e32 v16, v52
	v_bfe_u32 v1, v52, 23, 1
	v_mov_b32_e32 v17, v53
; %bb.4383:                             ;   in Loop: Header=BB6_4155 Depth=2
	s_or_b64 exec, exec, s[20:21]
	v_lshrrev_b64 v[2:3], 20, v[16:17]
	v_cmp_gt_i32_e32 vcc, 16, v1
	v_cndmask_b32_e32 v17, 0, v3, vcc
	v_cndmask_b32_e32 v16, 7, v2, vcc
	v_cmp_ne_u64_e32 vcc, 0, v[16:17]
	v_cmp_ne_u32_e64 s[20:21], 0, v1
	s_or_b64 s[20:21], s[20:21], vcc
                                        ; implicit-def: $vgpr44
	s_and_saveexec_b64 s[94:95], s[20:21]
	s_xor_b64 s[20:21], exec, s[94:95]
; %bb.4384:                             ;   in Loop: Header=BB6_4155 Depth=2
	v_min_i32_e32 v1, 15, v1
	v_lshl_or_b32 v0, v1, 3, v0
	v_and_or_b32 v44, v16, 7, v0
                                        ; implicit-def: $vgpr0
; %bb.4385:                             ;   in Loop: Header=BB6_4155 Depth=2
	s_andn2_saveexec_b64 s[20:21], s[20:21]
; %bb.4386:                             ;   in Loop: Header=BB6_4155 Depth=2
	v_mov_b32_e32 v44, v0
; %bb.4387:                             ;   in Loop: Header=BB6_4155 Depth=2
	s_or_b64 exec, exec, s[20:21]
.LBB6_4388:                             ;   in Loop: Header=BB6_4155 Depth=2
	s_or_b64 exec, exec, s[92:93]
                                        ; implicit-def: $vgpr0
.LBB6_4389:                             ;   in Loop: Header=BB6_4155 Depth=2
	s_andn2_saveexec_b64 s[20:21], s[90:91]
; %bb.4390:                             ;   in Loop: Header=BB6_4155 Depth=2
	v_or_b32_e32 v44, 0x7e, v0
; %bb.4391:                             ;   in Loop: Header=BB6_4155 Depth=2
	s_or_b64 exec, exec, s[20:21]
                                        ; implicit-def: $vgpr1
.LBB6_4392:                             ;   in Loop: Header=BB6_4155 Depth=2
	s_andn2_saveexec_b64 s[20:21], s[88:89]
; %bb.4393:                             ;   in Loop: Header=BB6_4155 Depth=2
	v_or_b32_sdwa v44, v1, s51 dst_sel:DWORD dst_unused:UNUSED_PAD src0_sel:BYTE_3 src1_sel:DWORD
; %bb.4394:                             ;   in Loop: Header=BB6_4155 Depth=2
	s_or_b64 exec, exec, s[20:21]
	flat_load_ubyte v0, v[10:11] offset:576 glc slc
	v_mov_b32_e32 v1, 0
	s_waitcnt vmcnt(0) lgkmcnt(0)
	v_cmp_ne_u16_e32 vcc, 0, v0
	s_and_saveexec_b64 s[20:21], vcc
	s_cbranch_execz .LBB6_4400
; %bb.4395:                             ;   in Loop: Header=BB6_4155 Depth=2
	v_cmp_ne_u16_e32 vcc, s53, v0
	v_bfrev_b32_e32 v1, 1
	s_and_saveexec_b64 s[88:89], vcc
	s_cbranch_execz .LBB6_4399
; %bb.4396:                             ;   in Loop: Header=BB6_4155 Depth=2
	v_and_b32_e32 v16, 0xffff, v0
	v_and_b32_e32 v2, 0x7f, v16
	v_cmp_ne_u32_e32 vcc, s51, v2
	v_mov_b32_e32 v1, 0x7f800001
	s_and_saveexec_b64 s[90:91], vcc
	s_cbranch_execz .LBB6_4398
; %bb.4397:                             ;   in Loop: Header=BB6_4155 Depth=2
	v_and_b32_e32 v3, 7, v16
	v_ffbh_u32_e32 v1, v3
	v_min_u32_e32 v5, 32, v1
	v_subrev_u32_e32 v1, 28, v5
	v_lshrrev_b32_e32 v4, 3, v2
	v_cmp_gt_u32_e32 vcc, 8, v2
	v_lshlrev_b64 v[1:2], v1, v[16:17]
	v_sub_u32_e32 v2, 29, v5
	v_and_b32_e32 v1, 7, v1
	v_cndmask_b32_e32 v2, v4, v2, vcc
	v_cndmask_b32_e32 v1, v3, v1, vcc
	v_lshlrev_b32_e32 v0, 24, v0
	v_bfrev_b32_e32 v3, 60
	v_lshlrev_b32_e32 v1, 20, v1
	v_and_b32_e32 v0, 0x80000000, v0
	v_lshl_add_u32 v2, v2, 23, v3
	v_or3_b32 v1, v0, v2, v1
.LBB6_4398:                             ;   in Loop: Header=BB6_4155 Depth=2
	s_or_b64 exec, exec, s[90:91]
.LBB6_4399:                             ;   in Loop: Header=BB6_4155 Depth=2
	s_or_b64 exec, exec, s[88:89]
.LBB6_4400:                             ;   in Loop: Header=BB6_4155 Depth=2
	s_or_b64 exec, exec, s[20:21]
	v_mul_f32_e32 v1, s30, v1
	v_and_b32_e32 v52, 0x7f800000, v1
	v_cmp_ne_u64_e32 vcc, s[56:57], v[52:53]
                                        ; implicit-def: $vgpr43
	s_and_saveexec_b64 s[20:21], vcc
	s_xor_b64 s[88:89], exec, s[20:21]
	s_cbranch_execz .LBB6_4418
; %bb.4401:                             ;   in Loop: Header=BB6_4155 Depth=2
	v_and_b32_e32 v52, 0x7fffffff, v1
	v_cmp_gt_u64_e32 vcc, s[58:59], v[52:53]
	v_and_b32_sdwa v0, v1, s53 dst_sel:DWORD dst_unused:UNUSED_PAD src0_sel:BYTE_3 src1_sel:DWORD
                                        ; implicit-def: $vgpr43
	s_and_saveexec_b64 s[20:21], vcc
	s_xor_b64 s[90:91], exec, s[20:21]
	s_cbranch_execz .LBB6_4415
; %bb.4402:                             ;   in Loop: Header=BB6_4155 Depth=2
	v_cmp_ne_u32_e32 vcc, 0, v1
	v_mov_b32_e32 v43, 0
	s_and_saveexec_b64 s[92:93], vcc
	s_cbranch_execz .LBB6_4414
; %bb.4403:                             ;   in Loop: Header=BB6_4155 Depth=2
	v_and_b32_e32 v3, 0x7fffff, v1
	v_bfe_u32 v1, v1, 23, 8
	v_cmp_gt_u32_e64 s[20:21], s54, v1
	v_sub_u32_e32 v2, 0x79, v1
	v_cmp_eq_u32_e32 vcc, 0, v1
	v_cndmask_b32_e64 v2, 0, v2, s[20:21]
	v_mov_b32_e32 v5, 0x78
	v_or_b32_e32 v4, 0x800000, v3
	v_cndmask_b32_e32 v2, v2, v5, vcc
	v_cndmask_b32_e32 v52, v4, v3, vcc
	v_add_u32_e32 v3, 20, v2
	v_lshlrev_b64 v[3:4], v3, -1
	v_add_u32_e32 v5, 19, v2
	v_lshlrev_b64 v[7:8], v5, 1
	v_lshrrev_b64 v[16:17], v2, v[52:53]
	v_bfi_b32 v4, v4, 0, 0
	v_bfi_b32 v3, v3, 0, v52
	v_cmp_eq_u64_e64 s[20:21], v[3:4], v[7:8]
	v_mov_b32_e32 v18, v17
	v_mov_b32_e32 v17, v16
	s_and_saveexec_b64 s[94:95], s[20:21]
; %bb.4404:                             ;   in Loop: Header=BB6_4155 Depth=2
	v_bfe_u32 v3, v16, 20, 1
	v_add_co_u32_e64 v3, s[20:21], v16, v3
	v_add_co_u32_e64 v17, s[20:21], -1, v3
; %bb.4405:                             ;   in Loop: Header=BB6_4155 Depth=2
	s_or_b64 exec, exec, s[94:95]
	v_add_u32_e32 v1, 0xffffff81, v1
	v_mov_b32_e32 v3, 0xffffff82
	v_cndmask_b32_e32 v1, v1, v3, vcc
	v_lshrrev_b32_e32 v3, 23, v16
	v_add3_u32 v3, v2, v1, v3
	v_add_u32_e32 v2, 6, v3
	v_and_b32_e32 v1, 0xfffff, v17
	v_add_u32_e32 v52, v1, v16
	v_cmp_ne_u32_e32 vcc, 0, v2
                                        ; implicit-def: $vgpr16_vgpr17
                                        ; implicit-def: $vgpr1
	s_and_saveexec_b64 s[20:21], vcc
	s_xor_b64 s[20:21], exec, s[20:21]
; %bb.4406:                             ;   in Loop: Header=BB6_4155 Depth=2
	v_cmp_lt_u64_e32 vcc, s[60:61], v[52:53]
	v_add_u32_e32 v1, 7, v3
	v_cndmask_b32_e32 v1, v2, v1, vcc
	v_cndmask_b32_e64 v2, 0, 1, vcc
	v_lshrrev_b64 v[16:17], v2, v[52:53]
; %bb.4407:                             ;   in Loop: Header=BB6_4155 Depth=2
	s_andn2_saveexec_b64 s[20:21], s[20:21]
; %bb.4408:                             ;   in Loop: Header=BB6_4155 Depth=2
	v_mov_b32_e32 v16, v52
	v_bfe_u32 v1, v52, 23, 1
	v_mov_b32_e32 v17, v53
; %bb.4409:                             ;   in Loop: Header=BB6_4155 Depth=2
	s_or_b64 exec, exec, s[20:21]
	v_lshrrev_b64 v[2:3], 20, v[16:17]
	v_cmp_gt_i32_e32 vcc, 16, v1
	v_cndmask_b32_e32 v17, 0, v3, vcc
	v_cndmask_b32_e32 v16, 7, v2, vcc
	v_cmp_ne_u64_e32 vcc, 0, v[16:17]
	v_cmp_ne_u32_e64 s[20:21], 0, v1
	s_or_b64 s[20:21], s[20:21], vcc
                                        ; implicit-def: $vgpr43
	s_and_saveexec_b64 s[94:95], s[20:21]
	s_xor_b64 s[20:21], exec, s[94:95]
; %bb.4410:                             ;   in Loop: Header=BB6_4155 Depth=2
	v_min_i32_e32 v1, 15, v1
	v_lshl_or_b32 v0, v1, 3, v0
	v_and_or_b32 v43, v16, 7, v0
                                        ; implicit-def: $vgpr0
; %bb.4411:                             ;   in Loop: Header=BB6_4155 Depth=2
	s_andn2_saveexec_b64 s[20:21], s[20:21]
; %bb.4412:                             ;   in Loop: Header=BB6_4155 Depth=2
	v_mov_b32_e32 v43, v0
; %bb.4413:                             ;   in Loop: Header=BB6_4155 Depth=2
	s_or_b64 exec, exec, s[20:21]
.LBB6_4414:                             ;   in Loop: Header=BB6_4155 Depth=2
	s_or_b64 exec, exec, s[92:93]
                                        ; implicit-def: $vgpr0
.LBB6_4415:                             ;   in Loop: Header=BB6_4155 Depth=2
	s_andn2_saveexec_b64 s[20:21], s[90:91]
; %bb.4416:                             ;   in Loop: Header=BB6_4155 Depth=2
	v_or_b32_e32 v43, 0x7e, v0
; %bb.4417:                             ;   in Loop: Header=BB6_4155 Depth=2
	s_or_b64 exec, exec, s[20:21]
                                        ; implicit-def: $vgpr1
.LBB6_4418:                             ;   in Loop: Header=BB6_4155 Depth=2
	s_andn2_saveexec_b64 s[20:21], s[88:89]
; %bb.4419:                             ;   in Loop: Header=BB6_4155 Depth=2
	v_or_b32_sdwa v43, v1, s51 dst_sel:DWORD dst_unused:UNUSED_PAD src0_sel:BYTE_3 src1_sel:DWORD
; %bb.4420:                             ;   in Loop: Header=BB6_4155 Depth=2
	s_or_b64 exec, exec, s[20:21]
	flat_load_ubyte v0, v[10:11] offset:640 glc slc
	v_mov_b32_e32 v1, 0
	s_waitcnt vmcnt(0) lgkmcnt(0)
	v_cmp_ne_u16_e32 vcc, 0, v0
	s_and_saveexec_b64 s[20:21], vcc
	s_cbranch_execz .LBB6_4426
; %bb.4421:                             ;   in Loop: Header=BB6_4155 Depth=2
	v_cmp_ne_u16_e32 vcc, s53, v0
	v_bfrev_b32_e32 v1, 1
	s_and_saveexec_b64 s[88:89], vcc
	s_cbranch_execz .LBB6_4425
; %bb.4422:                             ;   in Loop: Header=BB6_4155 Depth=2
	v_and_b32_e32 v16, 0xffff, v0
	v_and_b32_e32 v2, 0x7f, v16
	v_cmp_ne_u32_e32 vcc, s51, v2
	v_mov_b32_e32 v1, 0x7f800001
	s_and_saveexec_b64 s[90:91], vcc
	s_cbranch_execz .LBB6_4424
; %bb.4423:                             ;   in Loop: Header=BB6_4155 Depth=2
	v_and_b32_e32 v3, 7, v16
	v_ffbh_u32_e32 v1, v3
	v_min_u32_e32 v5, 32, v1
	v_subrev_u32_e32 v1, 28, v5
	v_lshrrev_b32_e32 v4, 3, v2
	v_cmp_gt_u32_e32 vcc, 8, v2
	v_lshlrev_b64 v[1:2], v1, v[16:17]
	v_sub_u32_e32 v2, 29, v5
	v_and_b32_e32 v1, 7, v1
	v_cndmask_b32_e32 v2, v4, v2, vcc
	v_cndmask_b32_e32 v1, v3, v1, vcc
	v_lshlrev_b32_e32 v0, 24, v0
	v_bfrev_b32_e32 v3, 60
	v_lshlrev_b32_e32 v1, 20, v1
	v_and_b32_e32 v0, 0x80000000, v0
	v_lshl_add_u32 v2, v2, 23, v3
	v_or3_b32 v1, v0, v2, v1
.LBB6_4424:                             ;   in Loop: Header=BB6_4155 Depth=2
	s_or_b64 exec, exec, s[90:91]
.LBB6_4425:                             ;   in Loop: Header=BB6_4155 Depth=2
	s_or_b64 exec, exec, s[88:89]
.LBB6_4426:                             ;   in Loop: Header=BB6_4155 Depth=2
	s_or_b64 exec, exec, s[20:21]
	v_mul_f32_e32 v1, s30, v1
	v_and_b32_e32 v52, 0x7f800000, v1
	v_cmp_ne_u64_e32 vcc, s[56:57], v[52:53]
                                        ; implicit-def: $vgpr42
	s_and_saveexec_b64 s[20:21], vcc
	s_xor_b64 s[88:89], exec, s[20:21]
	s_cbranch_execz .LBB6_4444
; %bb.4427:                             ;   in Loop: Header=BB6_4155 Depth=2
	v_and_b32_e32 v52, 0x7fffffff, v1
	v_cmp_gt_u64_e32 vcc, s[58:59], v[52:53]
	v_and_b32_sdwa v0, v1, s53 dst_sel:DWORD dst_unused:UNUSED_PAD src0_sel:BYTE_3 src1_sel:DWORD
                                        ; implicit-def: $vgpr42
	s_and_saveexec_b64 s[20:21], vcc
	s_xor_b64 s[90:91], exec, s[20:21]
	s_cbranch_execz .LBB6_4441
; %bb.4428:                             ;   in Loop: Header=BB6_4155 Depth=2
	v_cmp_ne_u32_e32 vcc, 0, v1
	v_mov_b32_e32 v42, 0
	s_and_saveexec_b64 s[92:93], vcc
	s_cbranch_execz .LBB6_4440
; %bb.4429:                             ;   in Loop: Header=BB6_4155 Depth=2
	v_and_b32_e32 v3, 0x7fffff, v1
	v_bfe_u32 v1, v1, 23, 8
	v_cmp_gt_u32_e64 s[20:21], s54, v1
	v_sub_u32_e32 v2, 0x79, v1
	v_cmp_eq_u32_e32 vcc, 0, v1
	v_cndmask_b32_e64 v2, 0, v2, s[20:21]
	v_mov_b32_e32 v5, 0x78
	v_or_b32_e32 v4, 0x800000, v3
	v_cndmask_b32_e32 v2, v2, v5, vcc
	v_cndmask_b32_e32 v52, v4, v3, vcc
	v_add_u32_e32 v3, 20, v2
	v_lshlrev_b64 v[3:4], v3, -1
	v_add_u32_e32 v5, 19, v2
	v_lshlrev_b64 v[7:8], v5, 1
	v_lshrrev_b64 v[16:17], v2, v[52:53]
	v_bfi_b32 v4, v4, 0, 0
	v_bfi_b32 v3, v3, 0, v52
	v_cmp_eq_u64_e64 s[20:21], v[3:4], v[7:8]
	v_mov_b32_e32 v18, v17
	v_mov_b32_e32 v17, v16
	s_and_saveexec_b64 s[94:95], s[20:21]
; %bb.4430:                             ;   in Loop: Header=BB6_4155 Depth=2
	v_bfe_u32 v3, v16, 20, 1
	v_add_co_u32_e64 v3, s[20:21], v16, v3
	v_add_co_u32_e64 v17, s[20:21], -1, v3
; %bb.4431:                             ;   in Loop: Header=BB6_4155 Depth=2
	s_or_b64 exec, exec, s[94:95]
	v_add_u32_e32 v1, 0xffffff81, v1
	v_mov_b32_e32 v3, 0xffffff82
	v_cndmask_b32_e32 v1, v1, v3, vcc
	v_lshrrev_b32_e32 v3, 23, v16
	v_add3_u32 v3, v2, v1, v3
	v_add_u32_e32 v2, 6, v3
	v_and_b32_e32 v1, 0xfffff, v17
	v_add_u32_e32 v52, v1, v16
	v_cmp_ne_u32_e32 vcc, 0, v2
                                        ; implicit-def: $vgpr16_vgpr17
                                        ; implicit-def: $vgpr1
	s_and_saveexec_b64 s[20:21], vcc
	s_xor_b64 s[20:21], exec, s[20:21]
; %bb.4432:                             ;   in Loop: Header=BB6_4155 Depth=2
	v_cmp_lt_u64_e32 vcc, s[60:61], v[52:53]
	v_add_u32_e32 v1, 7, v3
	v_cndmask_b32_e32 v1, v2, v1, vcc
	v_cndmask_b32_e64 v2, 0, 1, vcc
	v_lshrrev_b64 v[16:17], v2, v[52:53]
; %bb.4433:                             ;   in Loop: Header=BB6_4155 Depth=2
	s_andn2_saveexec_b64 s[20:21], s[20:21]
; %bb.4434:                             ;   in Loop: Header=BB6_4155 Depth=2
	v_mov_b32_e32 v16, v52
	v_bfe_u32 v1, v52, 23, 1
	v_mov_b32_e32 v17, v53
; %bb.4435:                             ;   in Loop: Header=BB6_4155 Depth=2
	s_or_b64 exec, exec, s[20:21]
	v_lshrrev_b64 v[2:3], 20, v[16:17]
	v_cmp_gt_i32_e32 vcc, 16, v1
	v_cndmask_b32_e32 v17, 0, v3, vcc
	v_cndmask_b32_e32 v16, 7, v2, vcc
	v_cmp_ne_u64_e32 vcc, 0, v[16:17]
	v_cmp_ne_u32_e64 s[20:21], 0, v1
	s_or_b64 s[20:21], s[20:21], vcc
                                        ; implicit-def: $vgpr42
	s_and_saveexec_b64 s[94:95], s[20:21]
	s_xor_b64 s[20:21], exec, s[94:95]
; %bb.4436:                             ;   in Loop: Header=BB6_4155 Depth=2
	v_min_i32_e32 v1, 15, v1
	v_lshl_or_b32 v0, v1, 3, v0
	v_and_or_b32 v42, v16, 7, v0
                                        ; implicit-def: $vgpr0
; %bb.4437:                             ;   in Loop: Header=BB6_4155 Depth=2
	s_andn2_saveexec_b64 s[20:21], s[20:21]
; %bb.4438:                             ;   in Loop: Header=BB6_4155 Depth=2
	v_mov_b32_e32 v42, v0
; %bb.4439:                             ;   in Loop: Header=BB6_4155 Depth=2
	s_or_b64 exec, exec, s[20:21]
.LBB6_4440:                             ;   in Loop: Header=BB6_4155 Depth=2
	s_or_b64 exec, exec, s[92:93]
                                        ; implicit-def: $vgpr0
.LBB6_4441:                             ;   in Loop: Header=BB6_4155 Depth=2
	s_andn2_saveexec_b64 s[20:21], s[90:91]
; %bb.4442:                             ;   in Loop: Header=BB6_4155 Depth=2
	v_or_b32_e32 v42, 0x7e, v0
; %bb.4443:                             ;   in Loop: Header=BB6_4155 Depth=2
	s_or_b64 exec, exec, s[20:21]
                                        ; implicit-def: $vgpr1
.LBB6_4444:                             ;   in Loop: Header=BB6_4155 Depth=2
	s_andn2_saveexec_b64 s[20:21], s[88:89]
; %bb.4445:                             ;   in Loop: Header=BB6_4155 Depth=2
	v_or_b32_sdwa v42, v1, s51 dst_sel:DWORD dst_unused:UNUSED_PAD src0_sel:BYTE_3 src1_sel:DWORD
; %bb.4446:                             ;   in Loop: Header=BB6_4155 Depth=2
	s_or_b64 exec, exec, s[20:21]
	flat_load_ubyte v0, v[10:11] offset:704 glc slc
	v_mov_b32_e32 v1, 0
	s_waitcnt vmcnt(0) lgkmcnt(0)
	v_cmp_ne_u16_e32 vcc, 0, v0
	s_and_saveexec_b64 s[20:21], vcc
	s_cbranch_execz .LBB6_4452
; %bb.4447:                             ;   in Loop: Header=BB6_4155 Depth=2
	v_cmp_ne_u16_e32 vcc, s53, v0
	v_bfrev_b32_e32 v1, 1
	s_and_saveexec_b64 s[88:89], vcc
	s_cbranch_execz .LBB6_4451
; %bb.4448:                             ;   in Loop: Header=BB6_4155 Depth=2
	v_and_b32_e32 v16, 0xffff, v0
	v_and_b32_e32 v2, 0x7f, v16
	v_cmp_ne_u32_e32 vcc, s51, v2
	v_mov_b32_e32 v1, 0x7f800001
	s_and_saveexec_b64 s[90:91], vcc
	s_cbranch_execz .LBB6_4450
; %bb.4449:                             ;   in Loop: Header=BB6_4155 Depth=2
	v_and_b32_e32 v3, 7, v16
	v_ffbh_u32_e32 v1, v3
	v_min_u32_e32 v5, 32, v1
	v_subrev_u32_e32 v1, 28, v5
	v_lshrrev_b32_e32 v4, 3, v2
	v_cmp_gt_u32_e32 vcc, 8, v2
	v_lshlrev_b64 v[1:2], v1, v[16:17]
	v_sub_u32_e32 v2, 29, v5
	v_and_b32_e32 v1, 7, v1
	v_cndmask_b32_e32 v2, v4, v2, vcc
	v_cndmask_b32_e32 v1, v3, v1, vcc
	v_lshlrev_b32_e32 v0, 24, v0
	v_bfrev_b32_e32 v3, 60
	v_lshlrev_b32_e32 v1, 20, v1
	v_and_b32_e32 v0, 0x80000000, v0
	v_lshl_add_u32 v2, v2, 23, v3
	v_or3_b32 v1, v0, v2, v1
.LBB6_4450:                             ;   in Loop: Header=BB6_4155 Depth=2
	s_or_b64 exec, exec, s[90:91]
.LBB6_4451:                             ;   in Loop: Header=BB6_4155 Depth=2
	s_or_b64 exec, exec, s[88:89]
.LBB6_4452:                             ;   in Loop: Header=BB6_4155 Depth=2
	s_or_b64 exec, exec, s[20:21]
	v_mul_f32_e32 v1, s30, v1
	v_and_b32_e32 v52, 0x7f800000, v1
	v_cmp_ne_u64_e32 vcc, s[56:57], v[52:53]
                                        ; implicit-def: $vgpr41
	s_and_saveexec_b64 s[20:21], vcc
	s_xor_b64 s[88:89], exec, s[20:21]
	s_cbranch_execz .LBB6_4470
; %bb.4453:                             ;   in Loop: Header=BB6_4155 Depth=2
	v_and_b32_e32 v52, 0x7fffffff, v1
	v_cmp_gt_u64_e32 vcc, s[58:59], v[52:53]
	v_and_b32_sdwa v0, v1, s53 dst_sel:DWORD dst_unused:UNUSED_PAD src0_sel:BYTE_3 src1_sel:DWORD
                                        ; implicit-def: $vgpr41
	s_and_saveexec_b64 s[20:21], vcc
	s_xor_b64 s[90:91], exec, s[20:21]
	s_cbranch_execz .LBB6_4467
; %bb.4454:                             ;   in Loop: Header=BB6_4155 Depth=2
	v_cmp_ne_u32_e32 vcc, 0, v1
	v_mov_b32_e32 v41, 0
	s_and_saveexec_b64 s[92:93], vcc
	s_cbranch_execz .LBB6_4466
; %bb.4455:                             ;   in Loop: Header=BB6_4155 Depth=2
	v_and_b32_e32 v3, 0x7fffff, v1
	v_bfe_u32 v1, v1, 23, 8
	v_cmp_gt_u32_e64 s[20:21], s54, v1
	v_sub_u32_e32 v2, 0x79, v1
	v_cmp_eq_u32_e32 vcc, 0, v1
	v_cndmask_b32_e64 v2, 0, v2, s[20:21]
	v_mov_b32_e32 v5, 0x78
	v_or_b32_e32 v4, 0x800000, v3
	v_cndmask_b32_e32 v2, v2, v5, vcc
	v_cndmask_b32_e32 v52, v4, v3, vcc
	v_add_u32_e32 v3, 20, v2
	v_lshlrev_b64 v[3:4], v3, -1
	v_add_u32_e32 v5, 19, v2
	v_lshlrev_b64 v[7:8], v5, 1
	v_lshrrev_b64 v[16:17], v2, v[52:53]
	v_bfi_b32 v4, v4, 0, 0
	v_bfi_b32 v3, v3, 0, v52
	v_cmp_eq_u64_e64 s[20:21], v[3:4], v[7:8]
	v_mov_b32_e32 v18, v17
	v_mov_b32_e32 v17, v16
	s_and_saveexec_b64 s[94:95], s[20:21]
; %bb.4456:                             ;   in Loop: Header=BB6_4155 Depth=2
	v_bfe_u32 v3, v16, 20, 1
	v_add_co_u32_e64 v3, s[20:21], v16, v3
	v_add_co_u32_e64 v17, s[20:21], -1, v3
; %bb.4457:                             ;   in Loop: Header=BB6_4155 Depth=2
	s_or_b64 exec, exec, s[94:95]
	v_add_u32_e32 v1, 0xffffff81, v1
	v_mov_b32_e32 v3, 0xffffff82
	v_cndmask_b32_e32 v1, v1, v3, vcc
	v_lshrrev_b32_e32 v3, 23, v16
	v_add3_u32 v3, v2, v1, v3
	v_add_u32_e32 v2, 6, v3
	v_and_b32_e32 v1, 0xfffff, v17
	v_add_u32_e32 v52, v1, v16
	v_cmp_ne_u32_e32 vcc, 0, v2
                                        ; implicit-def: $vgpr16_vgpr17
                                        ; implicit-def: $vgpr1
	s_and_saveexec_b64 s[20:21], vcc
	s_xor_b64 s[20:21], exec, s[20:21]
; %bb.4458:                             ;   in Loop: Header=BB6_4155 Depth=2
	v_cmp_lt_u64_e32 vcc, s[60:61], v[52:53]
	v_add_u32_e32 v1, 7, v3
	v_cndmask_b32_e32 v1, v2, v1, vcc
	v_cndmask_b32_e64 v2, 0, 1, vcc
	v_lshrrev_b64 v[16:17], v2, v[52:53]
; %bb.4459:                             ;   in Loop: Header=BB6_4155 Depth=2
	s_andn2_saveexec_b64 s[20:21], s[20:21]
; %bb.4460:                             ;   in Loop: Header=BB6_4155 Depth=2
	v_mov_b32_e32 v16, v52
	v_bfe_u32 v1, v52, 23, 1
	v_mov_b32_e32 v17, v53
; %bb.4461:                             ;   in Loop: Header=BB6_4155 Depth=2
	s_or_b64 exec, exec, s[20:21]
	v_lshrrev_b64 v[2:3], 20, v[16:17]
	v_cmp_gt_i32_e32 vcc, 16, v1
	v_cndmask_b32_e32 v17, 0, v3, vcc
	v_cndmask_b32_e32 v16, 7, v2, vcc
	v_cmp_ne_u64_e32 vcc, 0, v[16:17]
	v_cmp_ne_u32_e64 s[20:21], 0, v1
	s_or_b64 s[20:21], s[20:21], vcc
                                        ; implicit-def: $vgpr41
	s_and_saveexec_b64 s[94:95], s[20:21]
	s_xor_b64 s[20:21], exec, s[94:95]
; %bb.4462:                             ;   in Loop: Header=BB6_4155 Depth=2
	v_min_i32_e32 v1, 15, v1
	v_lshl_or_b32 v0, v1, 3, v0
	v_and_or_b32 v41, v16, 7, v0
                                        ; implicit-def: $vgpr0
; %bb.4463:                             ;   in Loop: Header=BB6_4155 Depth=2
	s_andn2_saveexec_b64 s[20:21], s[20:21]
; %bb.4464:                             ;   in Loop: Header=BB6_4155 Depth=2
	v_mov_b32_e32 v41, v0
; %bb.4465:                             ;   in Loop: Header=BB6_4155 Depth=2
	s_or_b64 exec, exec, s[20:21]
.LBB6_4466:                             ;   in Loop: Header=BB6_4155 Depth=2
	s_or_b64 exec, exec, s[92:93]
                                        ; implicit-def: $vgpr0
.LBB6_4467:                             ;   in Loop: Header=BB6_4155 Depth=2
	s_andn2_saveexec_b64 s[20:21], s[90:91]
; %bb.4468:                             ;   in Loop: Header=BB6_4155 Depth=2
	v_or_b32_e32 v41, 0x7e, v0
; %bb.4469:                             ;   in Loop: Header=BB6_4155 Depth=2
	s_or_b64 exec, exec, s[20:21]
                                        ; implicit-def: $vgpr1
.LBB6_4470:                             ;   in Loop: Header=BB6_4155 Depth=2
	s_andn2_saveexec_b64 s[20:21], s[88:89]
; %bb.4471:                             ;   in Loop: Header=BB6_4155 Depth=2
	v_or_b32_sdwa v41, v1, s51 dst_sel:DWORD dst_unused:UNUSED_PAD src0_sel:BYTE_3 src1_sel:DWORD
; %bb.4472:                             ;   in Loop: Header=BB6_4155 Depth=2
	s_or_b64 exec, exec, s[20:21]
	flat_load_ubyte v0, v[10:11] offset:768 glc slc
	v_mov_b32_e32 v1, 0
	s_waitcnt vmcnt(0) lgkmcnt(0)
	v_cmp_ne_u16_e32 vcc, 0, v0
	s_and_saveexec_b64 s[20:21], vcc
	s_cbranch_execz .LBB6_4478
; %bb.4473:                             ;   in Loop: Header=BB6_4155 Depth=2
	v_cmp_ne_u16_e32 vcc, s53, v0
	v_bfrev_b32_e32 v1, 1
	s_and_saveexec_b64 s[88:89], vcc
	s_cbranch_execz .LBB6_4477
; %bb.4474:                             ;   in Loop: Header=BB6_4155 Depth=2
	v_and_b32_e32 v16, 0xffff, v0
	v_and_b32_e32 v2, 0x7f, v16
	v_cmp_ne_u32_e32 vcc, s51, v2
	v_mov_b32_e32 v1, 0x7f800001
	s_and_saveexec_b64 s[90:91], vcc
	s_cbranch_execz .LBB6_4476
; %bb.4475:                             ;   in Loop: Header=BB6_4155 Depth=2
	v_and_b32_e32 v3, 7, v16
	v_ffbh_u32_e32 v1, v3
	v_min_u32_e32 v5, 32, v1
	v_subrev_u32_e32 v1, 28, v5
	v_lshrrev_b32_e32 v4, 3, v2
	v_cmp_gt_u32_e32 vcc, 8, v2
	v_lshlrev_b64 v[1:2], v1, v[16:17]
	v_sub_u32_e32 v2, 29, v5
	v_and_b32_e32 v1, 7, v1
	v_cndmask_b32_e32 v2, v4, v2, vcc
	v_cndmask_b32_e32 v1, v3, v1, vcc
	v_lshlrev_b32_e32 v0, 24, v0
	v_bfrev_b32_e32 v3, 60
	v_lshlrev_b32_e32 v1, 20, v1
	v_and_b32_e32 v0, 0x80000000, v0
	v_lshl_add_u32 v2, v2, 23, v3
	v_or3_b32 v1, v0, v2, v1
.LBB6_4476:                             ;   in Loop: Header=BB6_4155 Depth=2
	s_or_b64 exec, exec, s[90:91]
.LBB6_4477:                             ;   in Loop: Header=BB6_4155 Depth=2
	s_or_b64 exec, exec, s[88:89]
.LBB6_4478:                             ;   in Loop: Header=BB6_4155 Depth=2
	s_or_b64 exec, exec, s[20:21]
	v_mul_f32_e32 v1, s30, v1
	v_and_b32_e32 v52, 0x7f800000, v1
	v_cmp_ne_u64_e32 vcc, s[56:57], v[52:53]
                                        ; implicit-def: $vgpr40
	s_and_saveexec_b64 s[20:21], vcc
	s_xor_b64 s[88:89], exec, s[20:21]
	s_cbranch_execz .LBB6_4496
; %bb.4479:                             ;   in Loop: Header=BB6_4155 Depth=2
	v_and_b32_e32 v52, 0x7fffffff, v1
	v_cmp_gt_u64_e32 vcc, s[58:59], v[52:53]
	v_and_b32_sdwa v0, v1, s53 dst_sel:DWORD dst_unused:UNUSED_PAD src0_sel:BYTE_3 src1_sel:DWORD
                                        ; implicit-def: $vgpr40
	s_and_saveexec_b64 s[20:21], vcc
	s_xor_b64 s[90:91], exec, s[20:21]
	s_cbranch_execz .LBB6_4493
; %bb.4480:                             ;   in Loop: Header=BB6_4155 Depth=2
	v_cmp_ne_u32_e32 vcc, 0, v1
	v_mov_b32_e32 v40, 0
	s_and_saveexec_b64 s[92:93], vcc
	s_cbranch_execz .LBB6_4492
; %bb.4481:                             ;   in Loop: Header=BB6_4155 Depth=2
	v_and_b32_e32 v3, 0x7fffff, v1
	v_bfe_u32 v1, v1, 23, 8
	v_cmp_gt_u32_e64 s[20:21], s54, v1
	v_sub_u32_e32 v2, 0x79, v1
	v_cmp_eq_u32_e32 vcc, 0, v1
	v_cndmask_b32_e64 v2, 0, v2, s[20:21]
	v_mov_b32_e32 v5, 0x78
	v_or_b32_e32 v4, 0x800000, v3
	v_cndmask_b32_e32 v2, v2, v5, vcc
	v_cndmask_b32_e32 v52, v4, v3, vcc
	v_add_u32_e32 v3, 20, v2
	v_lshlrev_b64 v[3:4], v3, -1
	v_add_u32_e32 v5, 19, v2
	v_lshlrev_b64 v[7:8], v5, 1
	v_lshrrev_b64 v[16:17], v2, v[52:53]
	v_bfi_b32 v4, v4, 0, 0
	v_bfi_b32 v3, v3, 0, v52
	v_cmp_eq_u64_e64 s[20:21], v[3:4], v[7:8]
	v_mov_b32_e32 v18, v17
	v_mov_b32_e32 v17, v16
	s_and_saveexec_b64 s[94:95], s[20:21]
; %bb.4482:                             ;   in Loop: Header=BB6_4155 Depth=2
	v_bfe_u32 v3, v16, 20, 1
	v_add_co_u32_e64 v3, s[20:21], v16, v3
	v_add_co_u32_e64 v17, s[20:21], -1, v3
; %bb.4483:                             ;   in Loop: Header=BB6_4155 Depth=2
	s_or_b64 exec, exec, s[94:95]
	v_add_u32_e32 v1, 0xffffff81, v1
	v_mov_b32_e32 v3, 0xffffff82
	v_cndmask_b32_e32 v1, v1, v3, vcc
	v_lshrrev_b32_e32 v3, 23, v16
	v_add3_u32 v3, v2, v1, v3
	v_add_u32_e32 v2, 6, v3
	v_and_b32_e32 v1, 0xfffff, v17
	v_add_u32_e32 v52, v1, v16
	v_cmp_ne_u32_e32 vcc, 0, v2
                                        ; implicit-def: $vgpr16_vgpr17
                                        ; implicit-def: $vgpr1
	s_and_saveexec_b64 s[20:21], vcc
	s_xor_b64 s[20:21], exec, s[20:21]
; %bb.4484:                             ;   in Loop: Header=BB6_4155 Depth=2
	v_cmp_lt_u64_e32 vcc, s[60:61], v[52:53]
	v_add_u32_e32 v1, 7, v3
	v_cndmask_b32_e32 v1, v2, v1, vcc
	v_cndmask_b32_e64 v2, 0, 1, vcc
	v_lshrrev_b64 v[16:17], v2, v[52:53]
; %bb.4485:                             ;   in Loop: Header=BB6_4155 Depth=2
	s_andn2_saveexec_b64 s[20:21], s[20:21]
; %bb.4486:                             ;   in Loop: Header=BB6_4155 Depth=2
	v_mov_b32_e32 v16, v52
	v_bfe_u32 v1, v52, 23, 1
	v_mov_b32_e32 v17, v53
; %bb.4487:                             ;   in Loop: Header=BB6_4155 Depth=2
	s_or_b64 exec, exec, s[20:21]
	v_lshrrev_b64 v[2:3], 20, v[16:17]
	v_cmp_gt_i32_e32 vcc, 16, v1
	v_cndmask_b32_e32 v17, 0, v3, vcc
	v_cndmask_b32_e32 v16, 7, v2, vcc
	v_cmp_ne_u64_e32 vcc, 0, v[16:17]
	v_cmp_ne_u32_e64 s[20:21], 0, v1
	s_or_b64 s[20:21], s[20:21], vcc
                                        ; implicit-def: $vgpr40
	s_and_saveexec_b64 s[94:95], s[20:21]
	s_xor_b64 s[20:21], exec, s[94:95]
; %bb.4488:                             ;   in Loop: Header=BB6_4155 Depth=2
	v_min_i32_e32 v1, 15, v1
	v_lshl_or_b32 v0, v1, 3, v0
	v_and_or_b32 v40, v16, 7, v0
                                        ; implicit-def: $vgpr0
; %bb.4489:                             ;   in Loop: Header=BB6_4155 Depth=2
	s_andn2_saveexec_b64 s[20:21], s[20:21]
; %bb.4490:                             ;   in Loop: Header=BB6_4155 Depth=2
	v_mov_b32_e32 v40, v0
; %bb.4491:                             ;   in Loop: Header=BB6_4155 Depth=2
	s_or_b64 exec, exec, s[20:21]
.LBB6_4492:                             ;   in Loop: Header=BB6_4155 Depth=2
	s_or_b64 exec, exec, s[92:93]
                                        ; implicit-def: $vgpr0
.LBB6_4493:                             ;   in Loop: Header=BB6_4155 Depth=2
	s_andn2_saveexec_b64 s[20:21], s[90:91]
; %bb.4494:                             ;   in Loop: Header=BB6_4155 Depth=2
	v_or_b32_e32 v40, 0x7e, v0
; %bb.4495:                             ;   in Loop: Header=BB6_4155 Depth=2
	s_or_b64 exec, exec, s[20:21]
                                        ; implicit-def: $vgpr1
.LBB6_4496:                             ;   in Loop: Header=BB6_4155 Depth=2
	s_andn2_saveexec_b64 s[20:21], s[88:89]
; %bb.4497:                             ;   in Loop: Header=BB6_4155 Depth=2
	v_or_b32_sdwa v40, v1, s51 dst_sel:DWORD dst_unused:UNUSED_PAD src0_sel:BYTE_3 src1_sel:DWORD
; %bb.4498:                             ;   in Loop: Header=BB6_4155 Depth=2
	s_or_b64 exec, exec, s[20:21]
	flat_load_ubyte v0, v[10:11] offset:832 glc slc
	v_mov_b32_e32 v1, 0
	s_waitcnt vmcnt(0) lgkmcnt(0)
	v_cmp_ne_u16_e32 vcc, 0, v0
	s_and_saveexec_b64 s[20:21], vcc
	s_cbranch_execz .LBB6_4504
; %bb.4499:                             ;   in Loop: Header=BB6_4155 Depth=2
	v_cmp_ne_u16_e32 vcc, s53, v0
	v_bfrev_b32_e32 v1, 1
	s_and_saveexec_b64 s[88:89], vcc
	s_cbranch_execz .LBB6_4503
; %bb.4500:                             ;   in Loop: Header=BB6_4155 Depth=2
	v_and_b32_e32 v16, 0xffff, v0
	v_and_b32_e32 v2, 0x7f, v16
	v_cmp_ne_u32_e32 vcc, s51, v2
	v_mov_b32_e32 v1, 0x7f800001
	s_and_saveexec_b64 s[90:91], vcc
	s_cbranch_execz .LBB6_4502
; %bb.4501:                             ;   in Loop: Header=BB6_4155 Depth=2
	v_and_b32_e32 v3, 7, v16
	v_ffbh_u32_e32 v1, v3
	v_min_u32_e32 v5, 32, v1
	v_subrev_u32_e32 v1, 28, v5
	v_lshrrev_b32_e32 v4, 3, v2
	v_cmp_gt_u32_e32 vcc, 8, v2
	v_lshlrev_b64 v[1:2], v1, v[16:17]
	v_sub_u32_e32 v2, 29, v5
	v_and_b32_e32 v1, 7, v1
	v_cndmask_b32_e32 v2, v4, v2, vcc
	v_cndmask_b32_e32 v1, v3, v1, vcc
	v_lshlrev_b32_e32 v0, 24, v0
	v_bfrev_b32_e32 v3, 60
	v_lshlrev_b32_e32 v1, 20, v1
	v_and_b32_e32 v0, 0x80000000, v0
	v_lshl_add_u32 v2, v2, 23, v3
	v_or3_b32 v1, v0, v2, v1
.LBB6_4502:                             ;   in Loop: Header=BB6_4155 Depth=2
	s_or_b64 exec, exec, s[90:91]
.LBB6_4503:                             ;   in Loop: Header=BB6_4155 Depth=2
	s_or_b64 exec, exec, s[88:89]
.LBB6_4504:                             ;   in Loop: Header=BB6_4155 Depth=2
	s_or_b64 exec, exec, s[20:21]
	v_mul_f32_e32 v1, s30, v1
	v_and_b32_e32 v52, 0x7f800000, v1
	v_cmp_ne_u64_e32 vcc, s[56:57], v[52:53]
                                        ; implicit-def: $vgpr38
	s_and_saveexec_b64 s[20:21], vcc
	s_xor_b64 s[88:89], exec, s[20:21]
	s_cbranch_execz .LBB6_4522
; %bb.4505:                             ;   in Loop: Header=BB6_4155 Depth=2
	v_and_b32_e32 v52, 0x7fffffff, v1
	v_cmp_gt_u64_e32 vcc, s[58:59], v[52:53]
	v_and_b32_sdwa v0, v1, s53 dst_sel:DWORD dst_unused:UNUSED_PAD src0_sel:BYTE_3 src1_sel:DWORD
                                        ; implicit-def: $vgpr38
	s_and_saveexec_b64 s[20:21], vcc
	s_xor_b64 s[90:91], exec, s[20:21]
	s_cbranch_execz .LBB6_4519
; %bb.4506:                             ;   in Loop: Header=BB6_4155 Depth=2
	v_cmp_ne_u32_e32 vcc, 0, v1
	v_mov_b32_e32 v38, 0
	s_and_saveexec_b64 s[92:93], vcc
	s_cbranch_execz .LBB6_4518
; %bb.4507:                             ;   in Loop: Header=BB6_4155 Depth=2
	v_and_b32_e32 v3, 0x7fffff, v1
	v_bfe_u32 v1, v1, 23, 8
	v_cmp_gt_u32_e64 s[20:21], s54, v1
	v_sub_u32_e32 v2, 0x79, v1
	v_cmp_eq_u32_e32 vcc, 0, v1
	v_cndmask_b32_e64 v2, 0, v2, s[20:21]
	v_mov_b32_e32 v5, 0x78
	v_or_b32_e32 v4, 0x800000, v3
	v_cndmask_b32_e32 v2, v2, v5, vcc
	v_cndmask_b32_e32 v52, v4, v3, vcc
	v_add_u32_e32 v3, 20, v2
	v_lshlrev_b64 v[3:4], v3, -1
	v_add_u32_e32 v5, 19, v2
	v_lshlrev_b64 v[7:8], v5, 1
	v_lshrrev_b64 v[16:17], v2, v[52:53]
	v_bfi_b32 v4, v4, 0, 0
	v_bfi_b32 v3, v3, 0, v52
	v_cmp_eq_u64_e64 s[20:21], v[3:4], v[7:8]
	v_mov_b32_e32 v18, v17
	v_mov_b32_e32 v17, v16
	s_and_saveexec_b64 s[94:95], s[20:21]
; %bb.4508:                             ;   in Loop: Header=BB6_4155 Depth=2
	v_bfe_u32 v3, v16, 20, 1
	v_add_co_u32_e64 v3, s[20:21], v16, v3
	v_add_co_u32_e64 v17, s[20:21], -1, v3
; %bb.4509:                             ;   in Loop: Header=BB6_4155 Depth=2
	s_or_b64 exec, exec, s[94:95]
	v_add_u32_e32 v1, 0xffffff81, v1
	v_mov_b32_e32 v3, 0xffffff82
	v_cndmask_b32_e32 v1, v1, v3, vcc
	v_lshrrev_b32_e32 v3, 23, v16
	v_add3_u32 v3, v2, v1, v3
	v_add_u32_e32 v2, 6, v3
	v_and_b32_e32 v1, 0xfffff, v17
	v_add_u32_e32 v52, v1, v16
	v_cmp_ne_u32_e32 vcc, 0, v2
                                        ; implicit-def: $vgpr16_vgpr17
                                        ; implicit-def: $vgpr1
	s_and_saveexec_b64 s[20:21], vcc
	s_xor_b64 s[20:21], exec, s[20:21]
; %bb.4510:                             ;   in Loop: Header=BB6_4155 Depth=2
	v_cmp_lt_u64_e32 vcc, s[60:61], v[52:53]
	v_add_u32_e32 v1, 7, v3
	v_cndmask_b32_e32 v1, v2, v1, vcc
	v_cndmask_b32_e64 v2, 0, 1, vcc
	v_lshrrev_b64 v[16:17], v2, v[52:53]
; %bb.4511:                             ;   in Loop: Header=BB6_4155 Depth=2
	s_andn2_saveexec_b64 s[20:21], s[20:21]
; %bb.4512:                             ;   in Loop: Header=BB6_4155 Depth=2
	v_mov_b32_e32 v16, v52
	v_bfe_u32 v1, v52, 23, 1
	v_mov_b32_e32 v17, v53
; %bb.4513:                             ;   in Loop: Header=BB6_4155 Depth=2
	s_or_b64 exec, exec, s[20:21]
	v_lshrrev_b64 v[2:3], 20, v[16:17]
	v_cmp_gt_i32_e32 vcc, 16, v1
	v_cndmask_b32_e32 v17, 0, v3, vcc
	v_cndmask_b32_e32 v16, 7, v2, vcc
	v_cmp_ne_u64_e32 vcc, 0, v[16:17]
	v_cmp_ne_u32_e64 s[20:21], 0, v1
	s_or_b64 s[20:21], s[20:21], vcc
                                        ; implicit-def: $vgpr38
	s_and_saveexec_b64 s[94:95], s[20:21]
	s_xor_b64 s[20:21], exec, s[94:95]
; %bb.4514:                             ;   in Loop: Header=BB6_4155 Depth=2
	v_min_i32_e32 v1, 15, v1
	v_lshl_or_b32 v0, v1, 3, v0
	v_and_or_b32 v38, v16, 7, v0
                                        ; implicit-def: $vgpr0
; %bb.4515:                             ;   in Loop: Header=BB6_4155 Depth=2
	s_andn2_saveexec_b64 s[20:21], s[20:21]
; %bb.4516:                             ;   in Loop: Header=BB6_4155 Depth=2
	v_mov_b32_e32 v38, v0
; %bb.4517:                             ;   in Loop: Header=BB6_4155 Depth=2
	s_or_b64 exec, exec, s[20:21]
.LBB6_4518:                             ;   in Loop: Header=BB6_4155 Depth=2
	s_or_b64 exec, exec, s[92:93]
                                        ; implicit-def: $vgpr0
.LBB6_4519:                             ;   in Loop: Header=BB6_4155 Depth=2
	s_andn2_saveexec_b64 s[20:21], s[90:91]
; %bb.4520:                             ;   in Loop: Header=BB6_4155 Depth=2
	v_or_b32_e32 v38, 0x7e, v0
; %bb.4521:                             ;   in Loop: Header=BB6_4155 Depth=2
	s_or_b64 exec, exec, s[20:21]
                                        ; implicit-def: $vgpr1
.LBB6_4522:                             ;   in Loop: Header=BB6_4155 Depth=2
	s_andn2_saveexec_b64 s[20:21], s[88:89]
; %bb.4523:                             ;   in Loop: Header=BB6_4155 Depth=2
	v_or_b32_sdwa v38, v1, s51 dst_sel:DWORD dst_unused:UNUSED_PAD src0_sel:BYTE_3 src1_sel:DWORD
; %bb.4524:                             ;   in Loop: Header=BB6_4155 Depth=2
	s_or_b64 exec, exec, s[20:21]
	flat_load_ubyte v0, v[10:11] offset:896 glc slc
	v_mov_b32_e32 v1, 0
	s_waitcnt vmcnt(0) lgkmcnt(0)
	v_cmp_ne_u16_e32 vcc, 0, v0
	s_and_saveexec_b64 s[20:21], vcc
	s_cbranch_execz .LBB6_4530
; %bb.4525:                             ;   in Loop: Header=BB6_4155 Depth=2
	v_cmp_ne_u16_e32 vcc, s53, v0
	v_bfrev_b32_e32 v1, 1
	s_and_saveexec_b64 s[88:89], vcc
	s_cbranch_execz .LBB6_4529
; %bb.4526:                             ;   in Loop: Header=BB6_4155 Depth=2
	v_and_b32_e32 v16, 0xffff, v0
	v_and_b32_e32 v2, 0x7f, v16
	v_cmp_ne_u32_e32 vcc, s51, v2
	v_mov_b32_e32 v1, 0x7f800001
	s_and_saveexec_b64 s[90:91], vcc
	s_cbranch_execz .LBB6_4528
; %bb.4527:                             ;   in Loop: Header=BB6_4155 Depth=2
	v_and_b32_e32 v3, 7, v16
	v_ffbh_u32_e32 v1, v3
	v_min_u32_e32 v5, 32, v1
	v_subrev_u32_e32 v1, 28, v5
	v_lshrrev_b32_e32 v4, 3, v2
	v_cmp_gt_u32_e32 vcc, 8, v2
	v_lshlrev_b64 v[1:2], v1, v[16:17]
	v_sub_u32_e32 v2, 29, v5
	v_and_b32_e32 v1, 7, v1
	v_cndmask_b32_e32 v2, v4, v2, vcc
	v_cndmask_b32_e32 v1, v3, v1, vcc
	v_lshlrev_b32_e32 v0, 24, v0
	v_bfrev_b32_e32 v3, 60
	v_lshlrev_b32_e32 v1, 20, v1
	v_and_b32_e32 v0, 0x80000000, v0
	v_lshl_add_u32 v2, v2, 23, v3
	v_or3_b32 v1, v0, v2, v1
.LBB6_4528:                             ;   in Loop: Header=BB6_4155 Depth=2
	s_or_b64 exec, exec, s[90:91]
.LBB6_4529:                             ;   in Loop: Header=BB6_4155 Depth=2
	s_or_b64 exec, exec, s[88:89]
.LBB6_4530:                             ;   in Loop: Header=BB6_4155 Depth=2
	s_or_b64 exec, exec, s[20:21]
	v_mul_f32_e32 v1, s30, v1
	v_and_b32_e32 v52, 0x7f800000, v1
	v_cmp_ne_u64_e32 vcc, s[56:57], v[52:53]
                                        ; implicit-def: $vgpr50
	s_and_saveexec_b64 s[20:21], vcc
	s_xor_b64 s[88:89], exec, s[20:21]
	s_cbranch_execz .LBB6_4548
; %bb.4531:                             ;   in Loop: Header=BB6_4155 Depth=2
	v_and_b32_e32 v52, 0x7fffffff, v1
	v_cmp_gt_u64_e32 vcc, s[58:59], v[52:53]
	v_and_b32_sdwa v0, v1, s53 dst_sel:DWORD dst_unused:UNUSED_PAD src0_sel:BYTE_3 src1_sel:DWORD
                                        ; implicit-def: $vgpr50
	s_and_saveexec_b64 s[20:21], vcc
	s_xor_b64 s[90:91], exec, s[20:21]
	s_cbranch_execz .LBB6_4545
; %bb.4532:                             ;   in Loop: Header=BB6_4155 Depth=2
	v_cmp_ne_u32_e32 vcc, 0, v1
	v_mov_b32_e32 v50, 0
	s_and_saveexec_b64 s[92:93], vcc
	s_cbranch_execz .LBB6_4544
; %bb.4533:                             ;   in Loop: Header=BB6_4155 Depth=2
	v_and_b32_e32 v3, 0x7fffff, v1
	v_bfe_u32 v1, v1, 23, 8
	v_cmp_gt_u32_e64 s[20:21], s54, v1
	v_sub_u32_e32 v2, 0x79, v1
	v_cmp_eq_u32_e32 vcc, 0, v1
	v_cndmask_b32_e64 v2, 0, v2, s[20:21]
	v_mov_b32_e32 v5, 0x78
	v_or_b32_e32 v4, 0x800000, v3
	v_cndmask_b32_e32 v2, v2, v5, vcc
	v_cndmask_b32_e32 v52, v4, v3, vcc
	v_add_u32_e32 v3, 20, v2
	v_lshlrev_b64 v[3:4], v3, -1
	v_add_u32_e32 v5, 19, v2
	v_lshlrev_b64 v[7:8], v5, 1
	v_lshrrev_b64 v[16:17], v2, v[52:53]
	v_bfi_b32 v4, v4, 0, 0
	v_bfi_b32 v3, v3, 0, v52
	v_cmp_eq_u64_e64 s[20:21], v[3:4], v[7:8]
	v_mov_b32_e32 v18, v17
	v_mov_b32_e32 v17, v16
	s_and_saveexec_b64 s[94:95], s[20:21]
; %bb.4534:                             ;   in Loop: Header=BB6_4155 Depth=2
	v_bfe_u32 v3, v16, 20, 1
	v_add_co_u32_e64 v3, s[20:21], v16, v3
	v_add_co_u32_e64 v17, s[20:21], -1, v3
; %bb.4535:                             ;   in Loop: Header=BB6_4155 Depth=2
	s_or_b64 exec, exec, s[94:95]
	v_add_u32_e32 v1, 0xffffff81, v1
	v_mov_b32_e32 v3, 0xffffff82
	v_cndmask_b32_e32 v1, v1, v3, vcc
	v_lshrrev_b32_e32 v3, 23, v16
	v_add3_u32 v3, v2, v1, v3
	v_add_u32_e32 v2, 6, v3
	v_and_b32_e32 v1, 0xfffff, v17
	v_add_u32_e32 v52, v1, v16
	v_cmp_ne_u32_e32 vcc, 0, v2
                                        ; implicit-def: $vgpr16_vgpr17
                                        ; implicit-def: $vgpr1
	s_and_saveexec_b64 s[20:21], vcc
	s_xor_b64 s[20:21], exec, s[20:21]
; %bb.4536:                             ;   in Loop: Header=BB6_4155 Depth=2
	v_cmp_lt_u64_e32 vcc, s[60:61], v[52:53]
	v_add_u32_e32 v1, 7, v3
	v_cndmask_b32_e32 v1, v2, v1, vcc
	v_cndmask_b32_e64 v2, 0, 1, vcc
	v_lshrrev_b64 v[16:17], v2, v[52:53]
; %bb.4537:                             ;   in Loop: Header=BB6_4155 Depth=2
	s_andn2_saveexec_b64 s[20:21], s[20:21]
; %bb.4538:                             ;   in Loop: Header=BB6_4155 Depth=2
	v_mov_b32_e32 v16, v52
	v_bfe_u32 v1, v52, 23, 1
	v_mov_b32_e32 v17, v53
; %bb.4539:                             ;   in Loop: Header=BB6_4155 Depth=2
	s_or_b64 exec, exec, s[20:21]
	v_lshrrev_b64 v[2:3], 20, v[16:17]
	v_cmp_gt_i32_e32 vcc, 16, v1
	v_cndmask_b32_e32 v17, 0, v3, vcc
	v_cndmask_b32_e32 v16, 7, v2, vcc
	v_cmp_ne_u64_e32 vcc, 0, v[16:17]
	v_cmp_ne_u32_e64 s[20:21], 0, v1
	s_or_b64 s[20:21], s[20:21], vcc
                                        ; implicit-def: $vgpr50
	s_and_saveexec_b64 s[94:95], s[20:21]
	s_xor_b64 s[20:21], exec, s[94:95]
; %bb.4540:                             ;   in Loop: Header=BB6_4155 Depth=2
	v_min_i32_e32 v1, 15, v1
	v_lshl_or_b32 v0, v1, 3, v0
	v_and_or_b32 v50, v16, 7, v0
                                        ; implicit-def: $vgpr0
; %bb.4541:                             ;   in Loop: Header=BB6_4155 Depth=2
	s_andn2_saveexec_b64 s[20:21], s[20:21]
; %bb.4542:                             ;   in Loop: Header=BB6_4155 Depth=2
	v_mov_b32_e32 v50, v0
; %bb.4543:                             ;   in Loop: Header=BB6_4155 Depth=2
	s_or_b64 exec, exec, s[20:21]
.LBB6_4544:                             ;   in Loop: Header=BB6_4155 Depth=2
	s_or_b64 exec, exec, s[92:93]
                                        ; implicit-def: $vgpr0
.LBB6_4545:                             ;   in Loop: Header=BB6_4155 Depth=2
	s_andn2_saveexec_b64 s[20:21], s[90:91]
; %bb.4546:                             ;   in Loop: Header=BB6_4155 Depth=2
	v_or_b32_e32 v50, 0x7e, v0
; %bb.4547:                             ;   in Loop: Header=BB6_4155 Depth=2
	s_or_b64 exec, exec, s[20:21]
                                        ; implicit-def: $vgpr1
.LBB6_4548:                             ;   in Loop: Header=BB6_4155 Depth=2
	s_andn2_saveexec_b64 s[20:21], s[88:89]
; %bb.4549:                             ;   in Loop: Header=BB6_4155 Depth=2
	v_or_b32_sdwa v50, v1, s51 dst_sel:DWORD dst_unused:UNUSED_PAD src0_sel:BYTE_3 src1_sel:DWORD
; %bb.4550:                             ;   in Loop: Header=BB6_4155 Depth=2
	s_or_b64 exec, exec, s[20:21]
	flat_load_ubyte v0, v[10:11] offset:960 glc slc
	v_mov_b32_e32 v1, 0
	s_waitcnt vmcnt(0) lgkmcnt(0)
	v_cmp_ne_u16_e32 vcc, 0, v0
	s_and_saveexec_b64 s[20:21], vcc
	s_cbranch_execz .LBB6_4556
; %bb.4551:                             ;   in Loop: Header=BB6_4155 Depth=2
	v_cmp_ne_u16_e32 vcc, s53, v0
	v_bfrev_b32_e32 v1, 1
	s_and_saveexec_b64 s[88:89], vcc
	s_cbranch_execz .LBB6_4555
; %bb.4552:                             ;   in Loop: Header=BB6_4155 Depth=2
	v_and_b32_e32 v16, 0xffff, v0
	v_and_b32_e32 v2, 0x7f, v16
	v_cmp_ne_u32_e32 vcc, s51, v2
	v_mov_b32_e32 v1, 0x7f800001
	s_and_saveexec_b64 s[90:91], vcc
	s_cbranch_execz .LBB6_4554
; %bb.4553:                             ;   in Loop: Header=BB6_4155 Depth=2
	v_and_b32_e32 v3, 7, v16
	v_ffbh_u32_e32 v1, v3
	v_min_u32_e32 v5, 32, v1
	v_subrev_u32_e32 v1, 28, v5
	v_lshrrev_b32_e32 v4, 3, v2
	v_cmp_gt_u32_e32 vcc, 8, v2
	v_lshlrev_b64 v[1:2], v1, v[16:17]
	v_sub_u32_e32 v2, 29, v5
	v_and_b32_e32 v1, 7, v1
	v_cndmask_b32_e32 v2, v4, v2, vcc
	v_cndmask_b32_e32 v1, v3, v1, vcc
	v_lshlrev_b32_e32 v0, 24, v0
	v_bfrev_b32_e32 v3, 60
	v_lshlrev_b32_e32 v1, 20, v1
	v_and_b32_e32 v0, 0x80000000, v0
	v_lshl_add_u32 v2, v2, 23, v3
	v_or3_b32 v1, v0, v2, v1
.LBB6_4554:                             ;   in Loop: Header=BB6_4155 Depth=2
	s_or_b64 exec, exec, s[90:91]
.LBB6_4555:                             ;   in Loop: Header=BB6_4155 Depth=2
	s_or_b64 exec, exec, s[88:89]
.LBB6_4556:                             ;   in Loop: Header=BB6_4155 Depth=2
	s_or_b64 exec, exec, s[20:21]
	v_mul_f32_e32 v1, s30, v1
	v_and_b32_e32 v52, 0x7f800000, v1
	v_cmp_ne_u64_e32 vcc, s[56:57], v[52:53]
                                        ; implicit-def: $vgpr49
	s_and_saveexec_b64 s[20:21], vcc
	s_xor_b64 s[88:89], exec, s[20:21]
	s_cbranch_execz .LBB6_4574
; %bb.4557:                             ;   in Loop: Header=BB6_4155 Depth=2
	v_and_b32_e32 v52, 0x7fffffff, v1
	v_cmp_gt_u64_e32 vcc, s[58:59], v[52:53]
	v_and_b32_sdwa v0, v1, s53 dst_sel:DWORD dst_unused:UNUSED_PAD src0_sel:BYTE_3 src1_sel:DWORD
                                        ; implicit-def: $vgpr49
	s_and_saveexec_b64 s[20:21], vcc
	s_xor_b64 s[90:91], exec, s[20:21]
	s_cbranch_execz .LBB6_4571
; %bb.4558:                             ;   in Loop: Header=BB6_4155 Depth=2
	v_cmp_ne_u32_e32 vcc, 0, v1
	v_mov_b32_e32 v49, 0
	s_and_saveexec_b64 s[92:93], vcc
	s_cbranch_execz .LBB6_4570
; %bb.4559:                             ;   in Loop: Header=BB6_4155 Depth=2
	v_and_b32_e32 v3, 0x7fffff, v1
	v_bfe_u32 v1, v1, 23, 8
	v_cmp_gt_u32_e64 s[20:21], s54, v1
	v_sub_u32_e32 v2, 0x79, v1
	v_cmp_eq_u32_e32 vcc, 0, v1
	v_cndmask_b32_e64 v2, 0, v2, s[20:21]
	v_mov_b32_e32 v5, 0x78
	v_or_b32_e32 v4, 0x800000, v3
	v_cndmask_b32_e32 v2, v2, v5, vcc
	v_cndmask_b32_e32 v52, v4, v3, vcc
	v_add_u32_e32 v3, 20, v2
	v_lshlrev_b64 v[3:4], v3, -1
	v_add_u32_e32 v5, 19, v2
	v_lshlrev_b64 v[7:8], v5, 1
	v_lshrrev_b64 v[16:17], v2, v[52:53]
	v_bfi_b32 v4, v4, 0, 0
	v_bfi_b32 v3, v3, 0, v52
	v_cmp_eq_u64_e64 s[20:21], v[3:4], v[7:8]
	v_mov_b32_e32 v18, v17
	v_mov_b32_e32 v17, v16
	s_and_saveexec_b64 s[94:95], s[20:21]
; %bb.4560:                             ;   in Loop: Header=BB6_4155 Depth=2
	v_bfe_u32 v3, v16, 20, 1
	v_add_co_u32_e64 v3, s[20:21], v16, v3
	v_add_co_u32_e64 v17, s[20:21], -1, v3
; %bb.4561:                             ;   in Loop: Header=BB6_4155 Depth=2
	s_or_b64 exec, exec, s[94:95]
	v_add_u32_e32 v1, 0xffffff81, v1
	v_mov_b32_e32 v3, 0xffffff82
	v_cndmask_b32_e32 v1, v1, v3, vcc
	v_lshrrev_b32_e32 v3, 23, v16
	v_add3_u32 v3, v2, v1, v3
	v_add_u32_e32 v2, 6, v3
	v_and_b32_e32 v1, 0xfffff, v17
	v_add_u32_e32 v52, v1, v16
	v_cmp_ne_u32_e32 vcc, 0, v2
                                        ; implicit-def: $vgpr16_vgpr17
                                        ; implicit-def: $vgpr1
	s_and_saveexec_b64 s[20:21], vcc
	s_xor_b64 s[20:21], exec, s[20:21]
; %bb.4562:                             ;   in Loop: Header=BB6_4155 Depth=2
	v_cmp_lt_u64_e32 vcc, s[60:61], v[52:53]
	v_add_u32_e32 v1, 7, v3
	v_cndmask_b32_e32 v1, v2, v1, vcc
	v_cndmask_b32_e64 v2, 0, 1, vcc
	v_lshrrev_b64 v[16:17], v2, v[52:53]
; %bb.4563:                             ;   in Loop: Header=BB6_4155 Depth=2
	s_andn2_saveexec_b64 s[20:21], s[20:21]
; %bb.4564:                             ;   in Loop: Header=BB6_4155 Depth=2
	v_mov_b32_e32 v16, v52
	v_bfe_u32 v1, v52, 23, 1
	v_mov_b32_e32 v17, v53
; %bb.4565:                             ;   in Loop: Header=BB6_4155 Depth=2
	s_or_b64 exec, exec, s[20:21]
	v_lshrrev_b64 v[2:3], 20, v[16:17]
	v_cmp_gt_i32_e32 vcc, 16, v1
	v_cndmask_b32_e32 v17, 0, v3, vcc
	v_cndmask_b32_e32 v16, 7, v2, vcc
	v_cmp_ne_u64_e32 vcc, 0, v[16:17]
	v_cmp_ne_u32_e64 s[20:21], 0, v1
	s_or_b64 s[20:21], s[20:21], vcc
                                        ; implicit-def: $vgpr49
	s_and_saveexec_b64 s[94:95], s[20:21]
	s_xor_b64 s[20:21], exec, s[94:95]
; %bb.4566:                             ;   in Loop: Header=BB6_4155 Depth=2
	v_min_i32_e32 v1, 15, v1
	v_lshl_or_b32 v0, v1, 3, v0
	v_and_or_b32 v49, v16, 7, v0
                                        ; implicit-def: $vgpr0
; %bb.4567:                             ;   in Loop: Header=BB6_4155 Depth=2
	s_andn2_saveexec_b64 s[20:21], s[20:21]
; %bb.4568:                             ;   in Loop: Header=BB6_4155 Depth=2
	v_mov_b32_e32 v49, v0
; %bb.4569:                             ;   in Loop: Header=BB6_4155 Depth=2
	s_or_b64 exec, exec, s[20:21]
.LBB6_4570:                             ;   in Loop: Header=BB6_4155 Depth=2
	s_or_b64 exec, exec, s[92:93]
                                        ; implicit-def: $vgpr0
.LBB6_4571:                             ;   in Loop: Header=BB6_4155 Depth=2
	s_andn2_saveexec_b64 s[20:21], s[90:91]
; %bb.4572:                             ;   in Loop: Header=BB6_4155 Depth=2
	v_or_b32_e32 v49, 0x7e, v0
; %bb.4573:                             ;   in Loop: Header=BB6_4155 Depth=2
	s_or_b64 exec, exec, s[20:21]
                                        ; implicit-def: $vgpr1
.LBB6_4574:                             ;   in Loop: Header=BB6_4155 Depth=2
	s_andn2_saveexec_b64 s[20:21], s[88:89]
; %bb.4575:                             ;   in Loop: Header=BB6_4155 Depth=2
	v_or_b32_sdwa v49, v1, s51 dst_sel:DWORD dst_unused:UNUSED_PAD src0_sel:BYTE_3 src1_sel:DWORD
; %bb.4576:                             ;   in Loop: Header=BB6_4155 Depth=2
	s_or_b64 exec, exec, s[20:21]
	flat_load_ubyte v0, v[10:11] offset:1024 glc slc
	v_mov_b32_e32 v1, 0
	s_waitcnt vmcnt(0) lgkmcnt(0)
	v_cmp_ne_u16_e32 vcc, 0, v0
	s_and_saveexec_b64 s[20:21], vcc
	s_cbranch_execz .LBB6_4582
; %bb.4577:                             ;   in Loop: Header=BB6_4155 Depth=2
	v_cmp_ne_u16_e32 vcc, s53, v0
	v_bfrev_b32_e32 v1, 1
	s_and_saveexec_b64 s[88:89], vcc
	s_cbranch_execz .LBB6_4581
; %bb.4578:                             ;   in Loop: Header=BB6_4155 Depth=2
	v_and_b32_e32 v16, 0xffff, v0
	v_and_b32_e32 v2, 0x7f, v16
	v_cmp_ne_u32_e32 vcc, s51, v2
	v_mov_b32_e32 v1, 0x7f800001
	s_and_saveexec_b64 s[90:91], vcc
	s_cbranch_execz .LBB6_4580
; %bb.4579:                             ;   in Loop: Header=BB6_4155 Depth=2
	v_and_b32_e32 v3, 7, v16
	v_ffbh_u32_e32 v1, v3
	v_min_u32_e32 v5, 32, v1
	v_subrev_u32_e32 v1, 28, v5
	v_lshrrev_b32_e32 v4, 3, v2
	v_cmp_gt_u32_e32 vcc, 8, v2
	v_lshlrev_b64 v[1:2], v1, v[16:17]
	v_sub_u32_e32 v2, 29, v5
	v_and_b32_e32 v1, 7, v1
	v_cndmask_b32_e32 v2, v4, v2, vcc
	v_cndmask_b32_e32 v1, v3, v1, vcc
	v_lshlrev_b32_e32 v0, 24, v0
	v_bfrev_b32_e32 v3, 60
	v_lshlrev_b32_e32 v1, 20, v1
	v_and_b32_e32 v0, 0x80000000, v0
	v_lshl_add_u32 v2, v2, 23, v3
	v_or3_b32 v1, v0, v2, v1
.LBB6_4580:                             ;   in Loop: Header=BB6_4155 Depth=2
	s_or_b64 exec, exec, s[90:91]
.LBB6_4581:                             ;   in Loop: Header=BB6_4155 Depth=2
	s_or_b64 exec, exec, s[88:89]
.LBB6_4582:                             ;   in Loop: Header=BB6_4155 Depth=2
	s_or_b64 exec, exec, s[20:21]
	v_mul_f32_e32 v1, s30, v1
	v_and_b32_e32 v52, 0x7f800000, v1
	v_cmp_ne_u64_e32 vcc, s[56:57], v[52:53]
                                        ; implicit-def: $vgpr48
	s_and_saveexec_b64 s[20:21], vcc
	s_xor_b64 s[88:89], exec, s[20:21]
	s_cbranch_execz .LBB6_4600
; %bb.4583:                             ;   in Loop: Header=BB6_4155 Depth=2
	v_and_b32_e32 v52, 0x7fffffff, v1
	v_cmp_gt_u64_e32 vcc, s[58:59], v[52:53]
	v_and_b32_sdwa v0, v1, s53 dst_sel:DWORD dst_unused:UNUSED_PAD src0_sel:BYTE_3 src1_sel:DWORD
                                        ; implicit-def: $vgpr48
	s_and_saveexec_b64 s[20:21], vcc
	s_xor_b64 s[90:91], exec, s[20:21]
	s_cbranch_execz .LBB6_4597
; %bb.4584:                             ;   in Loop: Header=BB6_4155 Depth=2
	v_cmp_ne_u32_e32 vcc, 0, v1
	v_mov_b32_e32 v48, 0
	s_and_saveexec_b64 s[92:93], vcc
	s_cbranch_execz .LBB6_4596
; %bb.4585:                             ;   in Loop: Header=BB6_4155 Depth=2
	v_and_b32_e32 v3, 0x7fffff, v1
	v_bfe_u32 v1, v1, 23, 8
	v_cmp_gt_u32_e64 s[20:21], s54, v1
	v_sub_u32_e32 v2, 0x79, v1
	v_cmp_eq_u32_e32 vcc, 0, v1
	v_cndmask_b32_e64 v2, 0, v2, s[20:21]
	v_mov_b32_e32 v5, 0x78
	v_or_b32_e32 v4, 0x800000, v3
	v_cndmask_b32_e32 v2, v2, v5, vcc
	v_cndmask_b32_e32 v52, v4, v3, vcc
	v_add_u32_e32 v3, 20, v2
	v_lshlrev_b64 v[3:4], v3, -1
	v_add_u32_e32 v5, 19, v2
	v_lshlrev_b64 v[7:8], v5, 1
	v_lshrrev_b64 v[16:17], v2, v[52:53]
	v_bfi_b32 v4, v4, 0, 0
	v_bfi_b32 v3, v3, 0, v52
	v_cmp_eq_u64_e64 s[20:21], v[3:4], v[7:8]
	v_mov_b32_e32 v18, v17
	v_mov_b32_e32 v17, v16
	s_and_saveexec_b64 s[94:95], s[20:21]
; %bb.4586:                             ;   in Loop: Header=BB6_4155 Depth=2
	v_bfe_u32 v3, v16, 20, 1
	v_add_co_u32_e64 v3, s[20:21], v16, v3
	v_add_co_u32_e64 v17, s[20:21], -1, v3
; %bb.4587:                             ;   in Loop: Header=BB6_4155 Depth=2
	s_or_b64 exec, exec, s[94:95]
	v_add_u32_e32 v1, 0xffffff81, v1
	v_mov_b32_e32 v3, 0xffffff82
	v_cndmask_b32_e32 v1, v1, v3, vcc
	v_lshrrev_b32_e32 v3, 23, v16
	v_add3_u32 v3, v2, v1, v3
	v_add_u32_e32 v2, 6, v3
	v_and_b32_e32 v1, 0xfffff, v17
	v_add_u32_e32 v52, v1, v16
	v_cmp_ne_u32_e32 vcc, 0, v2
                                        ; implicit-def: $vgpr16_vgpr17
                                        ; implicit-def: $vgpr1
	s_and_saveexec_b64 s[20:21], vcc
	s_xor_b64 s[20:21], exec, s[20:21]
; %bb.4588:                             ;   in Loop: Header=BB6_4155 Depth=2
	v_cmp_lt_u64_e32 vcc, s[60:61], v[52:53]
	v_add_u32_e32 v1, 7, v3
	v_cndmask_b32_e32 v1, v2, v1, vcc
	v_cndmask_b32_e64 v2, 0, 1, vcc
	v_lshrrev_b64 v[16:17], v2, v[52:53]
; %bb.4589:                             ;   in Loop: Header=BB6_4155 Depth=2
	s_andn2_saveexec_b64 s[20:21], s[20:21]
; %bb.4590:                             ;   in Loop: Header=BB6_4155 Depth=2
	v_mov_b32_e32 v16, v52
	v_bfe_u32 v1, v52, 23, 1
	v_mov_b32_e32 v17, v53
; %bb.4591:                             ;   in Loop: Header=BB6_4155 Depth=2
	s_or_b64 exec, exec, s[20:21]
	v_lshrrev_b64 v[2:3], 20, v[16:17]
	v_cmp_gt_i32_e32 vcc, 16, v1
	v_cndmask_b32_e32 v17, 0, v3, vcc
	v_cndmask_b32_e32 v16, 7, v2, vcc
	v_cmp_ne_u64_e32 vcc, 0, v[16:17]
	v_cmp_ne_u32_e64 s[20:21], 0, v1
	s_or_b64 s[20:21], s[20:21], vcc
                                        ; implicit-def: $vgpr48
	s_and_saveexec_b64 s[94:95], s[20:21]
	s_xor_b64 s[20:21], exec, s[94:95]
; %bb.4592:                             ;   in Loop: Header=BB6_4155 Depth=2
	v_min_i32_e32 v1, 15, v1
	v_lshl_or_b32 v0, v1, 3, v0
	v_and_or_b32 v48, v16, 7, v0
                                        ; implicit-def: $vgpr0
; %bb.4593:                             ;   in Loop: Header=BB6_4155 Depth=2
	s_andn2_saveexec_b64 s[20:21], s[20:21]
; %bb.4594:                             ;   in Loop: Header=BB6_4155 Depth=2
	v_mov_b32_e32 v48, v0
; %bb.4595:                             ;   in Loop: Header=BB6_4155 Depth=2
	s_or_b64 exec, exec, s[20:21]
.LBB6_4596:                             ;   in Loop: Header=BB6_4155 Depth=2
	s_or_b64 exec, exec, s[92:93]
                                        ; implicit-def: $vgpr0
.LBB6_4597:                             ;   in Loop: Header=BB6_4155 Depth=2
	s_andn2_saveexec_b64 s[20:21], s[90:91]
; %bb.4598:                             ;   in Loop: Header=BB6_4155 Depth=2
	v_or_b32_e32 v48, 0x7e, v0
; %bb.4599:                             ;   in Loop: Header=BB6_4155 Depth=2
	s_or_b64 exec, exec, s[20:21]
                                        ; implicit-def: $vgpr1
.LBB6_4600:                             ;   in Loop: Header=BB6_4155 Depth=2
	s_andn2_saveexec_b64 s[20:21], s[88:89]
; %bb.4601:                             ;   in Loop: Header=BB6_4155 Depth=2
	v_or_b32_sdwa v48, v1, s51 dst_sel:DWORD dst_unused:UNUSED_PAD src0_sel:BYTE_3 src1_sel:DWORD
; %bb.4602:                             ;   in Loop: Header=BB6_4155 Depth=2
	s_or_b64 exec, exec, s[20:21]
	flat_load_ubyte v0, v[10:11] offset:1088 glc slc
	v_mov_b32_e32 v1, 0
	s_waitcnt vmcnt(0) lgkmcnt(0)
	v_cmp_ne_u16_e32 vcc, 0, v0
	s_and_saveexec_b64 s[20:21], vcc
	s_cbranch_execz .LBB6_4608
; %bb.4603:                             ;   in Loop: Header=BB6_4155 Depth=2
	v_cmp_ne_u16_e32 vcc, s53, v0
	v_bfrev_b32_e32 v1, 1
	s_and_saveexec_b64 s[88:89], vcc
	s_cbranch_execz .LBB6_4607
; %bb.4604:                             ;   in Loop: Header=BB6_4155 Depth=2
	v_and_b32_e32 v16, 0xffff, v0
	v_and_b32_e32 v2, 0x7f, v16
	v_cmp_ne_u32_e32 vcc, s51, v2
	v_mov_b32_e32 v1, 0x7f800001
	s_and_saveexec_b64 s[90:91], vcc
	s_cbranch_execz .LBB6_4606
; %bb.4605:                             ;   in Loop: Header=BB6_4155 Depth=2
	v_and_b32_e32 v3, 7, v16
	v_ffbh_u32_e32 v1, v3
	v_min_u32_e32 v5, 32, v1
	v_subrev_u32_e32 v1, 28, v5
	v_lshrrev_b32_e32 v4, 3, v2
	v_cmp_gt_u32_e32 vcc, 8, v2
	v_lshlrev_b64 v[1:2], v1, v[16:17]
	v_sub_u32_e32 v2, 29, v5
	v_and_b32_e32 v1, 7, v1
	v_cndmask_b32_e32 v2, v4, v2, vcc
	v_cndmask_b32_e32 v1, v3, v1, vcc
	v_lshlrev_b32_e32 v0, 24, v0
	v_bfrev_b32_e32 v3, 60
	v_lshlrev_b32_e32 v1, 20, v1
	v_and_b32_e32 v0, 0x80000000, v0
	v_lshl_add_u32 v2, v2, 23, v3
	v_or3_b32 v1, v0, v2, v1
.LBB6_4606:                             ;   in Loop: Header=BB6_4155 Depth=2
	s_or_b64 exec, exec, s[90:91]
.LBB6_4607:                             ;   in Loop: Header=BB6_4155 Depth=2
	s_or_b64 exec, exec, s[88:89]
.LBB6_4608:                             ;   in Loop: Header=BB6_4155 Depth=2
	s_or_b64 exec, exec, s[20:21]
	v_mul_f32_e32 v1, s30, v1
	v_and_b32_e32 v52, 0x7f800000, v1
	v_cmp_ne_u64_e32 vcc, s[56:57], v[52:53]
                                        ; implicit-def: $vgpr37
	s_and_saveexec_b64 s[20:21], vcc
	s_xor_b64 s[88:89], exec, s[20:21]
	s_cbranch_execz .LBB6_4626
; %bb.4609:                             ;   in Loop: Header=BB6_4155 Depth=2
	v_and_b32_e32 v52, 0x7fffffff, v1
	v_cmp_gt_u64_e32 vcc, s[58:59], v[52:53]
	v_and_b32_sdwa v0, v1, s53 dst_sel:DWORD dst_unused:UNUSED_PAD src0_sel:BYTE_3 src1_sel:DWORD
                                        ; implicit-def: $vgpr37
	s_and_saveexec_b64 s[20:21], vcc
	s_xor_b64 s[90:91], exec, s[20:21]
	s_cbranch_execz .LBB6_4623
; %bb.4610:                             ;   in Loop: Header=BB6_4155 Depth=2
	v_cmp_ne_u32_e32 vcc, 0, v1
	v_mov_b32_e32 v37, 0
	s_and_saveexec_b64 s[92:93], vcc
	s_cbranch_execz .LBB6_4622
; %bb.4611:                             ;   in Loop: Header=BB6_4155 Depth=2
	v_and_b32_e32 v3, 0x7fffff, v1
	v_bfe_u32 v1, v1, 23, 8
	v_cmp_gt_u32_e64 s[20:21], s54, v1
	v_sub_u32_e32 v2, 0x79, v1
	v_cmp_eq_u32_e32 vcc, 0, v1
	v_cndmask_b32_e64 v2, 0, v2, s[20:21]
	v_mov_b32_e32 v5, 0x78
	v_or_b32_e32 v4, 0x800000, v3
	v_cndmask_b32_e32 v2, v2, v5, vcc
	v_cndmask_b32_e32 v52, v4, v3, vcc
	v_add_u32_e32 v3, 20, v2
	v_lshlrev_b64 v[3:4], v3, -1
	v_add_u32_e32 v5, 19, v2
	v_lshlrev_b64 v[7:8], v5, 1
	v_lshrrev_b64 v[16:17], v2, v[52:53]
	v_bfi_b32 v4, v4, 0, 0
	v_bfi_b32 v3, v3, 0, v52
	v_cmp_eq_u64_e64 s[20:21], v[3:4], v[7:8]
	v_mov_b32_e32 v18, v17
	v_mov_b32_e32 v17, v16
	s_and_saveexec_b64 s[94:95], s[20:21]
; %bb.4612:                             ;   in Loop: Header=BB6_4155 Depth=2
	v_bfe_u32 v3, v16, 20, 1
	v_add_co_u32_e64 v3, s[20:21], v16, v3
	v_add_co_u32_e64 v17, s[20:21], -1, v3
; %bb.4613:                             ;   in Loop: Header=BB6_4155 Depth=2
	s_or_b64 exec, exec, s[94:95]
	v_add_u32_e32 v1, 0xffffff81, v1
	v_mov_b32_e32 v3, 0xffffff82
	v_cndmask_b32_e32 v1, v1, v3, vcc
	v_lshrrev_b32_e32 v3, 23, v16
	v_add3_u32 v3, v2, v1, v3
	v_add_u32_e32 v2, 6, v3
	v_and_b32_e32 v1, 0xfffff, v17
	v_add_u32_e32 v52, v1, v16
	v_cmp_ne_u32_e32 vcc, 0, v2
                                        ; implicit-def: $vgpr16_vgpr17
                                        ; implicit-def: $vgpr1
	s_and_saveexec_b64 s[20:21], vcc
	s_xor_b64 s[20:21], exec, s[20:21]
; %bb.4614:                             ;   in Loop: Header=BB6_4155 Depth=2
	v_cmp_lt_u64_e32 vcc, s[60:61], v[52:53]
	v_add_u32_e32 v1, 7, v3
	v_cndmask_b32_e32 v1, v2, v1, vcc
	v_cndmask_b32_e64 v2, 0, 1, vcc
	v_lshrrev_b64 v[16:17], v2, v[52:53]
; %bb.4615:                             ;   in Loop: Header=BB6_4155 Depth=2
	s_andn2_saveexec_b64 s[20:21], s[20:21]
; %bb.4616:                             ;   in Loop: Header=BB6_4155 Depth=2
	v_mov_b32_e32 v16, v52
	v_bfe_u32 v1, v52, 23, 1
	v_mov_b32_e32 v17, v53
; %bb.4617:                             ;   in Loop: Header=BB6_4155 Depth=2
	s_or_b64 exec, exec, s[20:21]
	v_lshrrev_b64 v[2:3], 20, v[16:17]
	v_cmp_gt_i32_e32 vcc, 16, v1
	v_cndmask_b32_e32 v17, 0, v3, vcc
	v_cndmask_b32_e32 v16, 7, v2, vcc
	v_cmp_ne_u64_e32 vcc, 0, v[16:17]
	v_cmp_ne_u32_e64 s[20:21], 0, v1
	s_or_b64 s[20:21], s[20:21], vcc
                                        ; implicit-def: $vgpr37
	s_and_saveexec_b64 s[94:95], s[20:21]
	s_xor_b64 s[20:21], exec, s[94:95]
; %bb.4618:                             ;   in Loop: Header=BB6_4155 Depth=2
	v_min_i32_e32 v1, 15, v1
	v_lshl_or_b32 v0, v1, 3, v0
	v_and_or_b32 v37, v16, 7, v0
                                        ; implicit-def: $vgpr0
; %bb.4619:                             ;   in Loop: Header=BB6_4155 Depth=2
	s_andn2_saveexec_b64 s[20:21], s[20:21]
; %bb.4620:                             ;   in Loop: Header=BB6_4155 Depth=2
	v_mov_b32_e32 v37, v0
; %bb.4621:                             ;   in Loop: Header=BB6_4155 Depth=2
	s_or_b64 exec, exec, s[20:21]
.LBB6_4622:                             ;   in Loop: Header=BB6_4155 Depth=2
	s_or_b64 exec, exec, s[92:93]
                                        ; implicit-def: $vgpr0
.LBB6_4623:                             ;   in Loop: Header=BB6_4155 Depth=2
	s_andn2_saveexec_b64 s[20:21], s[90:91]
; %bb.4624:                             ;   in Loop: Header=BB6_4155 Depth=2
	v_or_b32_e32 v37, 0x7e, v0
; %bb.4625:                             ;   in Loop: Header=BB6_4155 Depth=2
	s_or_b64 exec, exec, s[20:21]
                                        ; implicit-def: $vgpr1
.LBB6_4626:                             ;   in Loop: Header=BB6_4155 Depth=2
	s_andn2_saveexec_b64 s[20:21], s[88:89]
; %bb.4627:                             ;   in Loop: Header=BB6_4155 Depth=2
	v_or_b32_sdwa v37, v1, s51 dst_sel:DWORD dst_unused:UNUSED_PAD src0_sel:BYTE_3 src1_sel:DWORD
; %bb.4628:                             ;   in Loop: Header=BB6_4155 Depth=2
	s_or_b64 exec, exec, s[20:21]
	flat_load_ubyte v0, v[10:11] offset:1152 glc slc
	v_mov_b32_e32 v1, 0
	s_waitcnt vmcnt(0) lgkmcnt(0)
	v_cmp_ne_u16_e32 vcc, 0, v0
	s_and_saveexec_b64 s[20:21], vcc
	s_cbranch_execz .LBB6_4634
; %bb.4629:                             ;   in Loop: Header=BB6_4155 Depth=2
	v_cmp_ne_u16_e32 vcc, s53, v0
	v_bfrev_b32_e32 v1, 1
	s_and_saveexec_b64 s[88:89], vcc
	s_cbranch_execz .LBB6_4633
; %bb.4630:                             ;   in Loop: Header=BB6_4155 Depth=2
	v_and_b32_e32 v16, 0xffff, v0
	v_and_b32_e32 v2, 0x7f, v16
	v_cmp_ne_u32_e32 vcc, s51, v2
	v_mov_b32_e32 v1, 0x7f800001
	s_and_saveexec_b64 s[90:91], vcc
	s_cbranch_execz .LBB6_4632
; %bb.4631:                             ;   in Loop: Header=BB6_4155 Depth=2
	v_and_b32_e32 v3, 7, v16
	v_ffbh_u32_e32 v1, v3
	v_min_u32_e32 v5, 32, v1
	v_subrev_u32_e32 v1, 28, v5
	v_lshrrev_b32_e32 v4, 3, v2
	v_cmp_gt_u32_e32 vcc, 8, v2
	v_lshlrev_b64 v[1:2], v1, v[16:17]
	v_sub_u32_e32 v2, 29, v5
	v_and_b32_e32 v1, 7, v1
	v_cndmask_b32_e32 v2, v4, v2, vcc
	v_cndmask_b32_e32 v1, v3, v1, vcc
	v_lshlrev_b32_e32 v0, 24, v0
	v_bfrev_b32_e32 v3, 60
	v_lshlrev_b32_e32 v1, 20, v1
	v_and_b32_e32 v0, 0x80000000, v0
	v_lshl_add_u32 v2, v2, 23, v3
	v_or3_b32 v1, v0, v2, v1
.LBB6_4632:                             ;   in Loop: Header=BB6_4155 Depth=2
	s_or_b64 exec, exec, s[90:91]
.LBB6_4633:                             ;   in Loop: Header=BB6_4155 Depth=2
	s_or_b64 exec, exec, s[88:89]
.LBB6_4634:                             ;   in Loop: Header=BB6_4155 Depth=2
	s_or_b64 exec, exec, s[20:21]
	v_mul_f32_e32 v1, s30, v1
	v_and_b32_e32 v52, 0x7f800000, v1
	v_cmp_ne_u64_e32 vcc, s[56:57], v[52:53]
                                        ; implicit-def: $vgpr0
                                        ; kill: killed $vgpr0
	s_and_saveexec_b64 s[20:21], vcc
	s_xor_b64 s[88:89], exec, s[20:21]
	s_cbranch_execz .LBB6_4652
; %bb.4635:                             ;   in Loop: Header=BB6_4155 Depth=2
	v_and_b32_e32 v52, 0x7fffffff, v1
	v_cmp_gt_u64_e32 vcc, s[58:59], v[52:53]
	v_and_b32_sdwa v0, v1, s53 dst_sel:DWORD dst_unused:UNUSED_PAD src0_sel:BYTE_3 src1_sel:DWORD
                                        ; implicit-def: $vgpr2
                                        ; kill: killed $vgpr2
	s_and_saveexec_b64 s[20:21], vcc
	s_xor_b64 s[90:91], exec, s[20:21]
	s_cbranch_execz .LBB6_4649
; %bb.4636:                             ;   in Loop: Header=BB6_4155 Depth=2
	v_cmp_ne_u32_e32 vcc, 0, v1
	v_mov_b32_e32 v2, 0
	buffer_store_dword v2, off, s[0:3], s33 offset:152 ; 4-byte Folded Spill
	s_and_saveexec_b64 s[92:93], vcc
	s_cbranch_execz .LBB6_4648
; %bb.4637:                             ;   in Loop: Header=BB6_4155 Depth=2
	v_and_b32_e32 v3, 0x7fffff, v1
	v_bfe_u32 v1, v1, 23, 8
	v_cmp_gt_u32_e64 s[20:21], s54, v1
	v_sub_u32_e32 v2, 0x79, v1
	v_cmp_eq_u32_e32 vcc, 0, v1
	v_cndmask_b32_e64 v2, 0, v2, s[20:21]
	v_mov_b32_e32 v5, 0x78
	v_or_b32_e32 v4, 0x800000, v3
	v_cndmask_b32_e32 v2, v2, v5, vcc
	v_cndmask_b32_e32 v52, v4, v3, vcc
	v_add_u32_e32 v3, 20, v2
	v_lshlrev_b64 v[3:4], v3, -1
	v_add_u32_e32 v5, 19, v2
	v_lshlrev_b64 v[7:8], v5, 1
	v_lshrrev_b64 v[16:17], v2, v[52:53]
	v_bfi_b32 v4, v4, 0, 0
	v_bfi_b32 v3, v3, 0, v52
	v_cmp_eq_u64_e64 s[20:21], v[3:4], v[7:8]
	v_mov_b32_e32 v18, v17
	v_mov_b32_e32 v17, v16
	s_and_saveexec_b64 s[94:95], s[20:21]
; %bb.4638:                             ;   in Loop: Header=BB6_4155 Depth=2
	v_bfe_u32 v3, v16, 20, 1
	v_add_co_u32_e64 v3, s[20:21], v16, v3
	v_add_co_u32_e64 v17, s[20:21], -1, v3
; %bb.4639:                             ;   in Loop: Header=BB6_4155 Depth=2
	s_or_b64 exec, exec, s[94:95]
	v_add_u32_e32 v1, 0xffffff81, v1
	v_mov_b32_e32 v3, 0xffffff82
	v_cndmask_b32_e32 v1, v1, v3, vcc
	v_lshrrev_b32_e32 v3, 23, v16
	v_add3_u32 v3, v2, v1, v3
	v_add_u32_e32 v2, 6, v3
	v_and_b32_e32 v1, 0xfffff, v17
	v_add_u32_e32 v52, v1, v16
	v_cmp_ne_u32_e32 vcc, 0, v2
                                        ; implicit-def: $vgpr16_vgpr17
                                        ; implicit-def: $vgpr1
	s_and_saveexec_b64 s[20:21], vcc
	s_xor_b64 s[20:21], exec, s[20:21]
; %bb.4640:                             ;   in Loop: Header=BB6_4155 Depth=2
	v_cmp_lt_u64_e32 vcc, s[60:61], v[52:53]
	v_add_u32_e32 v1, 7, v3
	v_cndmask_b32_e32 v1, v2, v1, vcc
	v_cndmask_b32_e64 v2, 0, 1, vcc
	v_lshrrev_b64 v[16:17], v2, v[52:53]
; %bb.4641:                             ;   in Loop: Header=BB6_4155 Depth=2
	s_andn2_saveexec_b64 s[20:21], s[20:21]
; %bb.4642:                             ;   in Loop: Header=BB6_4155 Depth=2
	v_mov_b32_e32 v16, v52
	v_bfe_u32 v1, v52, 23, 1
	v_mov_b32_e32 v17, v53
; %bb.4643:                             ;   in Loop: Header=BB6_4155 Depth=2
	s_or_b64 exec, exec, s[20:21]
	v_lshrrev_b64 v[2:3], 20, v[16:17]
	v_cmp_gt_i32_e32 vcc, 16, v1
	v_cndmask_b32_e32 v17, 0, v3, vcc
	v_cndmask_b32_e32 v16, 7, v2, vcc
	v_cmp_ne_u64_e32 vcc, 0, v[16:17]
	v_cmp_ne_u32_e64 s[20:21], 0, v1
	s_or_b64 s[20:21], s[20:21], vcc
                                        ; implicit-def: $vgpr2
                                        ; kill: killed $vgpr2
	s_and_saveexec_b64 s[94:95], s[20:21]
	s_xor_b64 s[20:21], exec, s[94:95]
	s_cbranch_execz .LBB6_4645
; %bb.4644:                             ;   in Loop: Header=BB6_4155 Depth=2
	v_min_i32_e32 v1, 15, v1
	v_lshl_or_b32 v0, v1, 3, v0
	v_and_or_b32 v0, v16, 7, v0
	buffer_store_dword v0, off, s[0:3], s33 offset:152 ; 4-byte Folded Spill
                                        ; implicit-def: $vgpr0
.LBB6_4645:                             ;   in Loop: Header=BB6_4155 Depth=2
	s_andn2_saveexec_b64 s[20:21], s[20:21]
	s_cbranch_execz .LBB6_4647
; %bb.4646:                             ;   in Loop: Header=BB6_4155 Depth=2
	buffer_store_dword v0, off, s[0:3], s33 offset:152 ; 4-byte Folded Spill
.LBB6_4647:                             ;   in Loop: Header=BB6_4155 Depth=2
	s_or_b64 exec, exec, s[20:21]
.LBB6_4648:                             ;   in Loop: Header=BB6_4155 Depth=2
	s_or_b64 exec, exec, s[92:93]
                                        ; implicit-def: $vgpr0
.LBB6_4649:                             ;   in Loop: Header=BB6_4155 Depth=2
	s_andn2_saveexec_b64 s[20:21], s[90:91]
	s_cbranch_execz .LBB6_4651
; %bb.4650:                             ;   in Loop: Header=BB6_4155 Depth=2
	v_or_b32_e32 v0, 0x7e, v0
	buffer_store_dword v0, off, s[0:3], s33 offset:152 ; 4-byte Folded Spill
.LBB6_4651:                             ;   in Loop: Header=BB6_4155 Depth=2
	s_or_b64 exec, exec, s[20:21]
                                        ; implicit-def: $vgpr1
.LBB6_4652:                             ;   in Loop: Header=BB6_4155 Depth=2
	s_andn2_saveexec_b64 s[20:21], s[88:89]
	s_cbranch_execz .LBB6_4654
; %bb.4653:                             ;   in Loop: Header=BB6_4155 Depth=2
	v_or_b32_sdwa v0, v1, s51 dst_sel:DWORD dst_unused:UNUSED_PAD src0_sel:BYTE_3 src1_sel:DWORD
	buffer_store_dword v0, off, s[0:3], s33 offset:152 ; 4-byte Folded Spill
.LBB6_4654:                             ;   in Loop: Header=BB6_4155 Depth=2
	s_or_b64 exec, exec, s[20:21]
	flat_load_ubyte v0, v[10:11] offset:1216 glc slc
	v_mov_b32_e32 v1, 0
	s_waitcnt vmcnt(0) lgkmcnt(0)
	v_cmp_ne_u16_e32 vcc, 0, v0
	s_and_saveexec_b64 s[20:21], vcc
	s_cbranch_execz .LBB6_4660
; %bb.4655:                             ;   in Loop: Header=BB6_4155 Depth=2
	v_cmp_ne_u16_e32 vcc, s53, v0
	v_bfrev_b32_e32 v1, 1
	s_and_saveexec_b64 s[88:89], vcc
	s_cbranch_execz .LBB6_4659
; %bb.4656:                             ;   in Loop: Header=BB6_4155 Depth=2
	v_and_b32_e32 v16, 0xffff, v0
	v_and_b32_e32 v2, 0x7f, v16
	v_cmp_ne_u32_e32 vcc, s51, v2
	v_mov_b32_e32 v1, 0x7f800001
	s_and_saveexec_b64 s[90:91], vcc
	s_cbranch_execz .LBB6_4658
; %bb.4657:                             ;   in Loop: Header=BB6_4155 Depth=2
	v_and_b32_e32 v3, 7, v16
	v_ffbh_u32_e32 v1, v3
	v_min_u32_e32 v5, 32, v1
	v_subrev_u32_e32 v1, 28, v5
	v_lshrrev_b32_e32 v4, 3, v2
	v_cmp_gt_u32_e32 vcc, 8, v2
	v_lshlrev_b64 v[1:2], v1, v[16:17]
	v_sub_u32_e32 v2, 29, v5
	v_and_b32_e32 v1, 7, v1
	v_cndmask_b32_e32 v2, v4, v2, vcc
	v_cndmask_b32_e32 v1, v3, v1, vcc
	v_lshlrev_b32_e32 v0, 24, v0
	v_bfrev_b32_e32 v3, 60
	v_lshlrev_b32_e32 v1, 20, v1
	v_and_b32_e32 v0, 0x80000000, v0
	v_lshl_add_u32 v2, v2, 23, v3
	v_or3_b32 v1, v0, v2, v1
.LBB6_4658:                             ;   in Loop: Header=BB6_4155 Depth=2
	s_or_b64 exec, exec, s[90:91]
.LBB6_4659:                             ;   in Loop: Header=BB6_4155 Depth=2
	s_or_b64 exec, exec, s[88:89]
.LBB6_4660:                             ;   in Loop: Header=BB6_4155 Depth=2
	s_or_b64 exec, exec, s[20:21]
	v_mul_f32_e32 v1, s30, v1
	v_and_b32_e32 v52, 0x7f800000, v1
	v_cmp_ne_u64_e32 vcc, s[56:57], v[52:53]
                                        ; implicit-def: $vgpr0
                                        ; kill: killed $vgpr0
	s_and_saveexec_b64 s[20:21], vcc
	s_xor_b64 s[88:89], exec, s[20:21]
	s_cbranch_execz .LBB6_4678
; %bb.4661:                             ;   in Loop: Header=BB6_4155 Depth=2
	v_and_b32_e32 v52, 0x7fffffff, v1
	v_cmp_gt_u64_e32 vcc, s[58:59], v[52:53]
	v_and_b32_sdwa v0, v1, s53 dst_sel:DWORD dst_unused:UNUSED_PAD src0_sel:BYTE_3 src1_sel:DWORD
                                        ; implicit-def: $vgpr2
                                        ; kill: killed $vgpr2
	s_and_saveexec_b64 s[20:21], vcc
	s_xor_b64 s[90:91], exec, s[20:21]
	s_cbranch_execz .LBB6_4675
; %bb.4662:                             ;   in Loop: Header=BB6_4155 Depth=2
	v_cmp_ne_u32_e32 vcc, 0, v1
	v_mov_b32_e32 v2, 0
	buffer_store_dword v2, off, s[0:3], s33 offset:148 ; 4-byte Folded Spill
	s_and_saveexec_b64 s[92:93], vcc
	s_cbranch_execz .LBB6_4674
; %bb.4663:                             ;   in Loop: Header=BB6_4155 Depth=2
	v_and_b32_e32 v3, 0x7fffff, v1
	v_bfe_u32 v1, v1, 23, 8
	v_cmp_gt_u32_e64 s[20:21], s54, v1
	v_sub_u32_e32 v2, 0x79, v1
	v_cmp_eq_u32_e32 vcc, 0, v1
	v_cndmask_b32_e64 v2, 0, v2, s[20:21]
	v_mov_b32_e32 v5, 0x78
	v_or_b32_e32 v4, 0x800000, v3
	v_cndmask_b32_e32 v2, v2, v5, vcc
	v_cndmask_b32_e32 v52, v4, v3, vcc
	v_add_u32_e32 v3, 20, v2
	v_lshlrev_b64 v[3:4], v3, -1
	v_add_u32_e32 v5, 19, v2
	v_lshlrev_b64 v[7:8], v5, 1
	v_lshrrev_b64 v[16:17], v2, v[52:53]
	v_bfi_b32 v4, v4, 0, 0
	v_bfi_b32 v3, v3, 0, v52
	v_cmp_eq_u64_e64 s[20:21], v[3:4], v[7:8]
	v_mov_b32_e32 v18, v17
	v_mov_b32_e32 v17, v16
	s_and_saveexec_b64 s[94:95], s[20:21]
; %bb.4664:                             ;   in Loop: Header=BB6_4155 Depth=2
	v_bfe_u32 v3, v16, 20, 1
	v_add_co_u32_e64 v3, s[20:21], v16, v3
	v_add_co_u32_e64 v17, s[20:21], -1, v3
; %bb.4665:                             ;   in Loop: Header=BB6_4155 Depth=2
	s_or_b64 exec, exec, s[94:95]
	v_add_u32_e32 v1, 0xffffff81, v1
	v_mov_b32_e32 v3, 0xffffff82
	v_cndmask_b32_e32 v1, v1, v3, vcc
	v_lshrrev_b32_e32 v3, 23, v16
	v_add3_u32 v3, v2, v1, v3
	v_add_u32_e32 v2, 6, v3
	v_and_b32_e32 v1, 0xfffff, v17
	v_add_u32_e32 v52, v1, v16
	v_cmp_ne_u32_e32 vcc, 0, v2
                                        ; implicit-def: $vgpr16_vgpr17
                                        ; implicit-def: $vgpr1
	s_and_saveexec_b64 s[20:21], vcc
	s_xor_b64 s[20:21], exec, s[20:21]
; %bb.4666:                             ;   in Loop: Header=BB6_4155 Depth=2
	v_cmp_lt_u64_e32 vcc, s[60:61], v[52:53]
	v_add_u32_e32 v1, 7, v3
	v_cndmask_b32_e32 v1, v2, v1, vcc
	v_cndmask_b32_e64 v2, 0, 1, vcc
	v_lshrrev_b64 v[16:17], v2, v[52:53]
; %bb.4667:                             ;   in Loop: Header=BB6_4155 Depth=2
	s_andn2_saveexec_b64 s[20:21], s[20:21]
; %bb.4668:                             ;   in Loop: Header=BB6_4155 Depth=2
	v_mov_b32_e32 v16, v52
	v_bfe_u32 v1, v52, 23, 1
	v_mov_b32_e32 v17, v53
; %bb.4669:                             ;   in Loop: Header=BB6_4155 Depth=2
	s_or_b64 exec, exec, s[20:21]
	v_lshrrev_b64 v[2:3], 20, v[16:17]
	v_cmp_gt_i32_e32 vcc, 16, v1
	v_cndmask_b32_e32 v17, 0, v3, vcc
	v_cndmask_b32_e32 v16, 7, v2, vcc
	v_cmp_ne_u64_e32 vcc, 0, v[16:17]
	v_cmp_ne_u32_e64 s[20:21], 0, v1
	s_or_b64 s[20:21], s[20:21], vcc
                                        ; implicit-def: $vgpr2
                                        ; kill: killed $vgpr2
	s_and_saveexec_b64 s[94:95], s[20:21]
	s_xor_b64 s[20:21], exec, s[94:95]
	s_cbranch_execz .LBB6_4671
; %bb.4670:                             ;   in Loop: Header=BB6_4155 Depth=2
	v_min_i32_e32 v1, 15, v1
	v_lshl_or_b32 v0, v1, 3, v0
	v_and_or_b32 v0, v16, 7, v0
	buffer_store_dword v0, off, s[0:3], s33 offset:148 ; 4-byte Folded Spill
                                        ; implicit-def: $vgpr0
.LBB6_4671:                             ;   in Loop: Header=BB6_4155 Depth=2
	s_andn2_saveexec_b64 s[20:21], s[20:21]
	s_cbranch_execz .LBB6_4673
; %bb.4672:                             ;   in Loop: Header=BB6_4155 Depth=2
	buffer_store_dword v0, off, s[0:3], s33 offset:148 ; 4-byte Folded Spill
.LBB6_4673:                             ;   in Loop: Header=BB6_4155 Depth=2
	s_or_b64 exec, exec, s[20:21]
.LBB6_4674:                             ;   in Loop: Header=BB6_4155 Depth=2
	s_or_b64 exec, exec, s[92:93]
                                        ; implicit-def: $vgpr0
.LBB6_4675:                             ;   in Loop: Header=BB6_4155 Depth=2
	s_andn2_saveexec_b64 s[20:21], s[90:91]
	s_cbranch_execz .LBB6_4677
; %bb.4676:                             ;   in Loop: Header=BB6_4155 Depth=2
	v_or_b32_e32 v0, 0x7e, v0
	buffer_store_dword v0, off, s[0:3], s33 offset:148 ; 4-byte Folded Spill
.LBB6_4677:                             ;   in Loop: Header=BB6_4155 Depth=2
	s_or_b64 exec, exec, s[20:21]
                                        ; implicit-def: $vgpr1
.LBB6_4678:                             ;   in Loop: Header=BB6_4155 Depth=2
	s_andn2_saveexec_b64 s[20:21], s[88:89]
	s_cbranch_execz .LBB6_4680
; %bb.4679:                             ;   in Loop: Header=BB6_4155 Depth=2
	v_or_b32_sdwa v0, v1, s51 dst_sel:DWORD dst_unused:UNUSED_PAD src0_sel:BYTE_3 src1_sel:DWORD
	buffer_store_dword v0, off, s[0:3], s33 offset:148 ; 4-byte Folded Spill
.LBB6_4680:                             ;   in Loop: Header=BB6_4155 Depth=2
	s_or_b64 exec, exec, s[20:21]
	flat_load_ubyte v0, v[10:11] offset:1280 glc slc
	v_mov_b32_e32 v1, 0
	s_waitcnt vmcnt(0) lgkmcnt(0)
	v_cmp_ne_u16_e32 vcc, 0, v0
	s_and_saveexec_b64 s[20:21], vcc
	s_cbranch_execz .LBB6_4686
; %bb.4681:                             ;   in Loop: Header=BB6_4155 Depth=2
	v_cmp_ne_u16_e32 vcc, s53, v0
	v_bfrev_b32_e32 v1, 1
	s_and_saveexec_b64 s[88:89], vcc
	s_cbranch_execz .LBB6_4685
; %bb.4682:                             ;   in Loop: Header=BB6_4155 Depth=2
	v_and_b32_e32 v16, 0xffff, v0
	v_and_b32_e32 v2, 0x7f, v16
	v_cmp_ne_u32_e32 vcc, s51, v2
	v_mov_b32_e32 v1, 0x7f800001
	s_and_saveexec_b64 s[90:91], vcc
	s_cbranch_execz .LBB6_4684
; %bb.4683:                             ;   in Loop: Header=BB6_4155 Depth=2
	v_and_b32_e32 v3, 7, v16
	v_ffbh_u32_e32 v1, v3
	v_min_u32_e32 v5, 32, v1
	v_subrev_u32_e32 v1, 28, v5
	v_lshrrev_b32_e32 v4, 3, v2
	v_cmp_gt_u32_e32 vcc, 8, v2
	v_lshlrev_b64 v[1:2], v1, v[16:17]
	v_sub_u32_e32 v2, 29, v5
	v_and_b32_e32 v1, 7, v1
	v_cndmask_b32_e32 v2, v4, v2, vcc
	v_cndmask_b32_e32 v1, v3, v1, vcc
	v_lshlrev_b32_e32 v0, 24, v0
	v_bfrev_b32_e32 v3, 60
	v_lshlrev_b32_e32 v1, 20, v1
	v_and_b32_e32 v0, 0x80000000, v0
	v_lshl_add_u32 v2, v2, 23, v3
	v_or3_b32 v1, v0, v2, v1
.LBB6_4684:                             ;   in Loop: Header=BB6_4155 Depth=2
	s_or_b64 exec, exec, s[90:91]
.LBB6_4685:                             ;   in Loop: Header=BB6_4155 Depth=2
	s_or_b64 exec, exec, s[88:89]
.LBB6_4686:                             ;   in Loop: Header=BB6_4155 Depth=2
	s_or_b64 exec, exec, s[20:21]
	v_mul_f32_e32 v1, s30, v1
	v_and_b32_e32 v52, 0x7f800000, v1
	v_cmp_ne_u64_e32 vcc, s[56:57], v[52:53]
                                        ; implicit-def: $vgpr0
                                        ; kill: killed $vgpr0
	s_and_saveexec_b64 s[20:21], vcc
	s_xor_b64 s[88:89], exec, s[20:21]
	s_cbranch_execz .LBB6_4704
; %bb.4687:                             ;   in Loop: Header=BB6_4155 Depth=2
	v_and_b32_e32 v52, 0x7fffffff, v1
	v_cmp_gt_u64_e32 vcc, s[58:59], v[52:53]
	v_and_b32_sdwa v0, v1, s53 dst_sel:DWORD dst_unused:UNUSED_PAD src0_sel:BYTE_3 src1_sel:DWORD
                                        ; implicit-def: $vgpr2
                                        ; kill: killed $vgpr2
	s_and_saveexec_b64 s[20:21], vcc
	s_xor_b64 s[90:91], exec, s[20:21]
	s_cbranch_execz .LBB6_4701
; %bb.4688:                             ;   in Loop: Header=BB6_4155 Depth=2
	v_cmp_ne_u32_e32 vcc, 0, v1
	v_mov_b32_e32 v2, 0
	buffer_store_dword v2, off, s[0:3], s33 offset:144 ; 4-byte Folded Spill
	s_and_saveexec_b64 s[92:93], vcc
	s_cbranch_execz .LBB6_4700
; %bb.4689:                             ;   in Loop: Header=BB6_4155 Depth=2
	v_and_b32_e32 v3, 0x7fffff, v1
	v_bfe_u32 v1, v1, 23, 8
	v_cmp_gt_u32_e64 s[20:21], s54, v1
	v_sub_u32_e32 v2, 0x79, v1
	v_cmp_eq_u32_e32 vcc, 0, v1
	v_cndmask_b32_e64 v2, 0, v2, s[20:21]
	v_mov_b32_e32 v5, 0x78
	v_or_b32_e32 v4, 0x800000, v3
	v_cndmask_b32_e32 v2, v2, v5, vcc
	v_cndmask_b32_e32 v52, v4, v3, vcc
	v_add_u32_e32 v3, 20, v2
	v_lshlrev_b64 v[3:4], v3, -1
	v_add_u32_e32 v5, 19, v2
	v_lshlrev_b64 v[7:8], v5, 1
	v_lshrrev_b64 v[16:17], v2, v[52:53]
	v_bfi_b32 v4, v4, 0, 0
	v_bfi_b32 v3, v3, 0, v52
	v_cmp_eq_u64_e64 s[20:21], v[3:4], v[7:8]
	v_mov_b32_e32 v18, v17
	v_mov_b32_e32 v17, v16
	s_and_saveexec_b64 s[94:95], s[20:21]
; %bb.4690:                             ;   in Loop: Header=BB6_4155 Depth=2
	v_bfe_u32 v3, v16, 20, 1
	v_add_co_u32_e64 v3, s[20:21], v16, v3
	v_add_co_u32_e64 v17, s[20:21], -1, v3
; %bb.4691:                             ;   in Loop: Header=BB6_4155 Depth=2
	s_or_b64 exec, exec, s[94:95]
	v_add_u32_e32 v1, 0xffffff81, v1
	v_mov_b32_e32 v3, 0xffffff82
	v_cndmask_b32_e32 v1, v1, v3, vcc
	v_lshrrev_b32_e32 v3, 23, v16
	v_add3_u32 v3, v2, v1, v3
	v_add_u32_e32 v2, 6, v3
	v_and_b32_e32 v1, 0xfffff, v17
	v_add_u32_e32 v52, v1, v16
	v_cmp_ne_u32_e32 vcc, 0, v2
                                        ; implicit-def: $vgpr16_vgpr17
                                        ; implicit-def: $vgpr1
	s_and_saveexec_b64 s[20:21], vcc
	s_xor_b64 s[20:21], exec, s[20:21]
; %bb.4692:                             ;   in Loop: Header=BB6_4155 Depth=2
	v_cmp_lt_u64_e32 vcc, s[60:61], v[52:53]
	v_add_u32_e32 v1, 7, v3
	v_cndmask_b32_e32 v1, v2, v1, vcc
	v_cndmask_b32_e64 v2, 0, 1, vcc
	v_lshrrev_b64 v[16:17], v2, v[52:53]
; %bb.4693:                             ;   in Loop: Header=BB6_4155 Depth=2
	s_andn2_saveexec_b64 s[20:21], s[20:21]
; %bb.4694:                             ;   in Loop: Header=BB6_4155 Depth=2
	v_mov_b32_e32 v16, v52
	v_bfe_u32 v1, v52, 23, 1
	v_mov_b32_e32 v17, v53
; %bb.4695:                             ;   in Loop: Header=BB6_4155 Depth=2
	s_or_b64 exec, exec, s[20:21]
	v_lshrrev_b64 v[2:3], 20, v[16:17]
	v_cmp_gt_i32_e32 vcc, 16, v1
	v_cndmask_b32_e32 v17, 0, v3, vcc
	v_cndmask_b32_e32 v16, 7, v2, vcc
	v_cmp_ne_u64_e32 vcc, 0, v[16:17]
	v_cmp_ne_u32_e64 s[20:21], 0, v1
	s_or_b64 s[20:21], s[20:21], vcc
                                        ; implicit-def: $vgpr2
                                        ; kill: killed $vgpr2
	s_and_saveexec_b64 s[94:95], s[20:21]
	s_xor_b64 s[20:21], exec, s[94:95]
	s_cbranch_execz .LBB6_4697
; %bb.4696:                             ;   in Loop: Header=BB6_4155 Depth=2
	v_min_i32_e32 v1, 15, v1
	v_lshl_or_b32 v0, v1, 3, v0
	v_and_or_b32 v0, v16, 7, v0
	buffer_store_dword v0, off, s[0:3], s33 offset:144 ; 4-byte Folded Spill
                                        ; implicit-def: $vgpr0
.LBB6_4697:                             ;   in Loop: Header=BB6_4155 Depth=2
	s_andn2_saveexec_b64 s[20:21], s[20:21]
	s_cbranch_execz .LBB6_4699
; %bb.4698:                             ;   in Loop: Header=BB6_4155 Depth=2
	buffer_store_dword v0, off, s[0:3], s33 offset:144 ; 4-byte Folded Spill
.LBB6_4699:                             ;   in Loop: Header=BB6_4155 Depth=2
	s_or_b64 exec, exec, s[20:21]
.LBB6_4700:                             ;   in Loop: Header=BB6_4155 Depth=2
	s_or_b64 exec, exec, s[92:93]
                                        ; implicit-def: $vgpr0
.LBB6_4701:                             ;   in Loop: Header=BB6_4155 Depth=2
	s_andn2_saveexec_b64 s[20:21], s[90:91]
	s_cbranch_execz .LBB6_4703
; %bb.4702:                             ;   in Loop: Header=BB6_4155 Depth=2
	v_or_b32_e32 v0, 0x7e, v0
	buffer_store_dword v0, off, s[0:3], s33 offset:144 ; 4-byte Folded Spill
.LBB6_4703:                             ;   in Loop: Header=BB6_4155 Depth=2
	s_or_b64 exec, exec, s[20:21]
                                        ; implicit-def: $vgpr1
.LBB6_4704:                             ;   in Loop: Header=BB6_4155 Depth=2
	s_andn2_saveexec_b64 s[20:21], s[88:89]
	s_cbranch_execz .LBB6_4706
; %bb.4705:                             ;   in Loop: Header=BB6_4155 Depth=2
	v_or_b32_sdwa v0, v1, s51 dst_sel:DWORD dst_unused:UNUSED_PAD src0_sel:BYTE_3 src1_sel:DWORD
	buffer_store_dword v0, off, s[0:3], s33 offset:144 ; 4-byte Folded Spill
.LBB6_4706:                             ;   in Loop: Header=BB6_4155 Depth=2
	s_or_b64 exec, exec, s[20:21]
	flat_load_ubyte v0, v[10:11] offset:1344 glc slc
	v_mov_b32_e32 v1, 0
	s_waitcnt vmcnt(0) lgkmcnt(0)
	v_cmp_ne_u16_e32 vcc, 0, v0
	s_and_saveexec_b64 s[20:21], vcc
	s_cbranch_execz .LBB6_4712
; %bb.4707:                             ;   in Loop: Header=BB6_4155 Depth=2
	v_cmp_ne_u16_e32 vcc, s53, v0
	v_bfrev_b32_e32 v1, 1
	s_and_saveexec_b64 s[88:89], vcc
	s_cbranch_execz .LBB6_4711
; %bb.4708:                             ;   in Loop: Header=BB6_4155 Depth=2
	v_and_b32_e32 v16, 0xffff, v0
	v_and_b32_e32 v2, 0x7f, v16
	v_cmp_ne_u32_e32 vcc, s51, v2
	v_mov_b32_e32 v1, 0x7f800001
	s_and_saveexec_b64 s[90:91], vcc
	s_cbranch_execz .LBB6_4710
; %bb.4709:                             ;   in Loop: Header=BB6_4155 Depth=2
	v_and_b32_e32 v3, 7, v16
	v_ffbh_u32_e32 v1, v3
	v_min_u32_e32 v5, 32, v1
	v_subrev_u32_e32 v1, 28, v5
	v_lshrrev_b32_e32 v4, 3, v2
	v_cmp_gt_u32_e32 vcc, 8, v2
	v_lshlrev_b64 v[1:2], v1, v[16:17]
	v_sub_u32_e32 v2, 29, v5
	v_and_b32_e32 v1, 7, v1
	v_cndmask_b32_e32 v2, v4, v2, vcc
	v_cndmask_b32_e32 v1, v3, v1, vcc
	v_lshlrev_b32_e32 v0, 24, v0
	v_bfrev_b32_e32 v3, 60
	v_lshlrev_b32_e32 v1, 20, v1
	v_and_b32_e32 v0, 0x80000000, v0
	v_lshl_add_u32 v2, v2, 23, v3
	v_or3_b32 v1, v0, v2, v1
.LBB6_4710:                             ;   in Loop: Header=BB6_4155 Depth=2
	s_or_b64 exec, exec, s[90:91]
.LBB6_4711:                             ;   in Loop: Header=BB6_4155 Depth=2
	s_or_b64 exec, exec, s[88:89]
.LBB6_4712:                             ;   in Loop: Header=BB6_4155 Depth=2
	s_or_b64 exec, exec, s[20:21]
	v_mul_f32_e32 v1, s30, v1
	v_and_b32_e32 v52, 0x7f800000, v1
	v_cmp_ne_u64_e32 vcc, s[56:57], v[52:53]
                                        ; implicit-def: $vgpr0
                                        ; kill: killed $vgpr0
	s_and_saveexec_b64 s[20:21], vcc
	s_xor_b64 s[88:89], exec, s[20:21]
	s_cbranch_execz .LBB6_4730
; %bb.4713:                             ;   in Loop: Header=BB6_4155 Depth=2
	v_and_b32_e32 v52, 0x7fffffff, v1
	v_cmp_gt_u64_e32 vcc, s[58:59], v[52:53]
	v_and_b32_sdwa v0, v1, s53 dst_sel:DWORD dst_unused:UNUSED_PAD src0_sel:BYTE_3 src1_sel:DWORD
                                        ; implicit-def: $vgpr2
                                        ; kill: killed $vgpr2
	s_and_saveexec_b64 s[20:21], vcc
	s_xor_b64 s[90:91], exec, s[20:21]
	s_cbranch_execz .LBB6_4727
; %bb.4714:                             ;   in Loop: Header=BB6_4155 Depth=2
	v_cmp_ne_u32_e32 vcc, 0, v1
	v_mov_b32_e32 v2, 0
	buffer_store_dword v2, off, s[0:3], s33 offset:140 ; 4-byte Folded Spill
	s_and_saveexec_b64 s[92:93], vcc
	s_cbranch_execz .LBB6_4726
; %bb.4715:                             ;   in Loop: Header=BB6_4155 Depth=2
	v_and_b32_e32 v3, 0x7fffff, v1
	v_bfe_u32 v1, v1, 23, 8
	v_cmp_gt_u32_e64 s[20:21], s54, v1
	v_sub_u32_e32 v2, 0x79, v1
	v_cmp_eq_u32_e32 vcc, 0, v1
	v_cndmask_b32_e64 v2, 0, v2, s[20:21]
	v_mov_b32_e32 v5, 0x78
	v_or_b32_e32 v4, 0x800000, v3
	v_cndmask_b32_e32 v2, v2, v5, vcc
	v_cndmask_b32_e32 v52, v4, v3, vcc
	v_add_u32_e32 v3, 20, v2
	v_lshlrev_b64 v[3:4], v3, -1
	v_add_u32_e32 v5, 19, v2
	v_lshlrev_b64 v[7:8], v5, 1
	v_lshrrev_b64 v[16:17], v2, v[52:53]
	v_bfi_b32 v4, v4, 0, 0
	v_bfi_b32 v3, v3, 0, v52
	v_cmp_eq_u64_e64 s[20:21], v[3:4], v[7:8]
	v_mov_b32_e32 v18, v17
	v_mov_b32_e32 v17, v16
	s_and_saveexec_b64 s[94:95], s[20:21]
; %bb.4716:                             ;   in Loop: Header=BB6_4155 Depth=2
	v_bfe_u32 v3, v16, 20, 1
	v_add_co_u32_e64 v3, s[20:21], v16, v3
	v_add_co_u32_e64 v17, s[20:21], -1, v3
; %bb.4717:                             ;   in Loop: Header=BB6_4155 Depth=2
	s_or_b64 exec, exec, s[94:95]
	v_add_u32_e32 v1, 0xffffff81, v1
	v_mov_b32_e32 v3, 0xffffff82
	v_cndmask_b32_e32 v1, v1, v3, vcc
	v_lshrrev_b32_e32 v3, 23, v16
	v_add3_u32 v3, v2, v1, v3
	v_add_u32_e32 v2, 6, v3
	v_and_b32_e32 v1, 0xfffff, v17
	v_add_u32_e32 v52, v1, v16
	v_cmp_ne_u32_e32 vcc, 0, v2
                                        ; implicit-def: $vgpr16_vgpr17
                                        ; implicit-def: $vgpr1
	s_and_saveexec_b64 s[20:21], vcc
	s_xor_b64 s[20:21], exec, s[20:21]
; %bb.4718:                             ;   in Loop: Header=BB6_4155 Depth=2
	v_cmp_lt_u64_e32 vcc, s[60:61], v[52:53]
	v_add_u32_e32 v1, 7, v3
	v_cndmask_b32_e32 v1, v2, v1, vcc
	v_cndmask_b32_e64 v2, 0, 1, vcc
	v_lshrrev_b64 v[16:17], v2, v[52:53]
; %bb.4719:                             ;   in Loop: Header=BB6_4155 Depth=2
	s_andn2_saveexec_b64 s[20:21], s[20:21]
; %bb.4720:                             ;   in Loop: Header=BB6_4155 Depth=2
	v_mov_b32_e32 v16, v52
	v_bfe_u32 v1, v52, 23, 1
	v_mov_b32_e32 v17, v53
; %bb.4721:                             ;   in Loop: Header=BB6_4155 Depth=2
	s_or_b64 exec, exec, s[20:21]
	v_lshrrev_b64 v[2:3], 20, v[16:17]
	v_cmp_gt_i32_e32 vcc, 16, v1
	v_cndmask_b32_e32 v17, 0, v3, vcc
	v_cndmask_b32_e32 v16, 7, v2, vcc
	v_cmp_ne_u64_e32 vcc, 0, v[16:17]
	v_cmp_ne_u32_e64 s[20:21], 0, v1
	s_or_b64 s[20:21], s[20:21], vcc
                                        ; implicit-def: $vgpr2
                                        ; kill: killed $vgpr2
	s_and_saveexec_b64 s[94:95], s[20:21]
	s_xor_b64 s[20:21], exec, s[94:95]
	s_cbranch_execz .LBB6_4723
; %bb.4722:                             ;   in Loop: Header=BB6_4155 Depth=2
	v_min_i32_e32 v1, 15, v1
	v_lshl_or_b32 v0, v1, 3, v0
	v_and_or_b32 v0, v16, 7, v0
	buffer_store_dword v0, off, s[0:3], s33 offset:140 ; 4-byte Folded Spill
                                        ; implicit-def: $vgpr0
.LBB6_4723:                             ;   in Loop: Header=BB6_4155 Depth=2
	s_andn2_saveexec_b64 s[20:21], s[20:21]
	s_cbranch_execz .LBB6_4725
; %bb.4724:                             ;   in Loop: Header=BB6_4155 Depth=2
	buffer_store_dword v0, off, s[0:3], s33 offset:140 ; 4-byte Folded Spill
.LBB6_4725:                             ;   in Loop: Header=BB6_4155 Depth=2
	s_or_b64 exec, exec, s[20:21]
.LBB6_4726:                             ;   in Loop: Header=BB6_4155 Depth=2
	s_or_b64 exec, exec, s[92:93]
                                        ; implicit-def: $vgpr0
.LBB6_4727:                             ;   in Loop: Header=BB6_4155 Depth=2
	s_andn2_saveexec_b64 s[20:21], s[90:91]
	s_cbranch_execz .LBB6_4729
; %bb.4728:                             ;   in Loop: Header=BB6_4155 Depth=2
	v_or_b32_e32 v0, 0x7e, v0
	buffer_store_dword v0, off, s[0:3], s33 offset:140 ; 4-byte Folded Spill
.LBB6_4729:                             ;   in Loop: Header=BB6_4155 Depth=2
	s_or_b64 exec, exec, s[20:21]
                                        ; implicit-def: $vgpr1
.LBB6_4730:                             ;   in Loop: Header=BB6_4155 Depth=2
	s_andn2_saveexec_b64 s[20:21], s[88:89]
	s_cbranch_execz .LBB6_4732
; %bb.4731:                             ;   in Loop: Header=BB6_4155 Depth=2
	v_or_b32_sdwa v0, v1, s51 dst_sel:DWORD dst_unused:UNUSED_PAD src0_sel:BYTE_3 src1_sel:DWORD
	buffer_store_dword v0, off, s[0:3], s33 offset:140 ; 4-byte Folded Spill
.LBB6_4732:                             ;   in Loop: Header=BB6_4155 Depth=2
	s_or_b64 exec, exec, s[20:21]
	flat_load_ubyte v0, v[10:11] offset:1408 glc slc
	v_mov_b32_e32 v1, 0
	s_waitcnt vmcnt(0) lgkmcnt(0)
	v_cmp_ne_u16_e32 vcc, 0, v0
	s_and_saveexec_b64 s[20:21], vcc
	s_cbranch_execz .LBB6_4738
; %bb.4733:                             ;   in Loop: Header=BB6_4155 Depth=2
	v_cmp_ne_u16_e32 vcc, s53, v0
	v_bfrev_b32_e32 v1, 1
	s_and_saveexec_b64 s[88:89], vcc
	s_cbranch_execz .LBB6_4737
; %bb.4734:                             ;   in Loop: Header=BB6_4155 Depth=2
	v_and_b32_e32 v16, 0xffff, v0
	v_and_b32_e32 v2, 0x7f, v16
	v_cmp_ne_u32_e32 vcc, s51, v2
	v_mov_b32_e32 v1, 0x7f800001
	s_and_saveexec_b64 s[90:91], vcc
	s_cbranch_execz .LBB6_4736
; %bb.4735:                             ;   in Loop: Header=BB6_4155 Depth=2
	v_and_b32_e32 v3, 7, v16
	v_ffbh_u32_e32 v1, v3
	v_min_u32_e32 v5, 32, v1
	v_subrev_u32_e32 v1, 28, v5
	v_lshrrev_b32_e32 v4, 3, v2
	v_cmp_gt_u32_e32 vcc, 8, v2
	v_lshlrev_b64 v[1:2], v1, v[16:17]
	v_sub_u32_e32 v2, 29, v5
	v_and_b32_e32 v1, 7, v1
	v_cndmask_b32_e32 v2, v4, v2, vcc
	v_cndmask_b32_e32 v1, v3, v1, vcc
	v_lshlrev_b32_e32 v0, 24, v0
	v_bfrev_b32_e32 v3, 60
	v_lshlrev_b32_e32 v1, 20, v1
	v_and_b32_e32 v0, 0x80000000, v0
	v_lshl_add_u32 v2, v2, 23, v3
	v_or3_b32 v1, v0, v2, v1
.LBB6_4736:                             ;   in Loop: Header=BB6_4155 Depth=2
	s_or_b64 exec, exec, s[90:91]
.LBB6_4737:                             ;   in Loop: Header=BB6_4155 Depth=2
	s_or_b64 exec, exec, s[88:89]
.LBB6_4738:                             ;   in Loop: Header=BB6_4155 Depth=2
	s_or_b64 exec, exec, s[20:21]
	v_mul_f32_e32 v1, s30, v1
	v_and_b32_e32 v52, 0x7f800000, v1
	v_cmp_ne_u64_e32 vcc, s[56:57], v[52:53]
                                        ; implicit-def: $vgpr0
                                        ; kill: killed $vgpr0
	s_and_saveexec_b64 s[20:21], vcc
	s_xor_b64 s[88:89], exec, s[20:21]
	s_cbranch_execz .LBB6_4756
; %bb.4739:                             ;   in Loop: Header=BB6_4155 Depth=2
	v_and_b32_e32 v52, 0x7fffffff, v1
	v_cmp_gt_u64_e32 vcc, s[58:59], v[52:53]
	v_and_b32_sdwa v0, v1, s53 dst_sel:DWORD dst_unused:UNUSED_PAD src0_sel:BYTE_3 src1_sel:DWORD
                                        ; implicit-def: $vgpr2
                                        ; kill: killed $vgpr2
	s_and_saveexec_b64 s[20:21], vcc
	s_xor_b64 s[90:91], exec, s[20:21]
	s_cbranch_execz .LBB6_4753
; %bb.4740:                             ;   in Loop: Header=BB6_4155 Depth=2
	v_cmp_ne_u32_e32 vcc, 0, v1
	v_mov_b32_e32 v2, 0
	buffer_store_dword v2, off, s[0:3], s33 offset:136 ; 4-byte Folded Spill
	s_and_saveexec_b64 s[92:93], vcc
	s_cbranch_execz .LBB6_4752
; %bb.4741:                             ;   in Loop: Header=BB6_4155 Depth=2
	v_and_b32_e32 v3, 0x7fffff, v1
	v_bfe_u32 v1, v1, 23, 8
	v_cmp_gt_u32_e64 s[20:21], s54, v1
	v_sub_u32_e32 v2, 0x79, v1
	v_cmp_eq_u32_e32 vcc, 0, v1
	v_cndmask_b32_e64 v2, 0, v2, s[20:21]
	v_mov_b32_e32 v5, 0x78
	v_or_b32_e32 v4, 0x800000, v3
	v_cndmask_b32_e32 v2, v2, v5, vcc
	v_cndmask_b32_e32 v52, v4, v3, vcc
	v_add_u32_e32 v3, 20, v2
	v_lshlrev_b64 v[3:4], v3, -1
	v_add_u32_e32 v5, 19, v2
	v_lshlrev_b64 v[7:8], v5, 1
	v_lshrrev_b64 v[16:17], v2, v[52:53]
	v_bfi_b32 v4, v4, 0, 0
	v_bfi_b32 v3, v3, 0, v52
	v_cmp_eq_u64_e64 s[20:21], v[3:4], v[7:8]
	v_mov_b32_e32 v18, v17
	v_mov_b32_e32 v17, v16
	s_and_saveexec_b64 s[94:95], s[20:21]
; %bb.4742:                             ;   in Loop: Header=BB6_4155 Depth=2
	v_bfe_u32 v3, v16, 20, 1
	v_add_co_u32_e64 v3, s[20:21], v16, v3
	v_add_co_u32_e64 v17, s[20:21], -1, v3
; %bb.4743:                             ;   in Loop: Header=BB6_4155 Depth=2
	s_or_b64 exec, exec, s[94:95]
	v_add_u32_e32 v1, 0xffffff81, v1
	v_mov_b32_e32 v3, 0xffffff82
	v_cndmask_b32_e32 v1, v1, v3, vcc
	v_lshrrev_b32_e32 v3, 23, v16
	v_add3_u32 v3, v2, v1, v3
	v_add_u32_e32 v2, 6, v3
	v_and_b32_e32 v1, 0xfffff, v17
	v_add_u32_e32 v52, v1, v16
	v_cmp_ne_u32_e32 vcc, 0, v2
                                        ; implicit-def: $vgpr16_vgpr17
                                        ; implicit-def: $vgpr1
	s_and_saveexec_b64 s[20:21], vcc
	s_xor_b64 s[20:21], exec, s[20:21]
; %bb.4744:                             ;   in Loop: Header=BB6_4155 Depth=2
	v_cmp_lt_u64_e32 vcc, s[60:61], v[52:53]
	v_add_u32_e32 v1, 7, v3
	v_cndmask_b32_e32 v1, v2, v1, vcc
	v_cndmask_b32_e64 v2, 0, 1, vcc
	v_lshrrev_b64 v[16:17], v2, v[52:53]
; %bb.4745:                             ;   in Loop: Header=BB6_4155 Depth=2
	s_andn2_saveexec_b64 s[20:21], s[20:21]
; %bb.4746:                             ;   in Loop: Header=BB6_4155 Depth=2
	v_mov_b32_e32 v16, v52
	v_bfe_u32 v1, v52, 23, 1
	v_mov_b32_e32 v17, v53
; %bb.4747:                             ;   in Loop: Header=BB6_4155 Depth=2
	s_or_b64 exec, exec, s[20:21]
	v_lshrrev_b64 v[2:3], 20, v[16:17]
	v_cmp_gt_i32_e32 vcc, 16, v1
	v_cndmask_b32_e32 v17, 0, v3, vcc
	v_cndmask_b32_e32 v16, 7, v2, vcc
	v_cmp_ne_u64_e32 vcc, 0, v[16:17]
	v_cmp_ne_u32_e64 s[20:21], 0, v1
	s_or_b64 s[20:21], s[20:21], vcc
                                        ; implicit-def: $vgpr2
                                        ; kill: killed $vgpr2
	s_and_saveexec_b64 s[94:95], s[20:21]
	s_xor_b64 s[20:21], exec, s[94:95]
	s_cbranch_execz .LBB6_4749
; %bb.4748:                             ;   in Loop: Header=BB6_4155 Depth=2
	v_min_i32_e32 v1, 15, v1
	v_lshl_or_b32 v0, v1, 3, v0
	v_and_or_b32 v0, v16, 7, v0
	buffer_store_dword v0, off, s[0:3], s33 offset:136 ; 4-byte Folded Spill
                                        ; implicit-def: $vgpr0
.LBB6_4749:                             ;   in Loop: Header=BB6_4155 Depth=2
	s_andn2_saveexec_b64 s[20:21], s[20:21]
	s_cbranch_execz .LBB6_4751
; %bb.4750:                             ;   in Loop: Header=BB6_4155 Depth=2
	buffer_store_dword v0, off, s[0:3], s33 offset:136 ; 4-byte Folded Spill
.LBB6_4751:                             ;   in Loop: Header=BB6_4155 Depth=2
	s_or_b64 exec, exec, s[20:21]
.LBB6_4752:                             ;   in Loop: Header=BB6_4155 Depth=2
	s_or_b64 exec, exec, s[92:93]
                                        ; implicit-def: $vgpr0
.LBB6_4753:                             ;   in Loop: Header=BB6_4155 Depth=2
	s_andn2_saveexec_b64 s[20:21], s[90:91]
	s_cbranch_execz .LBB6_4755
; %bb.4754:                             ;   in Loop: Header=BB6_4155 Depth=2
	v_or_b32_e32 v0, 0x7e, v0
	buffer_store_dword v0, off, s[0:3], s33 offset:136 ; 4-byte Folded Spill
.LBB6_4755:                             ;   in Loop: Header=BB6_4155 Depth=2
	s_or_b64 exec, exec, s[20:21]
                                        ; implicit-def: $vgpr1
.LBB6_4756:                             ;   in Loop: Header=BB6_4155 Depth=2
	s_andn2_saveexec_b64 s[20:21], s[88:89]
	s_cbranch_execz .LBB6_4758
; %bb.4757:                             ;   in Loop: Header=BB6_4155 Depth=2
	v_or_b32_sdwa v0, v1, s51 dst_sel:DWORD dst_unused:UNUSED_PAD src0_sel:BYTE_3 src1_sel:DWORD
	buffer_store_dword v0, off, s[0:3], s33 offset:136 ; 4-byte Folded Spill
.LBB6_4758:                             ;   in Loop: Header=BB6_4155 Depth=2
	s_or_b64 exec, exec, s[20:21]
	flat_load_ubyte v0, v[10:11] offset:1472 glc slc
	v_mov_b32_e32 v1, 0
	s_waitcnt vmcnt(0) lgkmcnt(0)
	v_cmp_ne_u16_e32 vcc, 0, v0
	s_and_saveexec_b64 s[20:21], vcc
	s_cbranch_execz .LBB6_4764
; %bb.4759:                             ;   in Loop: Header=BB6_4155 Depth=2
	v_cmp_ne_u16_e32 vcc, s53, v0
	v_bfrev_b32_e32 v1, 1
	s_and_saveexec_b64 s[88:89], vcc
	s_cbranch_execz .LBB6_4763
; %bb.4760:                             ;   in Loop: Header=BB6_4155 Depth=2
	v_and_b32_e32 v16, 0xffff, v0
	v_and_b32_e32 v2, 0x7f, v16
	v_cmp_ne_u32_e32 vcc, s51, v2
	v_mov_b32_e32 v1, 0x7f800001
	s_and_saveexec_b64 s[90:91], vcc
	s_cbranch_execz .LBB6_4762
; %bb.4761:                             ;   in Loop: Header=BB6_4155 Depth=2
	v_and_b32_e32 v3, 7, v16
	v_ffbh_u32_e32 v1, v3
	v_min_u32_e32 v5, 32, v1
	v_subrev_u32_e32 v1, 28, v5
	v_lshrrev_b32_e32 v4, 3, v2
	v_cmp_gt_u32_e32 vcc, 8, v2
	v_lshlrev_b64 v[1:2], v1, v[16:17]
	v_sub_u32_e32 v2, 29, v5
	v_and_b32_e32 v1, 7, v1
	v_cndmask_b32_e32 v2, v4, v2, vcc
	v_cndmask_b32_e32 v1, v3, v1, vcc
	v_lshlrev_b32_e32 v0, 24, v0
	v_bfrev_b32_e32 v3, 60
	v_lshlrev_b32_e32 v1, 20, v1
	v_and_b32_e32 v0, 0x80000000, v0
	v_lshl_add_u32 v2, v2, 23, v3
	v_or3_b32 v1, v0, v2, v1
.LBB6_4762:                             ;   in Loop: Header=BB6_4155 Depth=2
	s_or_b64 exec, exec, s[90:91]
.LBB6_4763:                             ;   in Loop: Header=BB6_4155 Depth=2
	s_or_b64 exec, exec, s[88:89]
.LBB6_4764:                             ;   in Loop: Header=BB6_4155 Depth=2
	s_or_b64 exec, exec, s[20:21]
	v_mul_f32_e32 v1, s30, v1
	v_and_b32_e32 v52, 0x7f800000, v1
	v_cmp_ne_u64_e32 vcc, s[56:57], v[52:53]
                                        ; implicit-def: $vgpr0
                                        ; kill: killed $vgpr0
	s_and_saveexec_b64 s[20:21], vcc
	s_xor_b64 s[88:89], exec, s[20:21]
	s_cbranch_execz .LBB6_4782
; %bb.4765:                             ;   in Loop: Header=BB6_4155 Depth=2
	v_and_b32_e32 v52, 0x7fffffff, v1
	v_cmp_gt_u64_e32 vcc, s[58:59], v[52:53]
	v_and_b32_sdwa v0, v1, s53 dst_sel:DWORD dst_unused:UNUSED_PAD src0_sel:BYTE_3 src1_sel:DWORD
                                        ; implicit-def: $vgpr2
                                        ; kill: killed $vgpr2
	s_and_saveexec_b64 s[20:21], vcc
	s_xor_b64 s[90:91], exec, s[20:21]
	s_cbranch_execz .LBB6_4779
; %bb.4766:                             ;   in Loop: Header=BB6_4155 Depth=2
	v_cmp_ne_u32_e32 vcc, 0, v1
	v_mov_b32_e32 v2, 0
	buffer_store_dword v2, off, s[0:3], s33 offset:132 ; 4-byte Folded Spill
	s_and_saveexec_b64 s[92:93], vcc
	s_cbranch_execz .LBB6_4778
; %bb.4767:                             ;   in Loop: Header=BB6_4155 Depth=2
	v_and_b32_e32 v3, 0x7fffff, v1
	v_bfe_u32 v1, v1, 23, 8
	v_cmp_gt_u32_e64 s[20:21], s54, v1
	v_sub_u32_e32 v2, 0x79, v1
	v_cmp_eq_u32_e32 vcc, 0, v1
	v_cndmask_b32_e64 v2, 0, v2, s[20:21]
	v_mov_b32_e32 v5, 0x78
	v_or_b32_e32 v4, 0x800000, v3
	v_cndmask_b32_e32 v2, v2, v5, vcc
	v_cndmask_b32_e32 v52, v4, v3, vcc
	v_add_u32_e32 v3, 20, v2
	v_lshlrev_b64 v[3:4], v3, -1
	v_add_u32_e32 v5, 19, v2
	v_lshlrev_b64 v[7:8], v5, 1
	v_lshrrev_b64 v[16:17], v2, v[52:53]
	v_bfi_b32 v4, v4, 0, 0
	v_bfi_b32 v3, v3, 0, v52
	v_cmp_eq_u64_e64 s[20:21], v[3:4], v[7:8]
	v_mov_b32_e32 v18, v17
	v_mov_b32_e32 v17, v16
	s_and_saveexec_b64 s[94:95], s[20:21]
; %bb.4768:                             ;   in Loop: Header=BB6_4155 Depth=2
	v_bfe_u32 v3, v16, 20, 1
	v_add_co_u32_e64 v3, s[20:21], v16, v3
	v_add_co_u32_e64 v17, s[20:21], -1, v3
; %bb.4769:                             ;   in Loop: Header=BB6_4155 Depth=2
	s_or_b64 exec, exec, s[94:95]
	v_add_u32_e32 v1, 0xffffff81, v1
	v_mov_b32_e32 v3, 0xffffff82
	v_cndmask_b32_e32 v1, v1, v3, vcc
	v_lshrrev_b32_e32 v3, 23, v16
	v_add3_u32 v3, v2, v1, v3
	v_add_u32_e32 v2, 6, v3
	v_and_b32_e32 v1, 0xfffff, v17
	v_add_u32_e32 v52, v1, v16
	v_cmp_ne_u32_e32 vcc, 0, v2
                                        ; implicit-def: $vgpr16_vgpr17
                                        ; implicit-def: $vgpr1
	s_and_saveexec_b64 s[20:21], vcc
	s_xor_b64 s[20:21], exec, s[20:21]
; %bb.4770:                             ;   in Loop: Header=BB6_4155 Depth=2
	v_cmp_lt_u64_e32 vcc, s[60:61], v[52:53]
	v_add_u32_e32 v1, 7, v3
	v_cndmask_b32_e32 v1, v2, v1, vcc
	v_cndmask_b32_e64 v2, 0, 1, vcc
	v_lshrrev_b64 v[16:17], v2, v[52:53]
; %bb.4771:                             ;   in Loop: Header=BB6_4155 Depth=2
	s_andn2_saveexec_b64 s[20:21], s[20:21]
; %bb.4772:                             ;   in Loop: Header=BB6_4155 Depth=2
	v_mov_b32_e32 v16, v52
	v_bfe_u32 v1, v52, 23, 1
	v_mov_b32_e32 v17, v53
; %bb.4773:                             ;   in Loop: Header=BB6_4155 Depth=2
	s_or_b64 exec, exec, s[20:21]
	v_lshrrev_b64 v[2:3], 20, v[16:17]
	v_cmp_gt_i32_e32 vcc, 16, v1
	v_cndmask_b32_e32 v17, 0, v3, vcc
	v_cndmask_b32_e32 v16, 7, v2, vcc
	v_cmp_ne_u64_e32 vcc, 0, v[16:17]
	v_cmp_ne_u32_e64 s[20:21], 0, v1
	s_or_b64 s[20:21], s[20:21], vcc
                                        ; implicit-def: $vgpr2
                                        ; kill: killed $vgpr2
	s_and_saveexec_b64 s[94:95], s[20:21]
	s_xor_b64 s[20:21], exec, s[94:95]
	s_cbranch_execz .LBB6_4775
; %bb.4774:                             ;   in Loop: Header=BB6_4155 Depth=2
	v_min_i32_e32 v1, 15, v1
	v_lshl_or_b32 v0, v1, 3, v0
	v_and_or_b32 v0, v16, 7, v0
	buffer_store_dword v0, off, s[0:3], s33 offset:132 ; 4-byte Folded Spill
                                        ; implicit-def: $vgpr0
.LBB6_4775:                             ;   in Loop: Header=BB6_4155 Depth=2
	s_andn2_saveexec_b64 s[20:21], s[20:21]
	s_cbranch_execz .LBB6_4777
; %bb.4776:                             ;   in Loop: Header=BB6_4155 Depth=2
	buffer_store_dword v0, off, s[0:3], s33 offset:132 ; 4-byte Folded Spill
.LBB6_4777:                             ;   in Loop: Header=BB6_4155 Depth=2
	s_or_b64 exec, exec, s[20:21]
.LBB6_4778:                             ;   in Loop: Header=BB6_4155 Depth=2
	s_or_b64 exec, exec, s[92:93]
                                        ; implicit-def: $vgpr0
.LBB6_4779:                             ;   in Loop: Header=BB6_4155 Depth=2
	s_andn2_saveexec_b64 s[20:21], s[90:91]
	s_cbranch_execz .LBB6_4781
; %bb.4780:                             ;   in Loop: Header=BB6_4155 Depth=2
	v_or_b32_e32 v0, 0x7e, v0
	buffer_store_dword v0, off, s[0:3], s33 offset:132 ; 4-byte Folded Spill
.LBB6_4781:                             ;   in Loop: Header=BB6_4155 Depth=2
	s_or_b64 exec, exec, s[20:21]
                                        ; implicit-def: $vgpr1
.LBB6_4782:                             ;   in Loop: Header=BB6_4155 Depth=2
	s_andn2_saveexec_b64 s[20:21], s[88:89]
	s_cbranch_execz .LBB6_4784
; %bb.4783:                             ;   in Loop: Header=BB6_4155 Depth=2
	v_or_b32_sdwa v0, v1, s51 dst_sel:DWORD dst_unused:UNUSED_PAD src0_sel:BYTE_3 src1_sel:DWORD
	buffer_store_dword v0, off, s[0:3], s33 offset:132 ; 4-byte Folded Spill
.LBB6_4784:                             ;   in Loop: Header=BB6_4155 Depth=2
	s_or_b64 exec, exec, s[20:21]
	flat_load_ubyte v0, v[10:11] offset:1536 glc slc
	v_mov_b32_e32 v1, 0
	s_waitcnt vmcnt(0) lgkmcnt(0)
	v_cmp_ne_u16_e32 vcc, 0, v0
	s_and_saveexec_b64 s[20:21], vcc
	s_cbranch_execz .LBB6_4790
; %bb.4785:                             ;   in Loop: Header=BB6_4155 Depth=2
	v_cmp_ne_u16_e32 vcc, s53, v0
	v_bfrev_b32_e32 v1, 1
	s_and_saveexec_b64 s[88:89], vcc
	s_cbranch_execz .LBB6_4789
; %bb.4786:                             ;   in Loop: Header=BB6_4155 Depth=2
	v_and_b32_e32 v16, 0xffff, v0
	v_and_b32_e32 v2, 0x7f, v16
	v_cmp_ne_u32_e32 vcc, s51, v2
	v_mov_b32_e32 v1, 0x7f800001
	s_and_saveexec_b64 s[90:91], vcc
	s_cbranch_execz .LBB6_4788
; %bb.4787:                             ;   in Loop: Header=BB6_4155 Depth=2
	v_and_b32_e32 v3, 7, v16
	v_ffbh_u32_e32 v1, v3
	v_min_u32_e32 v5, 32, v1
	v_subrev_u32_e32 v1, 28, v5
	v_lshrrev_b32_e32 v4, 3, v2
	v_cmp_gt_u32_e32 vcc, 8, v2
	v_lshlrev_b64 v[1:2], v1, v[16:17]
	v_sub_u32_e32 v2, 29, v5
	v_and_b32_e32 v1, 7, v1
	v_cndmask_b32_e32 v2, v4, v2, vcc
	v_cndmask_b32_e32 v1, v3, v1, vcc
	v_lshlrev_b32_e32 v0, 24, v0
	v_bfrev_b32_e32 v3, 60
	v_lshlrev_b32_e32 v1, 20, v1
	v_and_b32_e32 v0, 0x80000000, v0
	v_lshl_add_u32 v2, v2, 23, v3
	v_or3_b32 v1, v0, v2, v1
.LBB6_4788:                             ;   in Loop: Header=BB6_4155 Depth=2
	s_or_b64 exec, exec, s[90:91]
.LBB6_4789:                             ;   in Loop: Header=BB6_4155 Depth=2
	s_or_b64 exec, exec, s[88:89]
.LBB6_4790:                             ;   in Loop: Header=BB6_4155 Depth=2
	s_or_b64 exec, exec, s[20:21]
	v_mul_f32_e32 v1, s30, v1
	v_and_b32_e32 v52, 0x7f800000, v1
	v_cmp_ne_u64_e32 vcc, s[56:57], v[52:53]
                                        ; implicit-def: $vgpr0
                                        ; kill: killed $vgpr0
	s_and_saveexec_b64 s[20:21], vcc
	s_xor_b64 s[88:89], exec, s[20:21]
	s_cbranch_execz .LBB6_4808
; %bb.4791:                             ;   in Loop: Header=BB6_4155 Depth=2
	v_and_b32_e32 v52, 0x7fffffff, v1
	v_cmp_gt_u64_e32 vcc, s[58:59], v[52:53]
	v_and_b32_sdwa v0, v1, s53 dst_sel:DWORD dst_unused:UNUSED_PAD src0_sel:BYTE_3 src1_sel:DWORD
                                        ; implicit-def: $vgpr2
                                        ; kill: killed $vgpr2
	s_and_saveexec_b64 s[20:21], vcc
	s_xor_b64 s[90:91], exec, s[20:21]
	s_cbranch_execz .LBB6_4805
; %bb.4792:                             ;   in Loop: Header=BB6_4155 Depth=2
	v_cmp_ne_u32_e32 vcc, 0, v1
	v_mov_b32_e32 v2, 0
	buffer_store_dword v2, off, s[0:3], s33 offset:128 ; 4-byte Folded Spill
	s_and_saveexec_b64 s[92:93], vcc
	s_cbranch_execz .LBB6_4804
; %bb.4793:                             ;   in Loop: Header=BB6_4155 Depth=2
	v_and_b32_e32 v3, 0x7fffff, v1
	v_bfe_u32 v1, v1, 23, 8
	v_cmp_gt_u32_e64 s[20:21], s54, v1
	v_sub_u32_e32 v2, 0x79, v1
	v_cmp_eq_u32_e32 vcc, 0, v1
	v_cndmask_b32_e64 v2, 0, v2, s[20:21]
	v_mov_b32_e32 v5, 0x78
	v_or_b32_e32 v4, 0x800000, v3
	v_cndmask_b32_e32 v2, v2, v5, vcc
	v_cndmask_b32_e32 v52, v4, v3, vcc
	v_add_u32_e32 v3, 20, v2
	v_lshlrev_b64 v[3:4], v3, -1
	v_add_u32_e32 v5, 19, v2
	v_lshlrev_b64 v[7:8], v5, 1
	v_lshrrev_b64 v[16:17], v2, v[52:53]
	v_bfi_b32 v4, v4, 0, 0
	v_bfi_b32 v3, v3, 0, v52
	v_cmp_eq_u64_e64 s[20:21], v[3:4], v[7:8]
	v_mov_b32_e32 v18, v17
	v_mov_b32_e32 v17, v16
	s_and_saveexec_b64 s[94:95], s[20:21]
; %bb.4794:                             ;   in Loop: Header=BB6_4155 Depth=2
	v_bfe_u32 v3, v16, 20, 1
	v_add_co_u32_e64 v3, s[20:21], v16, v3
	v_add_co_u32_e64 v17, s[20:21], -1, v3
; %bb.4795:                             ;   in Loop: Header=BB6_4155 Depth=2
	s_or_b64 exec, exec, s[94:95]
	v_add_u32_e32 v1, 0xffffff81, v1
	v_mov_b32_e32 v3, 0xffffff82
	v_cndmask_b32_e32 v1, v1, v3, vcc
	v_lshrrev_b32_e32 v3, 23, v16
	v_add3_u32 v3, v2, v1, v3
	v_add_u32_e32 v2, 6, v3
	v_and_b32_e32 v1, 0xfffff, v17
	v_add_u32_e32 v52, v1, v16
	v_cmp_ne_u32_e32 vcc, 0, v2
                                        ; implicit-def: $vgpr16_vgpr17
                                        ; implicit-def: $vgpr1
	s_and_saveexec_b64 s[20:21], vcc
	s_xor_b64 s[20:21], exec, s[20:21]
; %bb.4796:                             ;   in Loop: Header=BB6_4155 Depth=2
	v_cmp_lt_u64_e32 vcc, s[60:61], v[52:53]
	v_add_u32_e32 v1, 7, v3
	v_cndmask_b32_e32 v1, v2, v1, vcc
	v_cndmask_b32_e64 v2, 0, 1, vcc
	v_lshrrev_b64 v[16:17], v2, v[52:53]
; %bb.4797:                             ;   in Loop: Header=BB6_4155 Depth=2
	s_andn2_saveexec_b64 s[20:21], s[20:21]
; %bb.4798:                             ;   in Loop: Header=BB6_4155 Depth=2
	v_mov_b32_e32 v16, v52
	v_bfe_u32 v1, v52, 23, 1
	v_mov_b32_e32 v17, v53
; %bb.4799:                             ;   in Loop: Header=BB6_4155 Depth=2
	s_or_b64 exec, exec, s[20:21]
	v_lshrrev_b64 v[2:3], 20, v[16:17]
	v_cmp_gt_i32_e32 vcc, 16, v1
	v_cndmask_b32_e32 v17, 0, v3, vcc
	v_cndmask_b32_e32 v16, 7, v2, vcc
	v_cmp_ne_u64_e32 vcc, 0, v[16:17]
	v_cmp_ne_u32_e64 s[20:21], 0, v1
	s_or_b64 s[20:21], s[20:21], vcc
                                        ; implicit-def: $vgpr2
                                        ; kill: killed $vgpr2
	s_and_saveexec_b64 s[94:95], s[20:21]
	s_xor_b64 s[20:21], exec, s[94:95]
	s_cbranch_execz .LBB6_4801
; %bb.4800:                             ;   in Loop: Header=BB6_4155 Depth=2
	v_min_i32_e32 v1, 15, v1
	v_lshl_or_b32 v0, v1, 3, v0
	v_and_or_b32 v0, v16, 7, v0
	buffer_store_dword v0, off, s[0:3], s33 offset:128 ; 4-byte Folded Spill
                                        ; implicit-def: $vgpr0
.LBB6_4801:                             ;   in Loop: Header=BB6_4155 Depth=2
	s_andn2_saveexec_b64 s[20:21], s[20:21]
	s_cbranch_execz .LBB6_4803
; %bb.4802:                             ;   in Loop: Header=BB6_4155 Depth=2
	buffer_store_dword v0, off, s[0:3], s33 offset:128 ; 4-byte Folded Spill
.LBB6_4803:                             ;   in Loop: Header=BB6_4155 Depth=2
	s_or_b64 exec, exec, s[20:21]
.LBB6_4804:                             ;   in Loop: Header=BB6_4155 Depth=2
	s_or_b64 exec, exec, s[92:93]
                                        ; implicit-def: $vgpr0
.LBB6_4805:                             ;   in Loop: Header=BB6_4155 Depth=2
	s_andn2_saveexec_b64 s[20:21], s[90:91]
	s_cbranch_execz .LBB6_4807
; %bb.4806:                             ;   in Loop: Header=BB6_4155 Depth=2
	v_or_b32_e32 v0, 0x7e, v0
	buffer_store_dword v0, off, s[0:3], s33 offset:128 ; 4-byte Folded Spill
.LBB6_4807:                             ;   in Loop: Header=BB6_4155 Depth=2
	s_or_b64 exec, exec, s[20:21]
                                        ; implicit-def: $vgpr1
.LBB6_4808:                             ;   in Loop: Header=BB6_4155 Depth=2
	s_andn2_saveexec_b64 s[20:21], s[88:89]
	s_cbranch_execz .LBB6_4810
; %bb.4809:                             ;   in Loop: Header=BB6_4155 Depth=2
	v_or_b32_sdwa v0, v1, s51 dst_sel:DWORD dst_unused:UNUSED_PAD src0_sel:BYTE_3 src1_sel:DWORD
	buffer_store_dword v0, off, s[0:3], s33 offset:128 ; 4-byte Folded Spill
.LBB6_4810:                             ;   in Loop: Header=BB6_4155 Depth=2
	s_or_b64 exec, exec, s[20:21]
	flat_load_ubyte v0, v[10:11] offset:1600 glc slc
	v_mov_b32_e32 v1, 0
	s_waitcnt vmcnt(0) lgkmcnt(0)
	v_cmp_ne_u16_e32 vcc, 0, v0
	s_and_saveexec_b64 s[20:21], vcc
	s_cbranch_execz .LBB6_4816
; %bb.4811:                             ;   in Loop: Header=BB6_4155 Depth=2
	v_cmp_ne_u16_e32 vcc, s53, v0
	v_bfrev_b32_e32 v1, 1
	s_and_saveexec_b64 s[88:89], vcc
	s_cbranch_execz .LBB6_4815
; %bb.4812:                             ;   in Loop: Header=BB6_4155 Depth=2
	v_and_b32_e32 v16, 0xffff, v0
	v_and_b32_e32 v2, 0x7f, v16
	v_cmp_ne_u32_e32 vcc, s51, v2
	v_mov_b32_e32 v1, 0x7f800001
	s_and_saveexec_b64 s[90:91], vcc
	s_cbranch_execz .LBB6_4814
; %bb.4813:                             ;   in Loop: Header=BB6_4155 Depth=2
	v_and_b32_e32 v3, 7, v16
	v_ffbh_u32_e32 v1, v3
	v_min_u32_e32 v5, 32, v1
	v_subrev_u32_e32 v1, 28, v5
	v_lshrrev_b32_e32 v4, 3, v2
	v_cmp_gt_u32_e32 vcc, 8, v2
	v_lshlrev_b64 v[1:2], v1, v[16:17]
	v_sub_u32_e32 v2, 29, v5
	v_and_b32_e32 v1, 7, v1
	v_cndmask_b32_e32 v2, v4, v2, vcc
	v_cndmask_b32_e32 v1, v3, v1, vcc
	v_lshlrev_b32_e32 v0, 24, v0
	v_bfrev_b32_e32 v3, 60
	v_lshlrev_b32_e32 v1, 20, v1
	v_and_b32_e32 v0, 0x80000000, v0
	v_lshl_add_u32 v2, v2, 23, v3
	v_or3_b32 v1, v0, v2, v1
.LBB6_4814:                             ;   in Loop: Header=BB6_4155 Depth=2
	s_or_b64 exec, exec, s[90:91]
.LBB6_4815:                             ;   in Loop: Header=BB6_4155 Depth=2
	s_or_b64 exec, exec, s[88:89]
.LBB6_4816:                             ;   in Loop: Header=BB6_4155 Depth=2
	s_or_b64 exec, exec, s[20:21]
	v_mul_f32_e32 v1, s30, v1
	v_and_b32_e32 v52, 0x7f800000, v1
	v_cmp_ne_u64_e32 vcc, s[56:57], v[52:53]
                                        ; implicit-def: $vgpr0
                                        ; kill: killed $vgpr0
	s_and_saveexec_b64 s[20:21], vcc
	s_xor_b64 s[88:89], exec, s[20:21]
	s_cbranch_execz .LBB6_4834
; %bb.4817:                             ;   in Loop: Header=BB6_4155 Depth=2
	v_and_b32_e32 v52, 0x7fffffff, v1
	v_cmp_gt_u64_e32 vcc, s[58:59], v[52:53]
	v_and_b32_sdwa v0, v1, s53 dst_sel:DWORD dst_unused:UNUSED_PAD src0_sel:BYTE_3 src1_sel:DWORD
                                        ; implicit-def: $vgpr2
                                        ; kill: killed $vgpr2
	s_and_saveexec_b64 s[20:21], vcc
	s_xor_b64 s[90:91], exec, s[20:21]
	s_cbranch_execz .LBB6_4831
; %bb.4818:                             ;   in Loop: Header=BB6_4155 Depth=2
	v_cmp_ne_u32_e32 vcc, 0, v1
	v_mov_b32_e32 v2, 0
	buffer_store_dword v2, off, s[0:3], s33 offset:124 ; 4-byte Folded Spill
	s_and_saveexec_b64 s[92:93], vcc
	s_cbranch_execz .LBB6_4830
; %bb.4819:                             ;   in Loop: Header=BB6_4155 Depth=2
	v_and_b32_e32 v3, 0x7fffff, v1
	v_bfe_u32 v1, v1, 23, 8
	v_cmp_gt_u32_e64 s[20:21], s54, v1
	v_sub_u32_e32 v2, 0x79, v1
	v_cmp_eq_u32_e32 vcc, 0, v1
	v_cndmask_b32_e64 v2, 0, v2, s[20:21]
	v_mov_b32_e32 v5, 0x78
	v_or_b32_e32 v4, 0x800000, v3
	v_cndmask_b32_e32 v2, v2, v5, vcc
	v_cndmask_b32_e32 v52, v4, v3, vcc
	v_add_u32_e32 v3, 20, v2
	v_lshlrev_b64 v[3:4], v3, -1
	v_add_u32_e32 v5, 19, v2
	v_lshlrev_b64 v[7:8], v5, 1
	v_lshrrev_b64 v[16:17], v2, v[52:53]
	v_bfi_b32 v4, v4, 0, 0
	v_bfi_b32 v3, v3, 0, v52
	v_cmp_eq_u64_e64 s[20:21], v[3:4], v[7:8]
	v_mov_b32_e32 v18, v17
	v_mov_b32_e32 v17, v16
	s_and_saveexec_b64 s[94:95], s[20:21]
; %bb.4820:                             ;   in Loop: Header=BB6_4155 Depth=2
	v_bfe_u32 v3, v16, 20, 1
	v_add_co_u32_e64 v3, s[20:21], v16, v3
	v_add_co_u32_e64 v17, s[20:21], -1, v3
; %bb.4821:                             ;   in Loop: Header=BB6_4155 Depth=2
	s_or_b64 exec, exec, s[94:95]
	v_add_u32_e32 v1, 0xffffff81, v1
	v_mov_b32_e32 v3, 0xffffff82
	v_cndmask_b32_e32 v1, v1, v3, vcc
	v_lshrrev_b32_e32 v3, 23, v16
	v_add3_u32 v3, v2, v1, v3
	v_add_u32_e32 v2, 6, v3
	v_and_b32_e32 v1, 0xfffff, v17
	v_add_u32_e32 v52, v1, v16
	v_cmp_ne_u32_e32 vcc, 0, v2
                                        ; implicit-def: $vgpr16_vgpr17
                                        ; implicit-def: $vgpr1
	s_and_saveexec_b64 s[20:21], vcc
	s_xor_b64 s[20:21], exec, s[20:21]
; %bb.4822:                             ;   in Loop: Header=BB6_4155 Depth=2
	v_cmp_lt_u64_e32 vcc, s[60:61], v[52:53]
	v_add_u32_e32 v1, 7, v3
	v_cndmask_b32_e32 v1, v2, v1, vcc
	v_cndmask_b32_e64 v2, 0, 1, vcc
	v_lshrrev_b64 v[16:17], v2, v[52:53]
; %bb.4823:                             ;   in Loop: Header=BB6_4155 Depth=2
	s_andn2_saveexec_b64 s[20:21], s[20:21]
; %bb.4824:                             ;   in Loop: Header=BB6_4155 Depth=2
	v_mov_b32_e32 v16, v52
	v_bfe_u32 v1, v52, 23, 1
	v_mov_b32_e32 v17, v53
; %bb.4825:                             ;   in Loop: Header=BB6_4155 Depth=2
	s_or_b64 exec, exec, s[20:21]
	v_lshrrev_b64 v[2:3], 20, v[16:17]
	v_cmp_gt_i32_e32 vcc, 16, v1
	v_cndmask_b32_e32 v17, 0, v3, vcc
	v_cndmask_b32_e32 v16, 7, v2, vcc
	v_cmp_ne_u64_e32 vcc, 0, v[16:17]
	v_cmp_ne_u32_e64 s[20:21], 0, v1
	s_or_b64 s[20:21], s[20:21], vcc
                                        ; implicit-def: $vgpr2
                                        ; kill: killed $vgpr2
	s_and_saveexec_b64 s[94:95], s[20:21]
	s_xor_b64 s[20:21], exec, s[94:95]
	s_cbranch_execz .LBB6_4827
; %bb.4826:                             ;   in Loop: Header=BB6_4155 Depth=2
	v_min_i32_e32 v1, 15, v1
	v_lshl_or_b32 v0, v1, 3, v0
	v_and_or_b32 v0, v16, 7, v0
	buffer_store_dword v0, off, s[0:3], s33 offset:124 ; 4-byte Folded Spill
                                        ; implicit-def: $vgpr0
.LBB6_4827:                             ;   in Loop: Header=BB6_4155 Depth=2
	s_andn2_saveexec_b64 s[20:21], s[20:21]
	s_cbranch_execz .LBB6_4829
; %bb.4828:                             ;   in Loop: Header=BB6_4155 Depth=2
	buffer_store_dword v0, off, s[0:3], s33 offset:124 ; 4-byte Folded Spill
.LBB6_4829:                             ;   in Loop: Header=BB6_4155 Depth=2
	s_or_b64 exec, exec, s[20:21]
.LBB6_4830:                             ;   in Loop: Header=BB6_4155 Depth=2
	s_or_b64 exec, exec, s[92:93]
                                        ; implicit-def: $vgpr0
.LBB6_4831:                             ;   in Loop: Header=BB6_4155 Depth=2
	s_andn2_saveexec_b64 s[20:21], s[90:91]
	s_cbranch_execz .LBB6_4833
; %bb.4832:                             ;   in Loop: Header=BB6_4155 Depth=2
	v_or_b32_e32 v0, 0x7e, v0
	buffer_store_dword v0, off, s[0:3], s33 offset:124 ; 4-byte Folded Spill
.LBB6_4833:                             ;   in Loop: Header=BB6_4155 Depth=2
	s_or_b64 exec, exec, s[20:21]
                                        ; implicit-def: $vgpr1
.LBB6_4834:                             ;   in Loop: Header=BB6_4155 Depth=2
	s_andn2_saveexec_b64 s[20:21], s[88:89]
	s_cbranch_execz .LBB6_4836
; %bb.4835:                             ;   in Loop: Header=BB6_4155 Depth=2
	v_or_b32_sdwa v0, v1, s51 dst_sel:DWORD dst_unused:UNUSED_PAD src0_sel:BYTE_3 src1_sel:DWORD
	buffer_store_dword v0, off, s[0:3], s33 offset:124 ; 4-byte Folded Spill
.LBB6_4836:                             ;   in Loop: Header=BB6_4155 Depth=2
	s_or_b64 exec, exec, s[20:21]
	flat_load_ubyte v0, v[10:11] offset:1664 glc slc
	v_mov_b32_e32 v1, 0
	s_waitcnt vmcnt(0) lgkmcnt(0)
	v_cmp_ne_u16_e32 vcc, 0, v0
	s_and_saveexec_b64 s[20:21], vcc
	s_cbranch_execz .LBB6_4842
; %bb.4837:                             ;   in Loop: Header=BB6_4155 Depth=2
	v_cmp_ne_u16_e32 vcc, s53, v0
	v_bfrev_b32_e32 v1, 1
	s_and_saveexec_b64 s[88:89], vcc
	s_cbranch_execz .LBB6_4841
; %bb.4838:                             ;   in Loop: Header=BB6_4155 Depth=2
	v_and_b32_e32 v16, 0xffff, v0
	v_and_b32_e32 v2, 0x7f, v16
	v_cmp_ne_u32_e32 vcc, s51, v2
	v_mov_b32_e32 v1, 0x7f800001
	s_and_saveexec_b64 s[90:91], vcc
	s_cbranch_execz .LBB6_4840
; %bb.4839:                             ;   in Loop: Header=BB6_4155 Depth=2
	v_and_b32_e32 v3, 7, v16
	v_ffbh_u32_e32 v1, v3
	v_min_u32_e32 v5, 32, v1
	v_subrev_u32_e32 v1, 28, v5
	v_lshrrev_b32_e32 v4, 3, v2
	v_cmp_gt_u32_e32 vcc, 8, v2
	v_lshlrev_b64 v[1:2], v1, v[16:17]
	v_sub_u32_e32 v2, 29, v5
	v_and_b32_e32 v1, 7, v1
	v_cndmask_b32_e32 v2, v4, v2, vcc
	v_cndmask_b32_e32 v1, v3, v1, vcc
	v_lshlrev_b32_e32 v0, 24, v0
	v_bfrev_b32_e32 v3, 60
	v_lshlrev_b32_e32 v1, 20, v1
	v_and_b32_e32 v0, 0x80000000, v0
	v_lshl_add_u32 v2, v2, 23, v3
	v_or3_b32 v1, v0, v2, v1
.LBB6_4840:                             ;   in Loop: Header=BB6_4155 Depth=2
	s_or_b64 exec, exec, s[90:91]
.LBB6_4841:                             ;   in Loop: Header=BB6_4155 Depth=2
	s_or_b64 exec, exec, s[88:89]
.LBB6_4842:                             ;   in Loop: Header=BB6_4155 Depth=2
	s_or_b64 exec, exec, s[20:21]
	v_mul_f32_e32 v1, s30, v1
	v_and_b32_e32 v52, 0x7f800000, v1
	v_cmp_ne_u64_e32 vcc, s[56:57], v[52:53]
                                        ; implicit-def: $vgpr0
                                        ; kill: killed $vgpr0
	s_and_saveexec_b64 s[20:21], vcc
	s_xor_b64 s[88:89], exec, s[20:21]
	s_cbranch_execz .LBB6_4860
; %bb.4843:                             ;   in Loop: Header=BB6_4155 Depth=2
	v_and_b32_e32 v52, 0x7fffffff, v1
	v_cmp_gt_u64_e32 vcc, s[58:59], v[52:53]
	v_and_b32_sdwa v0, v1, s53 dst_sel:DWORD dst_unused:UNUSED_PAD src0_sel:BYTE_3 src1_sel:DWORD
                                        ; implicit-def: $vgpr2
                                        ; kill: killed $vgpr2
	s_and_saveexec_b64 s[20:21], vcc
	s_xor_b64 s[90:91], exec, s[20:21]
	s_cbranch_execz .LBB6_4857
; %bb.4844:                             ;   in Loop: Header=BB6_4155 Depth=2
	v_cmp_ne_u32_e32 vcc, 0, v1
	v_mov_b32_e32 v2, 0
	buffer_store_dword v2, off, s[0:3], s33 offset:120 ; 4-byte Folded Spill
	s_and_saveexec_b64 s[92:93], vcc
	s_cbranch_execz .LBB6_4856
; %bb.4845:                             ;   in Loop: Header=BB6_4155 Depth=2
	v_and_b32_e32 v3, 0x7fffff, v1
	v_bfe_u32 v1, v1, 23, 8
	v_cmp_gt_u32_e64 s[20:21], s54, v1
	v_sub_u32_e32 v2, 0x79, v1
	v_cmp_eq_u32_e32 vcc, 0, v1
	v_cndmask_b32_e64 v2, 0, v2, s[20:21]
	v_mov_b32_e32 v5, 0x78
	v_or_b32_e32 v4, 0x800000, v3
	v_cndmask_b32_e32 v2, v2, v5, vcc
	v_cndmask_b32_e32 v52, v4, v3, vcc
	v_add_u32_e32 v3, 20, v2
	v_lshlrev_b64 v[3:4], v3, -1
	v_add_u32_e32 v5, 19, v2
	v_lshlrev_b64 v[7:8], v5, 1
	v_lshrrev_b64 v[16:17], v2, v[52:53]
	v_bfi_b32 v4, v4, 0, 0
	v_bfi_b32 v3, v3, 0, v52
	v_cmp_eq_u64_e64 s[20:21], v[3:4], v[7:8]
	v_mov_b32_e32 v18, v17
	v_mov_b32_e32 v17, v16
	s_and_saveexec_b64 s[94:95], s[20:21]
; %bb.4846:                             ;   in Loop: Header=BB6_4155 Depth=2
	v_bfe_u32 v3, v16, 20, 1
	v_add_co_u32_e64 v3, s[20:21], v16, v3
	v_add_co_u32_e64 v17, s[20:21], -1, v3
; %bb.4847:                             ;   in Loop: Header=BB6_4155 Depth=2
	s_or_b64 exec, exec, s[94:95]
	v_add_u32_e32 v1, 0xffffff81, v1
	v_mov_b32_e32 v3, 0xffffff82
	v_cndmask_b32_e32 v1, v1, v3, vcc
	v_lshrrev_b32_e32 v3, 23, v16
	v_add3_u32 v3, v2, v1, v3
	v_add_u32_e32 v2, 6, v3
	v_and_b32_e32 v1, 0xfffff, v17
	v_add_u32_e32 v52, v1, v16
	v_cmp_ne_u32_e32 vcc, 0, v2
                                        ; implicit-def: $vgpr16_vgpr17
                                        ; implicit-def: $vgpr1
	s_and_saveexec_b64 s[20:21], vcc
	s_xor_b64 s[20:21], exec, s[20:21]
; %bb.4848:                             ;   in Loop: Header=BB6_4155 Depth=2
	v_cmp_lt_u64_e32 vcc, s[60:61], v[52:53]
	v_add_u32_e32 v1, 7, v3
	v_cndmask_b32_e32 v1, v2, v1, vcc
	v_cndmask_b32_e64 v2, 0, 1, vcc
	v_lshrrev_b64 v[16:17], v2, v[52:53]
; %bb.4849:                             ;   in Loop: Header=BB6_4155 Depth=2
	s_andn2_saveexec_b64 s[20:21], s[20:21]
; %bb.4850:                             ;   in Loop: Header=BB6_4155 Depth=2
	v_mov_b32_e32 v16, v52
	v_bfe_u32 v1, v52, 23, 1
	v_mov_b32_e32 v17, v53
; %bb.4851:                             ;   in Loop: Header=BB6_4155 Depth=2
	s_or_b64 exec, exec, s[20:21]
	v_lshrrev_b64 v[2:3], 20, v[16:17]
	v_cmp_gt_i32_e32 vcc, 16, v1
	v_cndmask_b32_e32 v17, 0, v3, vcc
	v_cndmask_b32_e32 v16, 7, v2, vcc
	v_cmp_ne_u64_e32 vcc, 0, v[16:17]
	v_cmp_ne_u32_e64 s[20:21], 0, v1
	s_or_b64 s[20:21], s[20:21], vcc
                                        ; implicit-def: $vgpr2
                                        ; kill: killed $vgpr2
	s_and_saveexec_b64 s[94:95], s[20:21]
	s_xor_b64 s[20:21], exec, s[94:95]
	s_cbranch_execz .LBB6_4853
; %bb.4852:                             ;   in Loop: Header=BB6_4155 Depth=2
	v_min_i32_e32 v1, 15, v1
	v_lshl_or_b32 v0, v1, 3, v0
	v_and_or_b32 v0, v16, 7, v0
	buffer_store_dword v0, off, s[0:3], s33 offset:120 ; 4-byte Folded Spill
                                        ; implicit-def: $vgpr0
.LBB6_4853:                             ;   in Loop: Header=BB6_4155 Depth=2
	s_andn2_saveexec_b64 s[20:21], s[20:21]
	s_cbranch_execz .LBB6_4855
; %bb.4854:                             ;   in Loop: Header=BB6_4155 Depth=2
	buffer_store_dword v0, off, s[0:3], s33 offset:120 ; 4-byte Folded Spill
.LBB6_4855:                             ;   in Loop: Header=BB6_4155 Depth=2
	s_or_b64 exec, exec, s[20:21]
.LBB6_4856:                             ;   in Loop: Header=BB6_4155 Depth=2
	s_or_b64 exec, exec, s[92:93]
                                        ; implicit-def: $vgpr0
.LBB6_4857:                             ;   in Loop: Header=BB6_4155 Depth=2
	s_andn2_saveexec_b64 s[20:21], s[90:91]
	s_cbranch_execz .LBB6_4859
; %bb.4858:                             ;   in Loop: Header=BB6_4155 Depth=2
	v_or_b32_e32 v0, 0x7e, v0
	buffer_store_dword v0, off, s[0:3], s33 offset:120 ; 4-byte Folded Spill
.LBB6_4859:                             ;   in Loop: Header=BB6_4155 Depth=2
	s_or_b64 exec, exec, s[20:21]
                                        ; implicit-def: $vgpr1
.LBB6_4860:                             ;   in Loop: Header=BB6_4155 Depth=2
	s_andn2_saveexec_b64 s[20:21], s[88:89]
	s_cbranch_execz .LBB6_4862
; %bb.4861:                             ;   in Loop: Header=BB6_4155 Depth=2
	v_or_b32_sdwa v0, v1, s51 dst_sel:DWORD dst_unused:UNUSED_PAD src0_sel:BYTE_3 src1_sel:DWORD
	buffer_store_dword v0, off, s[0:3], s33 offset:120 ; 4-byte Folded Spill
.LBB6_4862:                             ;   in Loop: Header=BB6_4155 Depth=2
	s_or_b64 exec, exec, s[20:21]
	flat_load_ubyte v0, v[10:11] offset:1728 glc slc
	v_mov_b32_e32 v1, 0
	s_waitcnt vmcnt(0) lgkmcnt(0)
	v_cmp_ne_u16_e32 vcc, 0, v0
	s_and_saveexec_b64 s[20:21], vcc
	s_cbranch_execz .LBB6_4868
; %bb.4863:                             ;   in Loop: Header=BB6_4155 Depth=2
	v_cmp_ne_u16_e32 vcc, s53, v0
	v_bfrev_b32_e32 v1, 1
	s_and_saveexec_b64 s[88:89], vcc
	s_cbranch_execz .LBB6_4867
; %bb.4864:                             ;   in Loop: Header=BB6_4155 Depth=2
	v_and_b32_e32 v16, 0xffff, v0
	v_and_b32_e32 v2, 0x7f, v16
	v_cmp_ne_u32_e32 vcc, s51, v2
	v_mov_b32_e32 v1, 0x7f800001
	s_and_saveexec_b64 s[90:91], vcc
	s_cbranch_execz .LBB6_4866
; %bb.4865:                             ;   in Loop: Header=BB6_4155 Depth=2
	v_and_b32_e32 v3, 7, v16
	v_ffbh_u32_e32 v1, v3
	v_min_u32_e32 v5, 32, v1
	v_subrev_u32_e32 v1, 28, v5
	v_lshrrev_b32_e32 v4, 3, v2
	v_cmp_gt_u32_e32 vcc, 8, v2
	v_lshlrev_b64 v[1:2], v1, v[16:17]
	v_sub_u32_e32 v2, 29, v5
	v_and_b32_e32 v1, 7, v1
	v_cndmask_b32_e32 v2, v4, v2, vcc
	v_cndmask_b32_e32 v1, v3, v1, vcc
	v_lshlrev_b32_e32 v0, 24, v0
	v_bfrev_b32_e32 v3, 60
	v_lshlrev_b32_e32 v1, 20, v1
	v_and_b32_e32 v0, 0x80000000, v0
	v_lshl_add_u32 v2, v2, 23, v3
	v_or3_b32 v1, v0, v2, v1
.LBB6_4866:                             ;   in Loop: Header=BB6_4155 Depth=2
	s_or_b64 exec, exec, s[90:91]
.LBB6_4867:                             ;   in Loop: Header=BB6_4155 Depth=2
	s_or_b64 exec, exec, s[88:89]
.LBB6_4868:                             ;   in Loop: Header=BB6_4155 Depth=2
	s_or_b64 exec, exec, s[20:21]
	v_mul_f32_e32 v1, s30, v1
	v_and_b32_e32 v52, 0x7f800000, v1
	v_cmp_ne_u64_e32 vcc, s[56:57], v[52:53]
                                        ; implicit-def: $vgpr0
                                        ; kill: killed $vgpr0
	s_and_saveexec_b64 s[20:21], vcc
	s_xor_b64 s[88:89], exec, s[20:21]
	s_cbranch_execz .LBB6_4886
; %bb.4869:                             ;   in Loop: Header=BB6_4155 Depth=2
	v_and_b32_e32 v52, 0x7fffffff, v1
	v_cmp_gt_u64_e32 vcc, s[58:59], v[52:53]
	v_and_b32_sdwa v0, v1, s53 dst_sel:DWORD dst_unused:UNUSED_PAD src0_sel:BYTE_3 src1_sel:DWORD
                                        ; implicit-def: $vgpr2
                                        ; kill: killed $vgpr2
	s_and_saveexec_b64 s[20:21], vcc
	s_xor_b64 s[90:91], exec, s[20:21]
	s_cbranch_execz .LBB6_4883
; %bb.4870:                             ;   in Loop: Header=BB6_4155 Depth=2
	v_cmp_ne_u32_e32 vcc, 0, v1
	v_mov_b32_e32 v2, 0
	buffer_store_dword v2, off, s[0:3], s33 offset:116 ; 4-byte Folded Spill
	s_and_saveexec_b64 s[92:93], vcc
	s_cbranch_execz .LBB6_4882
; %bb.4871:                             ;   in Loop: Header=BB6_4155 Depth=2
	v_and_b32_e32 v3, 0x7fffff, v1
	v_bfe_u32 v1, v1, 23, 8
	v_cmp_gt_u32_e64 s[20:21], s54, v1
	v_sub_u32_e32 v2, 0x79, v1
	v_cmp_eq_u32_e32 vcc, 0, v1
	v_cndmask_b32_e64 v2, 0, v2, s[20:21]
	v_mov_b32_e32 v5, 0x78
	v_or_b32_e32 v4, 0x800000, v3
	v_cndmask_b32_e32 v2, v2, v5, vcc
	v_cndmask_b32_e32 v52, v4, v3, vcc
	v_add_u32_e32 v3, 20, v2
	v_lshlrev_b64 v[3:4], v3, -1
	v_add_u32_e32 v5, 19, v2
	v_lshlrev_b64 v[7:8], v5, 1
	v_lshrrev_b64 v[16:17], v2, v[52:53]
	v_bfi_b32 v4, v4, 0, 0
	v_bfi_b32 v3, v3, 0, v52
	v_cmp_eq_u64_e64 s[20:21], v[3:4], v[7:8]
	v_mov_b32_e32 v18, v17
	v_mov_b32_e32 v17, v16
	s_and_saveexec_b64 s[94:95], s[20:21]
; %bb.4872:                             ;   in Loop: Header=BB6_4155 Depth=2
	v_bfe_u32 v3, v16, 20, 1
	v_add_co_u32_e64 v3, s[20:21], v16, v3
	v_add_co_u32_e64 v17, s[20:21], -1, v3
; %bb.4873:                             ;   in Loop: Header=BB6_4155 Depth=2
	s_or_b64 exec, exec, s[94:95]
	v_add_u32_e32 v1, 0xffffff81, v1
	v_mov_b32_e32 v3, 0xffffff82
	v_cndmask_b32_e32 v1, v1, v3, vcc
	v_lshrrev_b32_e32 v3, 23, v16
	v_add3_u32 v3, v2, v1, v3
	v_add_u32_e32 v2, 6, v3
	v_and_b32_e32 v1, 0xfffff, v17
	v_add_u32_e32 v52, v1, v16
	v_cmp_ne_u32_e32 vcc, 0, v2
                                        ; implicit-def: $vgpr16_vgpr17
                                        ; implicit-def: $vgpr1
	s_and_saveexec_b64 s[20:21], vcc
	s_xor_b64 s[20:21], exec, s[20:21]
; %bb.4874:                             ;   in Loop: Header=BB6_4155 Depth=2
	v_cmp_lt_u64_e32 vcc, s[60:61], v[52:53]
	v_add_u32_e32 v1, 7, v3
	v_cndmask_b32_e32 v1, v2, v1, vcc
	v_cndmask_b32_e64 v2, 0, 1, vcc
	v_lshrrev_b64 v[16:17], v2, v[52:53]
; %bb.4875:                             ;   in Loop: Header=BB6_4155 Depth=2
	s_andn2_saveexec_b64 s[20:21], s[20:21]
; %bb.4876:                             ;   in Loop: Header=BB6_4155 Depth=2
	v_mov_b32_e32 v16, v52
	v_bfe_u32 v1, v52, 23, 1
	v_mov_b32_e32 v17, v53
; %bb.4877:                             ;   in Loop: Header=BB6_4155 Depth=2
	s_or_b64 exec, exec, s[20:21]
	v_lshrrev_b64 v[2:3], 20, v[16:17]
	v_cmp_gt_i32_e32 vcc, 16, v1
	v_cndmask_b32_e32 v17, 0, v3, vcc
	v_cndmask_b32_e32 v16, 7, v2, vcc
	v_cmp_ne_u64_e32 vcc, 0, v[16:17]
	v_cmp_ne_u32_e64 s[20:21], 0, v1
	s_or_b64 s[20:21], s[20:21], vcc
                                        ; implicit-def: $vgpr2
                                        ; kill: killed $vgpr2
	s_and_saveexec_b64 s[94:95], s[20:21]
	s_xor_b64 s[20:21], exec, s[94:95]
	s_cbranch_execz .LBB6_4879
; %bb.4878:                             ;   in Loop: Header=BB6_4155 Depth=2
	v_min_i32_e32 v1, 15, v1
	v_lshl_or_b32 v0, v1, 3, v0
	v_and_or_b32 v0, v16, 7, v0
	buffer_store_dword v0, off, s[0:3], s33 offset:116 ; 4-byte Folded Spill
                                        ; implicit-def: $vgpr0
.LBB6_4879:                             ;   in Loop: Header=BB6_4155 Depth=2
	s_andn2_saveexec_b64 s[20:21], s[20:21]
	s_cbranch_execz .LBB6_4881
; %bb.4880:                             ;   in Loop: Header=BB6_4155 Depth=2
	buffer_store_dword v0, off, s[0:3], s33 offset:116 ; 4-byte Folded Spill
.LBB6_4881:                             ;   in Loop: Header=BB6_4155 Depth=2
	s_or_b64 exec, exec, s[20:21]
.LBB6_4882:                             ;   in Loop: Header=BB6_4155 Depth=2
	s_or_b64 exec, exec, s[92:93]
                                        ; implicit-def: $vgpr0
.LBB6_4883:                             ;   in Loop: Header=BB6_4155 Depth=2
	s_andn2_saveexec_b64 s[20:21], s[90:91]
	s_cbranch_execz .LBB6_4885
; %bb.4884:                             ;   in Loop: Header=BB6_4155 Depth=2
	v_or_b32_e32 v0, 0x7e, v0
	buffer_store_dword v0, off, s[0:3], s33 offset:116 ; 4-byte Folded Spill
.LBB6_4885:                             ;   in Loop: Header=BB6_4155 Depth=2
	s_or_b64 exec, exec, s[20:21]
                                        ; implicit-def: $vgpr1
.LBB6_4886:                             ;   in Loop: Header=BB6_4155 Depth=2
	s_andn2_saveexec_b64 s[20:21], s[88:89]
	s_cbranch_execz .LBB6_4888
; %bb.4887:                             ;   in Loop: Header=BB6_4155 Depth=2
	v_or_b32_sdwa v0, v1, s51 dst_sel:DWORD dst_unused:UNUSED_PAD src0_sel:BYTE_3 src1_sel:DWORD
	buffer_store_dword v0, off, s[0:3], s33 offset:116 ; 4-byte Folded Spill
.LBB6_4888:                             ;   in Loop: Header=BB6_4155 Depth=2
	s_or_b64 exec, exec, s[20:21]
	flat_load_ubyte v0, v[10:11] offset:1792 glc slc
	v_mov_b32_e32 v1, 0
	s_waitcnt vmcnt(0) lgkmcnt(0)
	v_cmp_ne_u16_e32 vcc, 0, v0
	s_and_saveexec_b64 s[20:21], vcc
	s_cbranch_execz .LBB6_4894
; %bb.4889:                             ;   in Loop: Header=BB6_4155 Depth=2
	v_cmp_ne_u16_e32 vcc, s53, v0
	v_bfrev_b32_e32 v1, 1
	s_and_saveexec_b64 s[88:89], vcc
	s_cbranch_execz .LBB6_4893
; %bb.4890:                             ;   in Loop: Header=BB6_4155 Depth=2
	v_and_b32_e32 v16, 0xffff, v0
	v_and_b32_e32 v2, 0x7f, v16
	v_cmp_ne_u32_e32 vcc, s51, v2
	v_mov_b32_e32 v1, 0x7f800001
	s_and_saveexec_b64 s[90:91], vcc
	s_cbranch_execz .LBB6_4892
; %bb.4891:                             ;   in Loop: Header=BB6_4155 Depth=2
	v_and_b32_e32 v3, 7, v16
	v_ffbh_u32_e32 v1, v3
	v_min_u32_e32 v5, 32, v1
	v_subrev_u32_e32 v1, 28, v5
	v_lshrrev_b32_e32 v4, 3, v2
	v_cmp_gt_u32_e32 vcc, 8, v2
	v_lshlrev_b64 v[1:2], v1, v[16:17]
	v_sub_u32_e32 v2, 29, v5
	v_and_b32_e32 v1, 7, v1
	v_cndmask_b32_e32 v2, v4, v2, vcc
	v_cndmask_b32_e32 v1, v3, v1, vcc
	v_lshlrev_b32_e32 v0, 24, v0
	v_bfrev_b32_e32 v3, 60
	v_lshlrev_b32_e32 v1, 20, v1
	v_and_b32_e32 v0, 0x80000000, v0
	v_lshl_add_u32 v2, v2, 23, v3
	v_or3_b32 v1, v0, v2, v1
.LBB6_4892:                             ;   in Loop: Header=BB6_4155 Depth=2
	s_or_b64 exec, exec, s[90:91]
.LBB6_4893:                             ;   in Loop: Header=BB6_4155 Depth=2
	s_or_b64 exec, exec, s[88:89]
.LBB6_4894:                             ;   in Loop: Header=BB6_4155 Depth=2
	s_or_b64 exec, exec, s[20:21]
	v_mul_f32_e32 v1, s30, v1
	v_and_b32_e32 v52, 0x7f800000, v1
	v_cmp_ne_u64_e32 vcc, s[56:57], v[52:53]
                                        ; implicit-def: $vgpr0
                                        ; kill: killed $vgpr0
	s_and_saveexec_b64 s[20:21], vcc
	s_xor_b64 s[88:89], exec, s[20:21]
	s_cbranch_execz .LBB6_4912
; %bb.4895:                             ;   in Loop: Header=BB6_4155 Depth=2
	v_and_b32_e32 v52, 0x7fffffff, v1
	v_cmp_gt_u64_e32 vcc, s[58:59], v[52:53]
	v_and_b32_sdwa v0, v1, s53 dst_sel:DWORD dst_unused:UNUSED_PAD src0_sel:BYTE_3 src1_sel:DWORD
                                        ; implicit-def: $vgpr2
                                        ; kill: killed $vgpr2
	s_and_saveexec_b64 s[20:21], vcc
	s_xor_b64 s[90:91], exec, s[20:21]
	s_cbranch_execz .LBB6_4909
; %bb.4896:                             ;   in Loop: Header=BB6_4155 Depth=2
	v_cmp_ne_u32_e32 vcc, 0, v1
	v_mov_b32_e32 v2, 0
	buffer_store_dword v2, off, s[0:3], s33 offset:112 ; 4-byte Folded Spill
	s_and_saveexec_b64 s[92:93], vcc
	s_cbranch_execz .LBB6_4908
; %bb.4897:                             ;   in Loop: Header=BB6_4155 Depth=2
	v_and_b32_e32 v3, 0x7fffff, v1
	v_bfe_u32 v1, v1, 23, 8
	v_cmp_gt_u32_e64 s[20:21], s54, v1
	v_sub_u32_e32 v2, 0x79, v1
	v_cmp_eq_u32_e32 vcc, 0, v1
	v_cndmask_b32_e64 v2, 0, v2, s[20:21]
	v_mov_b32_e32 v5, 0x78
	v_or_b32_e32 v4, 0x800000, v3
	v_cndmask_b32_e32 v2, v2, v5, vcc
	v_cndmask_b32_e32 v52, v4, v3, vcc
	v_add_u32_e32 v3, 20, v2
	v_lshlrev_b64 v[3:4], v3, -1
	v_add_u32_e32 v5, 19, v2
	v_lshlrev_b64 v[7:8], v5, 1
	v_lshrrev_b64 v[16:17], v2, v[52:53]
	v_bfi_b32 v4, v4, 0, 0
	v_bfi_b32 v3, v3, 0, v52
	v_cmp_eq_u64_e64 s[20:21], v[3:4], v[7:8]
	v_mov_b32_e32 v18, v17
	v_mov_b32_e32 v17, v16
	s_and_saveexec_b64 s[94:95], s[20:21]
; %bb.4898:                             ;   in Loop: Header=BB6_4155 Depth=2
	v_bfe_u32 v3, v16, 20, 1
	v_add_co_u32_e64 v3, s[20:21], v16, v3
	v_add_co_u32_e64 v17, s[20:21], -1, v3
; %bb.4899:                             ;   in Loop: Header=BB6_4155 Depth=2
	s_or_b64 exec, exec, s[94:95]
	v_add_u32_e32 v1, 0xffffff81, v1
	v_mov_b32_e32 v3, 0xffffff82
	v_cndmask_b32_e32 v1, v1, v3, vcc
	v_lshrrev_b32_e32 v3, 23, v16
	v_add3_u32 v3, v2, v1, v3
	v_add_u32_e32 v2, 6, v3
	v_and_b32_e32 v1, 0xfffff, v17
	v_add_u32_e32 v52, v1, v16
	v_cmp_ne_u32_e32 vcc, 0, v2
                                        ; implicit-def: $vgpr16_vgpr17
                                        ; implicit-def: $vgpr1
	s_and_saveexec_b64 s[20:21], vcc
	s_xor_b64 s[20:21], exec, s[20:21]
; %bb.4900:                             ;   in Loop: Header=BB6_4155 Depth=2
	v_cmp_lt_u64_e32 vcc, s[60:61], v[52:53]
	v_add_u32_e32 v1, 7, v3
	v_cndmask_b32_e32 v1, v2, v1, vcc
	v_cndmask_b32_e64 v2, 0, 1, vcc
	v_lshrrev_b64 v[16:17], v2, v[52:53]
; %bb.4901:                             ;   in Loop: Header=BB6_4155 Depth=2
	s_andn2_saveexec_b64 s[20:21], s[20:21]
; %bb.4902:                             ;   in Loop: Header=BB6_4155 Depth=2
	v_mov_b32_e32 v16, v52
	v_bfe_u32 v1, v52, 23, 1
	v_mov_b32_e32 v17, v53
; %bb.4903:                             ;   in Loop: Header=BB6_4155 Depth=2
	s_or_b64 exec, exec, s[20:21]
	v_lshrrev_b64 v[2:3], 20, v[16:17]
	v_cmp_gt_i32_e32 vcc, 16, v1
	v_cndmask_b32_e32 v17, 0, v3, vcc
	v_cndmask_b32_e32 v16, 7, v2, vcc
	v_cmp_ne_u64_e32 vcc, 0, v[16:17]
	v_cmp_ne_u32_e64 s[20:21], 0, v1
	s_or_b64 s[20:21], s[20:21], vcc
                                        ; implicit-def: $vgpr2
                                        ; kill: killed $vgpr2
	s_and_saveexec_b64 s[94:95], s[20:21]
	s_xor_b64 s[20:21], exec, s[94:95]
	s_cbranch_execz .LBB6_4905
; %bb.4904:                             ;   in Loop: Header=BB6_4155 Depth=2
	v_min_i32_e32 v1, 15, v1
	v_lshl_or_b32 v0, v1, 3, v0
	v_and_or_b32 v0, v16, 7, v0
	buffer_store_dword v0, off, s[0:3], s33 offset:112 ; 4-byte Folded Spill
                                        ; implicit-def: $vgpr0
.LBB6_4905:                             ;   in Loop: Header=BB6_4155 Depth=2
	s_andn2_saveexec_b64 s[20:21], s[20:21]
	s_cbranch_execz .LBB6_4907
; %bb.4906:                             ;   in Loop: Header=BB6_4155 Depth=2
	buffer_store_dword v0, off, s[0:3], s33 offset:112 ; 4-byte Folded Spill
.LBB6_4907:                             ;   in Loop: Header=BB6_4155 Depth=2
	s_or_b64 exec, exec, s[20:21]
.LBB6_4908:                             ;   in Loop: Header=BB6_4155 Depth=2
	s_or_b64 exec, exec, s[92:93]
                                        ; implicit-def: $vgpr0
.LBB6_4909:                             ;   in Loop: Header=BB6_4155 Depth=2
	s_andn2_saveexec_b64 s[20:21], s[90:91]
	s_cbranch_execz .LBB6_4911
; %bb.4910:                             ;   in Loop: Header=BB6_4155 Depth=2
	v_or_b32_e32 v0, 0x7e, v0
	buffer_store_dword v0, off, s[0:3], s33 offset:112 ; 4-byte Folded Spill
.LBB6_4911:                             ;   in Loop: Header=BB6_4155 Depth=2
	s_or_b64 exec, exec, s[20:21]
                                        ; implicit-def: $vgpr1
.LBB6_4912:                             ;   in Loop: Header=BB6_4155 Depth=2
	s_andn2_saveexec_b64 s[20:21], s[88:89]
	s_cbranch_execz .LBB6_4914
; %bb.4913:                             ;   in Loop: Header=BB6_4155 Depth=2
	v_or_b32_sdwa v0, v1, s51 dst_sel:DWORD dst_unused:UNUSED_PAD src0_sel:BYTE_3 src1_sel:DWORD
	buffer_store_dword v0, off, s[0:3], s33 offset:112 ; 4-byte Folded Spill
.LBB6_4914:                             ;   in Loop: Header=BB6_4155 Depth=2
	s_or_b64 exec, exec, s[20:21]
	flat_load_ubyte v0, v[10:11] offset:1856 glc slc
	v_mov_b32_e32 v1, 0
	s_waitcnt vmcnt(0) lgkmcnt(0)
	v_cmp_ne_u16_e32 vcc, 0, v0
	s_and_saveexec_b64 s[20:21], vcc
	s_cbranch_execz .LBB6_4920
; %bb.4915:                             ;   in Loop: Header=BB6_4155 Depth=2
	v_cmp_ne_u16_e32 vcc, s53, v0
	v_bfrev_b32_e32 v1, 1
	s_and_saveexec_b64 s[88:89], vcc
	s_cbranch_execz .LBB6_4919
; %bb.4916:                             ;   in Loop: Header=BB6_4155 Depth=2
	v_and_b32_e32 v16, 0xffff, v0
	v_and_b32_e32 v2, 0x7f, v16
	v_cmp_ne_u32_e32 vcc, s51, v2
	v_mov_b32_e32 v1, 0x7f800001
	s_and_saveexec_b64 s[90:91], vcc
	s_cbranch_execz .LBB6_4918
; %bb.4917:                             ;   in Loop: Header=BB6_4155 Depth=2
	v_and_b32_e32 v3, 7, v16
	v_ffbh_u32_e32 v1, v3
	v_min_u32_e32 v5, 32, v1
	v_subrev_u32_e32 v1, 28, v5
	v_lshrrev_b32_e32 v4, 3, v2
	v_cmp_gt_u32_e32 vcc, 8, v2
	v_lshlrev_b64 v[1:2], v1, v[16:17]
	v_sub_u32_e32 v2, 29, v5
	v_and_b32_e32 v1, 7, v1
	v_cndmask_b32_e32 v2, v4, v2, vcc
	v_cndmask_b32_e32 v1, v3, v1, vcc
	v_lshlrev_b32_e32 v0, 24, v0
	v_bfrev_b32_e32 v3, 60
	v_lshlrev_b32_e32 v1, 20, v1
	v_and_b32_e32 v0, 0x80000000, v0
	v_lshl_add_u32 v2, v2, 23, v3
	v_or3_b32 v1, v0, v2, v1
.LBB6_4918:                             ;   in Loop: Header=BB6_4155 Depth=2
	s_or_b64 exec, exec, s[90:91]
.LBB6_4919:                             ;   in Loop: Header=BB6_4155 Depth=2
	s_or_b64 exec, exec, s[88:89]
.LBB6_4920:                             ;   in Loop: Header=BB6_4155 Depth=2
	s_or_b64 exec, exec, s[20:21]
	v_mul_f32_e32 v1, s30, v1
	v_and_b32_e32 v52, 0x7f800000, v1
	v_cmp_ne_u64_e32 vcc, s[56:57], v[52:53]
                                        ; implicit-def: $vgpr0
                                        ; kill: killed $vgpr0
	s_and_saveexec_b64 s[20:21], vcc
	s_xor_b64 s[88:89], exec, s[20:21]
	s_cbranch_execz .LBB6_4938
; %bb.4921:                             ;   in Loop: Header=BB6_4155 Depth=2
	v_and_b32_e32 v52, 0x7fffffff, v1
	v_cmp_gt_u64_e32 vcc, s[58:59], v[52:53]
	v_and_b32_sdwa v0, v1, s53 dst_sel:DWORD dst_unused:UNUSED_PAD src0_sel:BYTE_3 src1_sel:DWORD
                                        ; implicit-def: $vgpr2
                                        ; kill: killed $vgpr2
	s_and_saveexec_b64 s[20:21], vcc
	s_xor_b64 s[90:91], exec, s[20:21]
	s_cbranch_execz .LBB6_4935
; %bb.4922:                             ;   in Loop: Header=BB6_4155 Depth=2
	v_cmp_ne_u32_e32 vcc, 0, v1
	v_mov_b32_e32 v2, 0
	buffer_store_dword v2, off, s[0:3], s33 offset:108 ; 4-byte Folded Spill
	s_and_saveexec_b64 s[92:93], vcc
	s_cbranch_execz .LBB6_4934
; %bb.4923:                             ;   in Loop: Header=BB6_4155 Depth=2
	v_and_b32_e32 v3, 0x7fffff, v1
	v_bfe_u32 v1, v1, 23, 8
	v_cmp_gt_u32_e64 s[20:21], s54, v1
	v_sub_u32_e32 v2, 0x79, v1
	v_cmp_eq_u32_e32 vcc, 0, v1
	v_cndmask_b32_e64 v2, 0, v2, s[20:21]
	v_mov_b32_e32 v5, 0x78
	v_or_b32_e32 v4, 0x800000, v3
	v_cndmask_b32_e32 v2, v2, v5, vcc
	v_cndmask_b32_e32 v52, v4, v3, vcc
	v_add_u32_e32 v3, 20, v2
	v_lshlrev_b64 v[3:4], v3, -1
	v_add_u32_e32 v5, 19, v2
	v_lshlrev_b64 v[7:8], v5, 1
	v_lshrrev_b64 v[16:17], v2, v[52:53]
	v_bfi_b32 v4, v4, 0, 0
	v_bfi_b32 v3, v3, 0, v52
	v_cmp_eq_u64_e64 s[20:21], v[3:4], v[7:8]
	v_mov_b32_e32 v18, v17
	v_mov_b32_e32 v17, v16
	s_and_saveexec_b64 s[94:95], s[20:21]
; %bb.4924:                             ;   in Loop: Header=BB6_4155 Depth=2
	v_bfe_u32 v3, v16, 20, 1
	v_add_co_u32_e64 v3, s[20:21], v16, v3
	v_add_co_u32_e64 v17, s[20:21], -1, v3
; %bb.4925:                             ;   in Loop: Header=BB6_4155 Depth=2
	s_or_b64 exec, exec, s[94:95]
	v_add_u32_e32 v1, 0xffffff81, v1
	v_mov_b32_e32 v3, 0xffffff82
	v_cndmask_b32_e32 v1, v1, v3, vcc
	v_lshrrev_b32_e32 v3, 23, v16
	v_add3_u32 v3, v2, v1, v3
	v_add_u32_e32 v2, 6, v3
	v_and_b32_e32 v1, 0xfffff, v17
	v_add_u32_e32 v52, v1, v16
	v_cmp_ne_u32_e32 vcc, 0, v2
                                        ; implicit-def: $vgpr16_vgpr17
                                        ; implicit-def: $vgpr1
	s_and_saveexec_b64 s[20:21], vcc
	s_xor_b64 s[20:21], exec, s[20:21]
; %bb.4926:                             ;   in Loop: Header=BB6_4155 Depth=2
	v_cmp_lt_u64_e32 vcc, s[60:61], v[52:53]
	v_add_u32_e32 v1, 7, v3
	v_cndmask_b32_e32 v1, v2, v1, vcc
	v_cndmask_b32_e64 v2, 0, 1, vcc
	v_lshrrev_b64 v[16:17], v2, v[52:53]
; %bb.4927:                             ;   in Loop: Header=BB6_4155 Depth=2
	s_andn2_saveexec_b64 s[20:21], s[20:21]
; %bb.4928:                             ;   in Loop: Header=BB6_4155 Depth=2
	v_mov_b32_e32 v16, v52
	v_bfe_u32 v1, v52, 23, 1
	v_mov_b32_e32 v17, v53
; %bb.4929:                             ;   in Loop: Header=BB6_4155 Depth=2
	s_or_b64 exec, exec, s[20:21]
	v_lshrrev_b64 v[2:3], 20, v[16:17]
	v_cmp_gt_i32_e32 vcc, 16, v1
	v_cndmask_b32_e32 v17, 0, v3, vcc
	v_cndmask_b32_e32 v16, 7, v2, vcc
	v_cmp_ne_u64_e32 vcc, 0, v[16:17]
	v_cmp_ne_u32_e64 s[20:21], 0, v1
	s_or_b64 s[20:21], s[20:21], vcc
                                        ; implicit-def: $vgpr2
                                        ; kill: killed $vgpr2
	s_and_saveexec_b64 s[94:95], s[20:21]
	s_xor_b64 s[20:21], exec, s[94:95]
	s_cbranch_execz .LBB6_4931
; %bb.4930:                             ;   in Loop: Header=BB6_4155 Depth=2
	v_min_i32_e32 v1, 15, v1
	v_lshl_or_b32 v0, v1, 3, v0
	v_and_or_b32 v0, v16, 7, v0
	buffer_store_dword v0, off, s[0:3], s33 offset:108 ; 4-byte Folded Spill
                                        ; implicit-def: $vgpr0
.LBB6_4931:                             ;   in Loop: Header=BB6_4155 Depth=2
	s_andn2_saveexec_b64 s[20:21], s[20:21]
	s_cbranch_execz .LBB6_4933
; %bb.4932:                             ;   in Loop: Header=BB6_4155 Depth=2
	buffer_store_dword v0, off, s[0:3], s33 offset:108 ; 4-byte Folded Spill
.LBB6_4933:                             ;   in Loop: Header=BB6_4155 Depth=2
	s_or_b64 exec, exec, s[20:21]
.LBB6_4934:                             ;   in Loop: Header=BB6_4155 Depth=2
	s_or_b64 exec, exec, s[92:93]
                                        ; implicit-def: $vgpr0
.LBB6_4935:                             ;   in Loop: Header=BB6_4155 Depth=2
	s_andn2_saveexec_b64 s[20:21], s[90:91]
	s_cbranch_execz .LBB6_4937
; %bb.4936:                             ;   in Loop: Header=BB6_4155 Depth=2
	v_or_b32_e32 v0, 0x7e, v0
	buffer_store_dword v0, off, s[0:3], s33 offset:108 ; 4-byte Folded Spill
.LBB6_4937:                             ;   in Loop: Header=BB6_4155 Depth=2
	s_or_b64 exec, exec, s[20:21]
                                        ; implicit-def: $vgpr1
.LBB6_4938:                             ;   in Loop: Header=BB6_4155 Depth=2
	s_andn2_saveexec_b64 s[20:21], s[88:89]
	s_cbranch_execz .LBB6_4940
; %bb.4939:                             ;   in Loop: Header=BB6_4155 Depth=2
	v_or_b32_sdwa v0, v1, s51 dst_sel:DWORD dst_unused:UNUSED_PAD src0_sel:BYTE_3 src1_sel:DWORD
	buffer_store_dword v0, off, s[0:3], s33 offset:108 ; 4-byte Folded Spill
.LBB6_4940:                             ;   in Loop: Header=BB6_4155 Depth=2
	s_or_b64 exec, exec, s[20:21]
	flat_load_ubyte v0, v[10:11] offset:1920 glc slc
	v_mov_b32_e32 v1, 0
	s_waitcnt vmcnt(0) lgkmcnt(0)
	v_cmp_ne_u16_e32 vcc, 0, v0
	s_and_saveexec_b64 s[20:21], vcc
	s_cbranch_execz .LBB6_4946
; %bb.4941:                             ;   in Loop: Header=BB6_4155 Depth=2
	v_cmp_ne_u16_e32 vcc, s53, v0
	v_bfrev_b32_e32 v1, 1
	s_and_saveexec_b64 s[88:89], vcc
	s_cbranch_execz .LBB6_4945
; %bb.4942:                             ;   in Loop: Header=BB6_4155 Depth=2
	v_and_b32_e32 v16, 0xffff, v0
	v_and_b32_e32 v2, 0x7f, v16
	v_cmp_ne_u32_e32 vcc, s51, v2
	v_mov_b32_e32 v1, 0x7f800001
	s_and_saveexec_b64 s[90:91], vcc
	s_cbranch_execz .LBB6_4944
; %bb.4943:                             ;   in Loop: Header=BB6_4155 Depth=2
	v_and_b32_e32 v3, 7, v16
	v_ffbh_u32_e32 v1, v3
	v_min_u32_e32 v5, 32, v1
	v_subrev_u32_e32 v1, 28, v5
	v_lshrrev_b32_e32 v4, 3, v2
	v_cmp_gt_u32_e32 vcc, 8, v2
	v_lshlrev_b64 v[1:2], v1, v[16:17]
	v_sub_u32_e32 v2, 29, v5
	v_and_b32_e32 v1, 7, v1
	v_cndmask_b32_e32 v2, v4, v2, vcc
	v_cndmask_b32_e32 v1, v3, v1, vcc
	v_lshlrev_b32_e32 v0, 24, v0
	v_bfrev_b32_e32 v3, 60
	v_lshlrev_b32_e32 v1, 20, v1
	v_and_b32_e32 v0, 0x80000000, v0
	v_lshl_add_u32 v2, v2, 23, v3
	v_or3_b32 v1, v0, v2, v1
.LBB6_4944:                             ;   in Loop: Header=BB6_4155 Depth=2
	s_or_b64 exec, exec, s[90:91]
.LBB6_4945:                             ;   in Loop: Header=BB6_4155 Depth=2
	s_or_b64 exec, exec, s[88:89]
.LBB6_4946:                             ;   in Loop: Header=BB6_4155 Depth=2
	s_or_b64 exec, exec, s[20:21]
	v_mul_f32_e32 v1, s30, v1
	v_and_b32_e32 v52, 0x7f800000, v1
	v_cmp_ne_u64_e32 vcc, s[56:57], v[52:53]
                                        ; implicit-def: $vgpr0
                                        ; kill: killed $vgpr0
	s_and_saveexec_b64 s[20:21], vcc
	s_xor_b64 s[88:89], exec, s[20:21]
	s_cbranch_execz .LBB6_4964
; %bb.4947:                             ;   in Loop: Header=BB6_4155 Depth=2
	v_and_b32_e32 v52, 0x7fffffff, v1
	v_cmp_gt_u64_e32 vcc, s[58:59], v[52:53]
	v_and_b32_sdwa v0, v1, s53 dst_sel:DWORD dst_unused:UNUSED_PAD src0_sel:BYTE_3 src1_sel:DWORD
                                        ; implicit-def: $vgpr2
                                        ; kill: killed $vgpr2
	s_and_saveexec_b64 s[20:21], vcc
	s_xor_b64 s[90:91], exec, s[20:21]
	s_cbranch_execz .LBB6_4961
; %bb.4948:                             ;   in Loop: Header=BB6_4155 Depth=2
	v_cmp_ne_u32_e32 vcc, 0, v1
	v_mov_b32_e32 v2, 0
	buffer_store_dword v2, off, s[0:3], s33 offset:104 ; 4-byte Folded Spill
	s_and_saveexec_b64 s[92:93], vcc
	s_cbranch_execz .LBB6_4960
; %bb.4949:                             ;   in Loop: Header=BB6_4155 Depth=2
	v_and_b32_e32 v3, 0x7fffff, v1
	v_bfe_u32 v1, v1, 23, 8
	v_cmp_gt_u32_e64 s[20:21], s54, v1
	v_sub_u32_e32 v2, 0x79, v1
	v_cmp_eq_u32_e32 vcc, 0, v1
	v_cndmask_b32_e64 v2, 0, v2, s[20:21]
	v_mov_b32_e32 v5, 0x78
	v_or_b32_e32 v4, 0x800000, v3
	v_cndmask_b32_e32 v2, v2, v5, vcc
	v_cndmask_b32_e32 v52, v4, v3, vcc
	v_add_u32_e32 v3, 20, v2
	v_lshlrev_b64 v[3:4], v3, -1
	v_add_u32_e32 v5, 19, v2
	v_lshlrev_b64 v[7:8], v5, 1
	v_lshrrev_b64 v[16:17], v2, v[52:53]
	v_bfi_b32 v4, v4, 0, 0
	v_bfi_b32 v3, v3, 0, v52
	v_cmp_eq_u64_e64 s[20:21], v[3:4], v[7:8]
	v_mov_b32_e32 v18, v17
	v_mov_b32_e32 v17, v16
	s_and_saveexec_b64 s[94:95], s[20:21]
; %bb.4950:                             ;   in Loop: Header=BB6_4155 Depth=2
	v_bfe_u32 v3, v16, 20, 1
	v_add_co_u32_e64 v3, s[20:21], v16, v3
	v_add_co_u32_e64 v17, s[20:21], -1, v3
; %bb.4951:                             ;   in Loop: Header=BB6_4155 Depth=2
	s_or_b64 exec, exec, s[94:95]
	v_add_u32_e32 v1, 0xffffff81, v1
	v_mov_b32_e32 v3, 0xffffff82
	v_cndmask_b32_e32 v1, v1, v3, vcc
	v_lshrrev_b32_e32 v3, 23, v16
	v_add3_u32 v3, v2, v1, v3
	v_add_u32_e32 v2, 6, v3
	v_and_b32_e32 v1, 0xfffff, v17
	v_add_u32_e32 v52, v1, v16
	v_cmp_ne_u32_e32 vcc, 0, v2
                                        ; implicit-def: $vgpr16_vgpr17
                                        ; implicit-def: $vgpr1
	s_and_saveexec_b64 s[20:21], vcc
	s_xor_b64 s[20:21], exec, s[20:21]
; %bb.4952:                             ;   in Loop: Header=BB6_4155 Depth=2
	v_cmp_lt_u64_e32 vcc, s[60:61], v[52:53]
	v_add_u32_e32 v1, 7, v3
	v_cndmask_b32_e32 v1, v2, v1, vcc
	v_cndmask_b32_e64 v2, 0, 1, vcc
	v_lshrrev_b64 v[16:17], v2, v[52:53]
; %bb.4953:                             ;   in Loop: Header=BB6_4155 Depth=2
	s_andn2_saveexec_b64 s[20:21], s[20:21]
; %bb.4954:                             ;   in Loop: Header=BB6_4155 Depth=2
	v_mov_b32_e32 v16, v52
	v_bfe_u32 v1, v52, 23, 1
	v_mov_b32_e32 v17, v53
; %bb.4955:                             ;   in Loop: Header=BB6_4155 Depth=2
	s_or_b64 exec, exec, s[20:21]
	v_lshrrev_b64 v[2:3], 20, v[16:17]
	v_cmp_gt_i32_e32 vcc, 16, v1
	v_cndmask_b32_e32 v17, 0, v3, vcc
	v_cndmask_b32_e32 v16, 7, v2, vcc
	v_cmp_ne_u64_e32 vcc, 0, v[16:17]
	v_cmp_ne_u32_e64 s[20:21], 0, v1
	s_or_b64 s[20:21], s[20:21], vcc
                                        ; implicit-def: $vgpr2
                                        ; kill: killed $vgpr2
	s_and_saveexec_b64 s[94:95], s[20:21]
	s_xor_b64 s[20:21], exec, s[94:95]
	s_cbranch_execz .LBB6_4957
; %bb.4956:                             ;   in Loop: Header=BB6_4155 Depth=2
	v_min_i32_e32 v1, 15, v1
	v_lshl_or_b32 v0, v1, 3, v0
	v_and_or_b32 v0, v16, 7, v0
	buffer_store_dword v0, off, s[0:3], s33 offset:104 ; 4-byte Folded Spill
                                        ; implicit-def: $vgpr0
.LBB6_4957:                             ;   in Loop: Header=BB6_4155 Depth=2
	s_andn2_saveexec_b64 s[20:21], s[20:21]
	s_cbranch_execz .LBB6_4959
; %bb.4958:                             ;   in Loop: Header=BB6_4155 Depth=2
	buffer_store_dword v0, off, s[0:3], s33 offset:104 ; 4-byte Folded Spill
.LBB6_4959:                             ;   in Loop: Header=BB6_4155 Depth=2
	s_or_b64 exec, exec, s[20:21]
.LBB6_4960:                             ;   in Loop: Header=BB6_4155 Depth=2
	s_or_b64 exec, exec, s[92:93]
                                        ; implicit-def: $vgpr0
.LBB6_4961:                             ;   in Loop: Header=BB6_4155 Depth=2
	s_andn2_saveexec_b64 s[20:21], s[90:91]
	s_cbranch_execz .LBB6_4963
; %bb.4962:                             ;   in Loop: Header=BB6_4155 Depth=2
	v_or_b32_e32 v0, 0x7e, v0
	buffer_store_dword v0, off, s[0:3], s33 offset:104 ; 4-byte Folded Spill
.LBB6_4963:                             ;   in Loop: Header=BB6_4155 Depth=2
	s_or_b64 exec, exec, s[20:21]
                                        ; implicit-def: $vgpr1
.LBB6_4964:                             ;   in Loop: Header=BB6_4155 Depth=2
	s_andn2_saveexec_b64 s[20:21], s[88:89]
	s_cbranch_execz .LBB6_4966
; %bb.4965:                             ;   in Loop: Header=BB6_4155 Depth=2
	v_or_b32_sdwa v0, v1, s51 dst_sel:DWORD dst_unused:UNUSED_PAD src0_sel:BYTE_3 src1_sel:DWORD
	buffer_store_dword v0, off, s[0:3], s33 offset:104 ; 4-byte Folded Spill
.LBB6_4966:                             ;   in Loop: Header=BB6_4155 Depth=2
	s_or_b64 exec, exec, s[20:21]
	flat_load_ubyte v0, v[10:11] offset:1984 glc slc
	v_mov_b32_e32 v1, 0
	s_waitcnt vmcnt(0) lgkmcnt(0)
	v_cmp_ne_u16_e32 vcc, 0, v0
	s_and_saveexec_b64 s[20:21], vcc
	s_cbranch_execz .LBB6_4972
; %bb.4967:                             ;   in Loop: Header=BB6_4155 Depth=2
	v_cmp_ne_u16_e32 vcc, s53, v0
	v_bfrev_b32_e32 v1, 1
	s_and_saveexec_b64 s[88:89], vcc
	s_cbranch_execz .LBB6_4971
; %bb.4968:                             ;   in Loop: Header=BB6_4155 Depth=2
	v_and_b32_e32 v16, 0xffff, v0
	v_and_b32_e32 v2, 0x7f, v16
	v_cmp_ne_u32_e32 vcc, s51, v2
	v_mov_b32_e32 v1, 0x7f800001
	s_and_saveexec_b64 s[90:91], vcc
	s_cbranch_execz .LBB6_4970
; %bb.4969:                             ;   in Loop: Header=BB6_4155 Depth=2
	v_and_b32_e32 v3, 7, v16
	v_ffbh_u32_e32 v1, v3
	v_min_u32_e32 v5, 32, v1
	v_subrev_u32_e32 v1, 28, v5
	v_lshrrev_b32_e32 v4, 3, v2
	v_cmp_gt_u32_e32 vcc, 8, v2
	v_lshlrev_b64 v[1:2], v1, v[16:17]
	v_sub_u32_e32 v2, 29, v5
	v_and_b32_e32 v1, 7, v1
	v_cndmask_b32_e32 v2, v4, v2, vcc
	v_cndmask_b32_e32 v1, v3, v1, vcc
	v_lshlrev_b32_e32 v0, 24, v0
	v_bfrev_b32_e32 v3, 60
	v_lshlrev_b32_e32 v1, 20, v1
	v_and_b32_e32 v0, 0x80000000, v0
	v_lshl_add_u32 v2, v2, 23, v3
	v_or3_b32 v1, v0, v2, v1
.LBB6_4970:                             ;   in Loop: Header=BB6_4155 Depth=2
	s_or_b64 exec, exec, s[90:91]
.LBB6_4971:                             ;   in Loop: Header=BB6_4155 Depth=2
	s_or_b64 exec, exec, s[88:89]
.LBB6_4972:                             ;   in Loop: Header=BB6_4155 Depth=2
	s_or_b64 exec, exec, s[20:21]
	v_mul_f32_e32 v1, s30, v1
	v_and_b32_e32 v52, 0x7f800000, v1
	v_cmp_ne_u64_e32 vcc, s[56:57], v[52:53]
                                        ; implicit-def: $vgpr33
	s_and_saveexec_b64 s[20:21], vcc
	s_xor_b64 s[88:89], exec, s[20:21]
	s_cbranch_execz .LBB6_4990
; %bb.4973:                             ;   in Loop: Header=BB6_4155 Depth=2
	v_and_b32_e32 v52, 0x7fffffff, v1
	v_cmp_gt_u64_e32 vcc, s[58:59], v[52:53]
	v_and_b32_sdwa v0, v1, s53 dst_sel:DWORD dst_unused:UNUSED_PAD src0_sel:BYTE_3 src1_sel:DWORD
                                        ; implicit-def: $vgpr33
	s_and_saveexec_b64 s[20:21], vcc
	s_xor_b64 s[90:91], exec, s[20:21]
	s_cbranch_execz .LBB6_4987
; %bb.4974:                             ;   in Loop: Header=BB6_4155 Depth=2
	v_cmp_ne_u32_e32 vcc, 0, v1
	v_mov_b32_e32 v33, 0
	s_and_saveexec_b64 s[92:93], vcc
	s_cbranch_execz .LBB6_4986
; %bb.4975:                             ;   in Loop: Header=BB6_4155 Depth=2
	v_and_b32_e32 v3, 0x7fffff, v1
	v_bfe_u32 v1, v1, 23, 8
	v_cmp_gt_u32_e64 s[20:21], s54, v1
	v_sub_u32_e32 v2, 0x79, v1
	v_cmp_eq_u32_e32 vcc, 0, v1
	v_cndmask_b32_e64 v2, 0, v2, s[20:21]
	v_mov_b32_e32 v5, 0x78
	v_or_b32_e32 v4, 0x800000, v3
	v_cndmask_b32_e32 v2, v2, v5, vcc
	v_cndmask_b32_e32 v52, v4, v3, vcc
	v_add_u32_e32 v3, 20, v2
	v_lshlrev_b64 v[3:4], v3, -1
	v_add_u32_e32 v5, 19, v2
	v_lshlrev_b64 v[7:8], v5, 1
	v_lshrrev_b64 v[16:17], v2, v[52:53]
	v_bfi_b32 v4, v4, 0, 0
	v_bfi_b32 v3, v3, 0, v52
	v_cmp_eq_u64_e64 s[20:21], v[3:4], v[7:8]
	v_mov_b32_e32 v18, v17
	v_mov_b32_e32 v17, v16
	s_and_saveexec_b64 s[94:95], s[20:21]
; %bb.4976:                             ;   in Loop: Header=BB6_4155 Depth=2
	v_bfe_u32 v3, v16, 20, 1
	v_add_co_u32_e64 v3, s[20:21], v16, v3
	v_add_co_u32_e64 v17, s[20:21], -1, v3
; %bb.4977:                             ;   in Loop: Header=BB6_4155 Depth=2
	s_or_b64 exec, exec, s[94:95]
	v_add_u32_e32 v1, 0xffffff81, v1
	v_mov_b32_e32 v3, 0xffffff82
	v_cndmask_b32_e32 v1, v1, v3, vcc
	v_lshrrev_b32_e32 v3, 23, v16
	v_add3_u32 v3, v2, v1, v3
	v_add_u32_e32 v2, 6, v3
	v_and_b32_e32 v1, 0xfffff, v17
	v_add_u32_e32 v52, v1, v16
	v_cmp_ne_u32_e32 vcc, 0, v2
                                        ; implicit-def: $vgpr16_vgpr17
                                        ; implicit-def: $vgpr1
	s_and_saveexec_b64 s[20:21], vcc
	s_xor_b64 s[20:21], exec, s[20:21]
; %bb.4978:                             ;   in Loop: Header=BB6_4155 Depth=2
	v_cmp_lt_u64_e32 vcc, s[60:61], v[52:53]
	v_add_u32_e32 v1, 7, v3
	v_cndmask_b32_e32 v1, v2, v1, vcc
	v_cndmask_b32_e64 v2, 0, 1, vcc
	v_lshrrev_b64 v[16:17], v2, v[52:53]
; %bb.4979:                             ;   in Loop: Header=BB6_4155 Depth=2
	s_andn2_saveexec_b64 s[20:21], s[20:21]
; %bb.4980:                             ;   in Loop: Header=BB6_4155 Depth=2
	v_mov_b32_e32 v16, v52
	v_bfe_u32 v1, v52, 23, 1
	v_mov_b32_e32 v17, v53
; %bb.4981:                             ;   in Loop: Header=BB6_4155 Depth=2
	s_or_b64 exec, exec, s[20:21]
	v_lshrrev_b64 v[2:3], 20, v[16:17]
	v_cmp_gt_i32_e32 vcc, 16, v1
	v_cndmask_b32_e32 v17, 0, v3, vcc
	v_cndmask_b32_e32 v16, 7, v2, vcc
	v_cmp_ne_u64_e32 vcc, 0, v[16:17]
	v_cmp_ne_u32_e64 s[20:21], 0, v1
	s_or_b64 s[20:21], s[20:21], vcc
                                        ; implicit-def: $vgpr33
	s_and_saveexec_b64 s[94:95], s[20:21]
	s_xor_b64 s[20:21], exec, s[94:95]
; %bb.4982:                             ;   in Loop: Header=BB6_4155 Depth=2
	v_min_i32_e32 v1, 15, v1
	v_lshl_or_b32 v0, v1, 3, v0
	v_and_or_b32 v33, v16, 7, v0
                                        ; implicit-def: $vgpr0
; %bb.4983:                             ;   in Loop: Header=BB6_4155 Depth=2
	s_andn2_saveexec_b64 s[20:21], s[20:21]
; %bb.4984:                             ;   in Loop: Header=BB6_4155 Depth=2
	v_mov_b32_e32 v33, v0
; %bb.4985:                             ;   in Loop: Header=BB6_4155 Depth=2
	s_or_b64 exec, exec, s[20:21]
.LBB6_4986:                             ;   in Loop: Header=BB6_4155 Depth=2
	s_or_b64 exec, exec, s[92:93]
                                        ; implicit-def: $vgpr0
.LBB6_4987:                             ;   in Loop: Header=BB6_4155 Depth=2
	s_andn2_saveexec_b64 s[20:21], s[90:91]
; %bb.4988:                             ;   in Loop: Header=BB6_4155 Depth=2
	v_or_b32_e32 v33, 0x7e, v0
; %bb.4989:                             ;   in Loop: Header=BB6_4155 Depth=2
	s_or_b64 exec, exec, s[20:21]
                                        ; implicit-def: $vgpr1
.LBB6_4990:                             ;   in Loop: Header=BB6_4155 Depth=2
	s_andn2_saveexec_b64 s[20:21], s[88:89]
; %bb.4991:                             ;   in Loop: Header=BB6_4155 Depth=2
	v_or_b32_sdwa v33, v1, s51 dst_sel:DWORD dst_unused:UNUSED_PAD src0_sel:BYTE_3 src1_sel:DWORD
; %bb.4992:                             ;   in Loop: Header=BB6_4155 Depth=2
	s_or_b64 exec, exec, s[20:21]
	flat_load_ubyte v17, v[12:13] glc slc
	flat_load_ubyte v51, v[12:13] offset:64 glc slc
	flat_load_ubyte v29, v[12:13] offset:128 glc slc
	;; [unrolled: 1-line block ×28, first 2 shown]
	v_mov_b32_e32 v18, 0
	v_mov_b32_e32 v52, 0
	flat_load_ubyte v32, v[12:13] offset:1984 glc slc
	s_waitcnt vmcnt(0) lgkmcnt(0)
	buffer_store_dword v16, off, s[0:3], s33 offset:168 ; 4-byte Folded Spill
	flat_load_ubyte v16, v[12:13] offset:1856 glc slc
	s_waitcnt vmcnt(0) lgkmcnt(0)
	buffer_store_dword v16, off, s[0:3], s33 offset:164 ; 4-byte Folded Spill
	;; [unrolled: 3-line block ×3, first 2 shown]
	v_and_b32_e32 v16, 0xff, v9
	v_cmp_ne_u16_e32 vcc, 0, v16
	s_and_saveexec_b64 s[20:21], vcc
	s_cbranch_execz .LBB6_4998
; %bb.4993:                             ;   in Loop: Header=BB6_4155 Depth=2
	v_cmp_ne_u16_e32 vcc, s53, v16
	v_bfrev_b32_e32 v52, 1
	s_and_saveexec_b64 s[88:89], vcc
	s_cbranch_execz .LBB6_4997
; %bb.4994:                             ;   in Loop: Header=BB6_4155 Depth=2
	v_and_b32_e32 v30, 0x7f, v9
	v_cmp_ne_u32_e32 vcc, s51, v30
	v_mov_b32_e32 v52, 0x7f800001
	s_and_saveexec_b64 s[90:91], vcc
	s_cbranch_execz .LBB6_4996
; %bb.4995:                             ;   in Loop: Header=BB6_4155 Depth=2
	v_mov_b32_e32 v26, v32
	v_and_b32_e32 v32, 7, v16
	v_mov_b32_e32 v36, v33
	v_lshrrev_b32_e32 v33, 3, v30
	v_cmp_gt_u32_e32 vcc, 8, v30
	v_ffbh_u32_e32 v30, v32
	v_min_u32_e32 v52, 32, v30
	v_subrev_u32_e32 v30, 28, v52
	v_lshlrev_b64 v[30:31], v30, v[16:17]
	v_sub_u32_e32 v16, 29, v52
	v_and_b32_e32 v30, 7, v30
	v_cndmask_b32_e32 v16, v33, v16, vcc
	v_cndmask_b32_e32 v30, v32, v30, vcc
	v_mov_b32_e32 v32, v26
	v_lshlrev_b32_e32 v9, 24, v9
	v_bfrev_b32_e32 v26, 60
	v_lshlrev_b32_e32 v30, 20, v30
	v_and_b32_e32 v9, 0x80000000, v9
	v_lshl_add_u32 v16, v16, 23, v26
	v_mov_b32_e32 v33, v36
	v_or3_b32 v52, v9, v16, v30
.LBB6_4996:                             ;   in Loop: Header=BB6_4155 Depth=2
	s_or_b64 exec, exec, s[90:91]
.LBB6_4997:                             ;   in Loop: Header=BB6_4155 Depth=2
	s_or_b64 exec, exec, s[88:89]
.LBB6_4998:                             ;   in Loop: Header=BB6_4155 Depth=2
	s_or_b64 exec, exec, s[20:21]
	v_and_b32_e32 v16, 0xff, v17
	v_cmp_ne_u16_e32 vcc, 0, v16
	s_and_saveexec_b64 s[20:21], vcc
	s_cbranch_execz .LBB6_5004
; %bb.4999:                             ;   in Loop: Header=BB6_4155 Depth=2
	v_cmp_ne_u16_e32 vcc, s53, v16
	v_bfrev_b32_e32 v18, 1
	s_and_saveexec_b64 s[88:89], vcc
	s_cbranch_execz .LBB6_5003
; %bb.5000:                             ;   in Loop: Header=BB6_4155 Depth=2
	v_and_b32_e32 v9, 0x7f, v17
	v_cmp_ne_u32_e32 vcc, s51, v9
	v_mov_b32_e32 v18, 0x7f800001
	s_and_saveexec_b64 s[90:91], vcc
	s_cbranch_execz .LBB6_5002
; %bb.5001:                             ;   in Loop: Header=BB6_4155 Depth=2
	v_and_b32_e32 v18, 7, v16
	v_mov_b32_e32 v26, v32
	v_lshrrev_b32_e32 v32, 3, v9
	v_cmp_gt_u32_e32 vcc, 8, v9
	v_ffbh_u32_e32 v9, v18
	v_min_u32_e32 v9, 32, v9
	v_subrev_u32_e32 v30, 28, v9
	v_lshlrev_b64 v[30:31], v30, v[16:17]
	v_sub_u32_e32 v9, 29, v9
	v_and_b32_e32 v16, 7, v30
	v_cndmask_b32_e32 v9, v32, v9, vcc
	v_cndmask_b32_e32 v16, v18, v16, vcc
	v_lshlrev_b32_e32 v17, 24, v17
	v_bfrev_b32_e32 v18, 60
	v_lshlrev_b32_e32 v16, 20, v16
	v_and_b32_e32 v17, 0x80000000, v17
	v_lshl_add_u32 v9, v9, 23, v18
	v_mov_b32_e32 v32, v26
	v_or3_b32 v18, v17, v9, v16
.LBB6_5002:                             ;   in Loop: Header=BB6_4155 Depth=2
	s_or_b64 exec, exec, s[90:91]
.LBB6_5003:                             ;   in Loop: Header=BB6_4155 Depth=2
	s_or_b64 exec, exec, s[88:89]
.LBB6_5004:                             ;   in Loop: Header=BB6_4155 Depth=2
	s_or_b64 exec, exec, s[20:21]
	v_add_f32_e32 v16, v52, v18
	v_and_b32_e32 v52, 0x7f800000, v16
	v_cmp_ne_u64_e32 vcc, s[56:57], v[52:53]
                                        ; implicit-def: $vgpr36
	s_and_saveexec_b64 s[20:21], vcc
	s_xor_b64 s[88:89], exec, s[20:21]
	s_cbranch_execz .LBB6_5022
; %bb.5005:                             ;   in Loop: Header=BB6_4155 Depth=2
	v_and_b32_e32 v52, 0x7fffffff, v16
	v_cmp_gt_u64_e32 vcc, s[58:59], v[52:53]
	v_and_b32_sdwa v9, v16, s53 dst_sel:DWORD dst_unused:UNUSED_PAD src0_sel:BYTE_3 src1_sel:DWORD
                                        ; implicit-def: $vgpr36
	s_and_saveexec_b64 s[20:21], vcc
	s_xor_b64 s[90:91], exec, s[20:21]
	s_cbranch_execz .LBB6_5019
; %bb.5006:                             ;   in Loop: Header=BB6_4155 Depth=2
	v_cmp_ne_u32_e32 vcc, 0, v16
	v_mov_b32_e32 v36, 0
	s_and_saveexec_b64 s[92:93], vcc
	s_cbranch_execz .LBB6_5018
; %bb.5007:                             ;   in Loop: Header=BB6_4155 Depth=2
	v_bfe_u32 v30, v16, 23, 8
	v_and_b32_e32 v17, 0x7fffff, v16
	v_cmp_gt_u32_e64 s[20:21], s54, v30
	v_sub_u32_e32 v16, 0x79, v30
	v_cmp_eq_u32_e32 vcc, 0, v30
	v_cndmask_b32_e64 v16, 0, v16, s[20:21]
	v_mov_b32_e32 v31, 0x78
	v_cndmask_b32_e32 v31, v16, v31, vcc
	v_or_b32_e32 v18, 0x800000, v17
	v_add_u32_e32 v16, 20, v31
	v_cndmask_b32_e32 v52, v18, v17, vcc
	v_lshlrev_b64 v[16:17], v16, -1
	v_add_u32_e32 v18, 19, v31
	v_mov_b32_e32 v26, v32
	v_mov_b32_e32 v36, v33
	v_lshlrev_b64 v[32:33], v18, 1
	v_bfi_b32 v17, v17, 0, 0
	v_bfi_b32 v16, v16, 0, v52
	v_cmp_eq_u64_e64 s[20:21], v[16:17], v[32:33]
	v_lshrrev_b64 v[16:17], v31, v[52:53]
	v_mov_b32_e32 v18, v17
	v_mov_b32_e32 v17, v16
	s_and_saveexec_b64 s[94:95], s[20:21]
; %bb.5008:                             ;   in Loop: Header=BB6_4155 Depth=2
	v_bfe_u32 v17, v16, 20, 1
	v_add_co_u32_e64 v17, s[20:21], v16, v17
	v_add_co_u32_e64 v17, s[20:21], -1, v17
; %bb.5009:                             ;   in Loop: Header=BB6_4155 Depth=2
	s_or_b64 exec, exec, s[94:95]
	v_add_u32_e32 v18, 0xffffff81, v30
	v_mov_b32_e32 v30, 0xffffff82
	v_cndmask_b32_e32 v18, v18, v30, vcc
	v_lshrrev_b32_e32 v30, 23, v16
	v_add3_u32 v31, v31, v18, v30
	v_add_u32_e32 v30, 6, v31
	v_and_b32_e32 v17, 0xfffff, v17
	v_add_u32_e32 v52, v17, v16
	v_cmp_ne_u32_e32 vcc, 0, v30
                                        ; implicit-def: $vgpr16_vgpr17
                                        ; implicit-def: $vgpr18
	s_and_saveexec_b64 s[20:21], vcc
	s_xor_b64 s[20:21], exec, s[20:21]
; %bb.5010:                             ;   in Loop: Header=BB6_4155 Depth=2
	v_cmp_lt_u64_e32 vcc, s[60:61], v[52:53]
	v_add_u32_e32 v16, 7, v31
	v_cndmask_b32_e32 v18, v30, v16, vcc
	v_cndmask_b32_e64 v16, 0, 1, vcc
	v_lshrrev_b64 v[16:17], v16, v[52:53]
; %bb.5011:                             ;   in Loop: Header=BB6_4155 Depth=2
	s_or_saveexec_b64 s[20:21], s[20:21]
	v_mov_b32_e32 v33, v36
	v_mov_b32_e32 v32, v26
	s_xor_b64 exec, exec, s[20:21]
; %bb.5012:                             ;   in Loop: Header=BB6_4155 Depth=2
	v_mov_b32_e32 v16, v52
	v_mov_b32_e32 v17, v53
	v_bfe_u32 v18, v52, 23, 1
; %bb.5013:                             ;   in Loop: Header=BB6_4155 Depth=2
	s_or_b64 exec, exec, s[20:21]
	v_lshrrev_b64 v[16:17], 20, v[16:17]
	v_cmp_gt_i32_e32 vcc, 16, v18
	v_cndmask_b32_e32 v17, 0, v17, vcc
	v_cndmask_b32_e32 v16, 7, v16, vcc
	v_cmp_ne_u64_e32 vcc, 0, v[16:17]
	v_cmp_ne_u32_e64 s[20:21], 0, v18
	s_or_b64 s[20:21], s[20:21], vcc
                                        ; implicit-def: $vgpr36
	s_and_saveexec_b64 s[94:95], s[20:21]
	s_xor_b64 s[20:21], exec, s[94:95]
; %bb.5014:                             ;   in Loop: Header=BB6_4155 Depth=2
	v_min_i32_e32 v17, 15, v18
	v_lshl_or_b32 v9, v17, 3, v9
	v_and_or_b32 v36, v16, 7, v9
                                        ; implicit-def: $vgpr9
; %bb.5015:                             ;   in Loop: Header=BB6_4155 Depth=2
	s_andn2_saveexec_b64 s[20:21], s[20:21]
; %bb.5016:                             ;   in Loop: Header=BB6_4155 Depth=2
	v_mov_b32_e32 v36, v9
; %bb.5017:                             ;   in Loop: Header=BB6_4155 Depth=2
	s_or_b64 exec, exec, s[20:21]
.LBB6_5018:                             ;   in Loop: Header=BB6_4155 Depth=2
	s_or_b64 exec, exec, s[92:93]
                                        ; implicit-def: $vgpr9
.LBB6_5019:                             ;   in Loop: Header=BB6_4155 Depth=2
	s_andn2_saveexec_b64 s[20:21], s[90:91]
; %bb.5020:                             ;   in Loop: Header=BB6_4155 Depth=2
	v_or_b32_e32 v36, 0x7e, v9
; %bb.5021:                             ;   in Loop: Header=BB6_4155 Depth=2
	s_or_b64 exec, exec, s[20:21]
                                        ; implicit-def: $vgpr16
.LBB6_5022:                             ;   in Loop: Header=BB6_4155 Depth=2
	s_andn2_saveexec_b64 s[20:21], s[88:89]
; %bb.5023:                             ;   in Loop: Header=BB6_4155 Depth=2
	v_or_b32_sdwa v36, v16, s51 dst_sel:DWORD dst_unused:UNUSED_PAD src0_sel:BYTE_3 src1_sel:DWORD
; %bb.5024:                             ;   in Loop: Header=BB6_4155 Depth=2
	s_or_b64 exec, exec, s[20:21]
	v_and_b32_e32 v16, 0xff, v28
	v_cmp_ne_u16_e32 vcc, 0, v16
	v_mov_b32_e32 v9, 0
	v_mov_b32_e32 v17, 0
	s_and_saveexec_b64 s[20:21], vcc
	s_cbranch_execz .LBB6_5030
; %bb.5025:                             ;   in Loop: Header=BB6_4155 Depth=2
	v_cmp_ne_u16_e32 vcc, s53, v16
	v_bfrev_b32_e32 v17, 1
	s_and_saveexec_b64 s[88:89], vcc
	s_cbranch_execz .LBB6_5029
; %bb.5026:                             ;   in Loop: Header=BB6_4155 Depth=2
	v_and_b32_e32 v18, 0x7f, v28
	v_cmp_ne_u32_e32 vcc, s51, v18
	v_mov_b32_e32 v17, 0x7f800001
	s_and_saveexec_b64 s[90:91], vcc
	s_cbranch_execz .LBB6_5028
; %bb.5027:                             ;   in Loop: Header=BB6_4155 Depth=2
	v_and_b32_e32 v30, 7, v16
	v_ffbh_u32_e32 v17, v30
	v_lshrrev_b32_e32 v31, 3, v18
	v_cmp_gt_u32_e32 vcc, 8, v18
	v_min_u32_e32 v18, 32, v17
	v_subrev_u32_e32 v17, 28, v18
	v_lshlrev_b64 v[16:17], v17, v[16:17]
	v_sub_u32_e32 v17, 29, v18
	v_and_b32_e32 v16, 7, v16
	v_cndmask_b32_e32 v17, v31, v17, vcc
	v_cndmask_b32_e32 v16, v30, v16, vcc
	v_lshlrev_b32_e32 v18, 24, v28
	v_bfrev_b32_e32 v26, 60
	v_lshlrev_b32_e32 v16, 20, v16
	v_and_b32_e32 v18, 0x80000000, v18
	v_lshl_add_u32 v17, v17, 23, v26
	v_or3_b32 v17, v18, v17, v16
.LBB6_5028:                             ;   in Loop: Header=BB6_4155 Depth=2
	s_or_b64 exec, exec, s[90:91]
.LBB6_5029:                             ;   in Loop: Header=BB6_4155 Depth=2
	s_or_b64 exec, exec, s[88:89]
.LBB6_5030:                             ;   in Loop: Header=BB6_4155 Depth=2
	s_or_b64 exec, exec, s[20:21]
	v_and_b32_e32 v16, 0xff, v51
	v_cmp_ne_u16_e32 vcc, 0, v16
	s_and_saveexec_b64 s[20:21], vcc
	s_cbranch_execz .LBB6_5036
; %bb.5031:                             ;   in Loop: Header=BB6_4155 Depth=2
	v_cmp_ne_u16_e32 vcc, s53, v16
	v_bfrev_b32_e32 v9, 1
	s_and_saveexec_b64 s[88:89], vcc
	s_cbranch_execz .LBB6_5035
; %bb.5032:                             ;   in Loop: Header=BB6_4155 Depth=2
	v_and_b32_e32 v18, 0x7f, v51
	v_cmp_ne_u32_e32 vcc, s51, v18
	v_mov_b32_e32 v9, 0x7f800001
	s_and_saveexec_b64 s[90:91], vcc
	s_cbranch_execz .LBB6_5034
; %bb.5033:                             ;   in Loop: Header=BB6_4155 Depth=2
	v_and_b32_e32 v9, 7, v16
	v_lshrrev_b32_e32 v28, 3, v18
	v_cmp_gt_u32_e32 vcc, 8, v18
	v_ffbh_u32_e32 v18, v9
	v_min_u32_e32 v18, 32, v18
	v_subrev_u32_e32 v30, 28, v18
	v_lshlrev_b64 v[30:31], v30, v[16:17]
	v_sub_u32_e32 v16, 29, v18
	v_and_b32_e32 v18, 7, v30
	v_cndmask_b32_e32 v16, v28, v16, vcc
	v_cndmask_b32_e32 v9, v9, v18, vcc
	v_lshlrev_b32_e32 v18, 24, v51
	v_bfrev_b32_e32 v26, 60
	v_lshlrev_b32_e32 v9, 20, v9
	v_and_b32_e32 v18, 0x80000000, v18
	v_lshl_add_u32 v16, v16, 23, v26
	v_or3_b32 v9, v18, v16, v9
.LBB6_5034:                             ;   in Loop: Header=BB6_4155 Depth=2
	s_or_b64 exec, exec, s[90:91]
.LBB6_5035:                             ;   in Loop: Header=BB6_4155 Depth=2
	s_or_b64 exec, exec, s[88:89]
.LBB6_5036:                             ;   in Loop: Header=BB6_4155 Depth=2
	s_or_b64 exec, exec, s[20:21]
	v_add_f32_e32 v16, v17, v9
	v_and_b32_e32 v52, 0x7f800000, v16
	v_cmp_ne_u64_e32 vcc, s[56:57], v[52:53]
                                        ; implicit-def: $vgpr28
	s_and_saveexec_b64 s[20:21], vcc
	s_xor_b64 s[88:89], exec, s[20:21]
	s_cbranch_execz .LBB6_5054
; %bb.5037:                             ;   in Loop: Header=BB6_4155 Depth=2
	v_and_b32_e32 v52, 0x7fffffff, v16
	v_cmp_gt_u64_e32 vcc, s[58:59], v[52:53]
	v_and_b32_sdwa v9, v16, s53 dst_sel:DWORD dst_unused:UNUSED_PAD src0_sel:BYTE_3 src1_sel:DWORD
                                        ; implicit-def: $vgpr28
	s_and_saveexec_b64 s[20:21], vcc
	s_xor_b64 s[90:91], exec, s[20:21]
	s_cbranch_execz .LBB6_5051
; %bb.5038:                             ;   in Loop: Header=BB6_4155 Depth=2
	v_cmp_ne_u32_e32 vcc, 0, v16
	v_mov_b32_e32 v28, 0
	s_and_saveexec_b64 s[92:93], vcc
	s_cbranch_execz .LBB6_5050
; %bb.5039:                             ;   in Loop: Header=BB6_4155 Depth=2
	v_bfe_u32 v28, v16, 23, 8
	v_and_b32_e32 v17, 0x7fffff, v16
	v_cmp_gt_u32_e64 s[20:21], s54, v28
	v_sub_u32_e32 v16, 0x79, v28
	v_cmp_eq_u32_e32 vcc, 0, v28
	v_cndmask_b32_e64 v16, 0, v16, s[20:21]
	v_mov_b32_e32 v30, 0x78
	v_cndmask_b32_e32 v30, v16, v30, vcc
	v_or_b32_e32 v18, 0x800000, v17
	v_add_u32_e32 v16, 20, v30
	v_cndmask_b32_e32 v52, v18, v17, vcc
	v_lshlrev_b64 v[16:17], v16, -1
	v_add_u32_e32 v18, 19, v30
	v_mov_b32_e32 v26, v32
	v_lshlrev_b64 v[31:32], v18, 1
	v_bfi_b32 v17, v17, 0, 0
	v_bfi_b32 v16, v16, 0, v52
	v_cmp_eq_u64_e64 s[20:21], v[16:17], v[31:32]
	v_lshrrev_b64 v[16:17], v30, v[52:53]
	v_mov_b32_e32 v18, v17
	v_mov_b32_e32 v17, v16
	s_and_saveexec_b64 s[94:95], s[20:21]
; %bb.5040:                             ;   in Loop: Header=BB6_4155 Depth=2
	v_bfe_u32 v17, v16, 20, 1
	v_add_co_u32_e64 v17, s[20:21], v16, v17
	v_add_co_u32_e64 v17, s[20:21], -1, v17
; %bb.5041:                             ;   in Loop: Header=BB6_4155 Depth=2
	s_or_b64 exec, exec, s[94:95]
	v_add_u32_e32 v18, 0xffffff81, v28
	v_mov_b32_e32 v28, 0xffffff82
	v_cndmask_b32_e32 v18, v18, v28, vcc
	v_lshrrev_b32_e32 v28, 23, v16
	v_add3_u32 v30, v30, v18, v28
	v_add_u32_e32 v28, 6, v30
	v_and_b32_e32 v17, 0xfffff, v17
	v_add_u32_e32 v52, v17, v16
	v_cmp_ne_u32_e32 vcc, 0, v28
                                        ; implicit-def: $vgpr16_vgpr17
                                        ; implicit-def: $vgpr18
	s_and_saveexec_b64 s[20:21], vcc
	s_xor_b64 s[20:21], exec, s[20:21]
; %bb.5042:                             ;   in Loop: Header=BB6_4155 Depth=2
	v_cmp_lt_u64_e32 vcc, s[60:61], v[52:53]
	v_add_u32_e32 v16, 7, v30
	v_cndmask_b32_e32 v18, v28, v16, vcc
	v_cndmask_b32_e64 v16, 0, 1, vcc
	v_lshrrev_b64 v[16:17], v16, v[52:53]
; %bb.5043:                             ;   in Loop: Header=BB6_4155 Depth=2
	s_or_saveexec_b64 s[20:21], s[20:21]
	v_mov_b32_e32 v32, v26
	s_xor_b64 exec, exec, s[20:21]
; %bb.5044:                             ;   in Loop: Header=BB6_4155 Depth=2
	v_mov_b32_e32 v16, v52
	v_mov_b32_e32 v17, v53
	v_bfe_u32 v18, v52, 23, 1
; %bb.5045:                             ;   in Loop: Header=BB6_4155 Depth=2
	s_or_b64 exec, exec, s[20:21]
	v_lshrrev_b64 v[16:17], 20, v[16:17]
	v_cmp_gt_i32_e32 vcc, 16, v18
	v_cndmask_b32_e32 v17, 0, v17, vcc
	v_cndmask_b32_e32 v16, 7, v16, vcc
	v_cmp_ne_u64_e32 vcc, 0, v[16:17]
	v_cmp_ne_u32_e64 s[20:21], 0, v18
	s_or_b64 s[20:21], s[20:21], vcc
                                        ; implicit-def: $vgpr28
	s_and_saveexec_b64 s[94:95], s[20:21]
	s_xor_b64 s[20:21], exec, s[94:95]
; %bb.5046:                             ;   in Loop: Header=BB6_4155 Depth=2
	v_min_i32_e32 v17, 15, v18
	v_lshl_or_b32 v9, v17, 3, v9
	v_and_or_b32 v28, v16, 7, v9
                                        ; implicit-def: $vgpr9
; %bb.5047:                             ;   in Loop: Header=BB6_4155 Depth=2
	s_andn2_saveexec_b64 s[20:21], s[20:21]
; %bb.5048:                             ;   in Loop: Header=BB6_4155 Depth=2
	v_mov_b32_e32 v28, v9
; %bb.5049:                             ;   in Loop: Header=BB6_4155 Depth=2
	s_or_b64 exec, exec, s[20:21]
.LBB6_5050:                             ;   in Loop: Header=BB6_4155 Depth=2
	s_or_b64 exec, exec, s[92:93]
                                        ; implicit-def: $vgpr9
.LBB6_5051:                             ;   in Loop: Header=BB6_4155 Depth=2
	s_andn2_saveexec_b64 s[20:21], s[90:91]
; %bb.5052:                             ;   in Loop: Header=BB6_4155 Depth=2
	v_or_b32_e32 v28, 0x7e, v9
; %bb.5053:                             ;   in Loop: Header=BB6_4155 Depth=2
	s_or_b64 exec, exec, s[20:21]
                                        ; implicit-def: $vgpr16
.LBB6_5054:                             ;   in Loop: Header=BB6_4155 Depth=2
	s_andn2_saveexec_b64 s[20:21], s[88:89]
; %bb.5055:                             ;   in Loop: Header=BB6_4155 Depth=2
	v_or_b32_sdwa v28, v16, s51 dst_sel:DWORD dst_unused:UNUSED_PAD src0_sel:BYTE_3 src1_sel:DWORD
; %bb.5056:                             ;   in Loop: Header=BB6_4155 Depth=2
	s_or_b64 exec, exec, s[20:21]
	v_and_b32_e32 v16, 0xff, v35
	v_cmp_ne_u16_e32 vcc, 0, v16
	v_mov_b32_e32 v9, 0
	v_mov_b32_e32 v17, 0
	s_and_saveexec_b64 s[20:21], vcc
	s_cbranch_execz .LBB6_5062
; %bb.5057:                             ;   in Loop: Header=BB6_4155 Depth=2
	v_cmp_ne_u16_e32 vcc, s53, v16
	v_bfrev_b32_e32 v17, 1
	s_and_saveexec_b64 s[88:89], vcc
	s_cbranch_execz .LBB6_5061
; %bb.5058:                             ;   in Loop: Header=BB6_4155 Depth=2
	v_and_b32_e32 v18, 0x7f, v35
	v_cmp_ne_u32_e32 vcc, s51, v18
	v_mov_b32_e32 v17, 0x7f800001
	s_and_saveexec_b64 s[90:91], vcc
	s_cbranch_execz .LBB6_5060
; %bb.5059:                             ;   in Loop: Header=BB6_4155 Depth=2
	v_and_b32_e32 v30, 7, v16
	v_ffbh_u32_e32 v17, v30
	v_lshrrev_b32_e32 v31, 3, v18
	v_cmp_gt_u32_e32 vcc, 8, v18
	v_min_u32_e32 v18, 32, v17
	v_subrev_u32_e32 v17, 28, v18
	v_lshlrev_b64 v[16:17], v17, v[16:17]
	v_sub_u32_e32 v17, 29, v18
	v_and_b32_e32 v16, 7, v16
	v_cndmask_b32_e32 v17, v31, v17, vcc
	v_cndmask_b32_e32 v16, v30, v16, vcc
	v_lshlrev_b32_e32 v18, 24, v35
	v_bfrev_b32_e32 v26, 60
	v_lshlrev_b32_e32 v16, 20, v16
	v_and_b32_e32 v18, 0x80000000, v18
	v_lshl_add_u32 v17, v17, 23, v26
	v_or3_b32 v17, v18, v17, v16
.LBB6_5060:                             ;   in Loop: Header=BB6_4155 Depth=2
	s_or_b64 exec, exec, s[90:91]
.LBB6_5061:                             ;   in Loop: Header=BB6_4155 Depth=2
	s_or_b64 exec, exec, s[88:89]
.LBB6_5062:                             ;   in Loop: Header=BB6_4155 Depth=2
	s_or_b64 exec, exec, s[20:21]
	v_and_b32_e32 v16, 0xff, v29
	v_cmp_ne_u16_e32 vcc, 0, v16
	s_and_saveexec_b64 s[20:21], vcc
	s_cbranch_execz .LBB6_5068
; %bb.5063:                             ;   in Loop: Header=BB6_4155 Depth=2
	v_cmp_ne_u16_e32 vcc, s53, v16
	v_bfrev_b32_e32 v9, 1
	s_and_saveexec_b64 s[88:89], vcc
	s_cbranch_execz .LBB6_5067
; %bb.5064:                             ;   in Loop: Header=BB6_4155 Depth=2
	v_and_b32_e32 v18, 0x7f, v29
	v_cmp_ne_u32_e32 vcc, s51, v18
	v_mov_b32_e32 v9, 0x7f800001
	s_and_saveexec_b64 s[90:91], vcc
	s_cbranch_execz .LBB6_5066
; %bb.5065:                             ;   in Loop: Header=BB6_4155 Depth=2
	v_and_b32_e32 v9, 7, v16
	v_mov_b32_e32 v26, v32
	v_lshrrev_b32_e32 v32, 3, v18
	v_cmp_gt_u32_e32 vcc, 8, v18
	v_ffbh_u32_e32 v18, v9
	v_min_u32_e32 v18, 32, v18
	v_subrev_u32_e32 v30, 28, v18
	v_lshlrev_b64 v[30:31], v30, v[16:17]
	v_sub_u32_e32 v16, 29, v18
	v_and_b32_e32 v18, 7, v30
	v_cndmask_b32_e32 v16, v32, v16, vcc
	v_mov_b32_e32 v32, v26
	v_cndmask_b32_e32 v9, v9, v18, vcc
	v_lshlrev_b32_e32 v18, 24, v29
	v_bfrev_b32_e32 v26, 60
	v_lshlrev_b32_e32 v9, 20, v9
	v_and_b32_e32 v18, 0x80000000, v18
	v_lshl_add_u32 v16, v16, 23, v26
	v_or3_b32 v9, v18, v16, v9
.LBB6_5066:                             ;   in Loop: Header=BB6_4155 Depth=2
	s_or_b64 exec, exec, s[90:91]
.LBB6_5067:                             ;   in Loop: Header=BB6_4155 Depth=2
	s_or_b64 exec, exec, s[88:89]
.LBB6_5068:                             ;   in Loop: Header=BB6_4155 Depth=2
	s_or_b64 exec, exec, s[20:21]
	v_add_f32_e32 v16, v17, v9
	v_and_b32_e32 v52, 0x7f800000, v16
	v_cmp_ne_u64_e32 vcc, s[56:57], v[52:53]
                                        ; implicit-def: $vgpr35
	s_and_saveexec_b64 s[20:21], vcc
	s_xor_b64 s[88:89], exec, s[20:21]
	s_cbranch_execz .LBB6_5086
; %bb.5069:                             ;   in Loop: Header=BB6_4155 Depth=2
	v_and_b32_e32 v52, 0x7fffffff, v16
	v_cmp_gt_u64_e32 vcc, s[58:59], v[52:53]
	v_and_b32_sdwa v9, v16, s53 dst_sel:DWORD dst_unused:UNUSED_PAD src0_sel:BYTE_3 src1_sel:DWORD
                                        ; implicit-def: $vgpr35
	s_and_saveexec_b64 s[20:21], vcc
	s_xor_b64 s[90:91], exec, s[20:21]
	s_cbranch_execz .LBB6_5083
; %bb.5070:                             ;   in Loop: Header=BB6_4155 Depth=2
	v_cmp_ne_u32_e32 vcc, 0, v16
	v_mov_b32_e32 v35, 0
	s_and_saveexec_b64 s[92:93], vcc
	s_cbranch_execz .LBB6_5082
; %bb.5071:                             ;   in Loop: Header=BB6_4155 Depth=2
	v_bfe_u32 v29, v16, 23, 8
	v_and_b32_e32 v17, 0x7fffff, v16
	v_cmp_gt_u32_e64 s[20:21], s54, v29
	v_sub_u32_e32 v16, 0x79, v29
	v_cmp_eq_u32_e32 vcc, 0, v29
	v_cndmask_b32_e64 v16, 0, v16, s[20:21]
	v_mov_b32_e32 v30, 0x78
	v_cndmask_b32_e32 v30, v16, v30, vcc
	v_or_b32_e32 v18, 0x800000, v17
	v_add_u32_e32 v16, 20, v30
	v_cndmask_b32_e32 v52, v18, v17, vcc
	v_lshlrev_b64 v[16:17], v16, -1
	v_add_u32_e32 v18, 19, v30
	v_mov_b32_e32 v26, v32
	v_lshlrev_b64 v[31:32], v18, 1
	v_bfi_b32 v17, v17, 0, 0
	v_bfi_b32 v16, v16, 0, v52
	v_cmp_eq_u64_e64 s[20:21], v[16:17], v[31:32]
	v_lshrrev_b64 v[16:17], v30, v[52:53]
	v_mov_b32_e32 v18, v17
	v_mov_b32_e32 v17, v16
	s_and_saveexec_b64 s[94:95], s[20:21]
; %bb.5072:                             ;   in Loop: Header=BB6_4155 Depth=2
	v_bfe_u32 v17, v16, 20, 1
	v_add_co_u32_e64 v17, s[20:21], v16, v17
	v_add_co_u32_e64 v17, s[20:21], -1, v17
; %bb.5073:                             ;   in Loop: Header=BB6_4155 Depth=2
	s_or_b64 exec, exec, s[94:95]
	v_add_u32_e32 v18, 0xffffff81, v29
	v_mov_b32_e32 v29, 0xffffff82
	v_cndmask_b32_e32 v18, v18, v29, vcc
	v_lshrrev_b32_e32 v29, 23, v16
	v_add3_u32 v30, v30, v18, v29
	v_add_u32_e32 v29, 6, v30
	v_and_b32_e32 v17, 0xfffff, v17
	v_add_u32_e32 v52, v17, v16
	v_cmp_ne_u32_e32 vcc, 0, v29
                                        ; implicit-def: $vgpr16_vgpr17
                                        ; implicit-def: $vgpr18
	s_and_saveexec_b64 s[20:21], vcc
	s_xor_b64 s[20:21], exec, s[20:21]
; %bb.5074:                             ;   in Loop: Header=BB6_4155 Depth=2
	v_cmp_lt_u64_e32 vcc, s[60:61], v[52:53]
	v_add_u32_e32 v16, 7, v30
	v_cndmask_b32_e32 v18, v29, v16, vcc
	v_cndmask_b32_e64 v16, 0, 1, vcc
	v_lshrrev_b64 v[16:17], v16, v[52:53]
; %bb.5075:                             ;   in Loop: Header=BB6_4155 Depth=2
	s_or_saveexec_b64 s[20:21], s[20:21]
	v_mov_b32_e32 v32, v26
	s_xor_b64 exec, exec, s[20:21]
; %bb.5076:                             ;   in Loop: Header=BB6_4155 Depth=2
	v_mov_b32_e32 v16, v52
	v_mov_b32_e32 v17, v53
	v_bfe_u32 v18, v52, 23, 1
; %bb.5077:                             ;   in Loop: Header=BB6_4155 Depth=2
	s_or_b64 exec, exec, s[20:21]
	v_lshrrev_b64 v[16:17], 20, v[16:17]
	v_cmp_gt_i32_e32 vcc, 16, v18
	v_cndmask_b32_e32 v17, 0, v17, vcc
	v_cndmask_b32_e32 v16, 7, v16, vcc
	v_cmp_ne_u64_e32 vcc, 0, v[16:17]
	v_cmp_ne_u32_e64 s[20:21], 0, v18
	s_or_b64 s[20:21], s[20:21], vcc
                                        ; implicit-def: $vgpr35
	s_and_saveexec_b64 s[94:95], s[20:21]
	s_xor_b64 s[20:21], exec, s[94:95]
; %bb.5078:                             ;   in Loop: Header=BB6_4155 Depth=2
	v_min_i32_e32 v17, 15, v18
	v_lshl_or_b32 v9, v17, 3, v9
	v_and_or_b32 v35, v16, 7, v9
                                        ; implicit-def: $vgpr9
; %bb.5079:                             ;   in Loop: Header=BB6_4155 Depth=2
	s_andn2_saveexec_b64 s[20:21], s[20:21]
; %bb.5080:                             ;   in Loop: Header=BB6_4155 Depth=2
	v_mov_b32_e32 v35, v9
; %bb.5081:                             ;   in Loop: Header=BB6_4155 Depth=2
	s_or_b64 exec, exec, s[20:21]
.LBB6_5082:                             ;   in Loop: Header=BB6_4155 Depth=2
	s_or_b64 exec, exec, s[92:93]
                                        ; implicit-def: $vgpr9
.LBB6_5083:                             ;   in Loop: Header=BB6_4155 Depth=2
	s_andn2_saveexec_b64 s[20:21], s[90:91]
; %bb.5084:                             ;   in Loop: Header=BB6_4155 Depth=2
	v_or_b32_e32 v35, 0x7e, v9
; %bb.5085:                             ;   in Loop: Header=BB6_4155 Depth=2
	s_or_b64 exec, exec, s[20:21]
                                        ; implicit-def: $vgpr16
.LBB6_5086:                             ;   in Loop: Header=BB6_4155 Depth=2
	s_andn2_saveexec_b64 s[20:21], s[88:89]
; %bb.5087:                             ;   in Loop: Header=BB6_4155 Depth=2
	v_or_b32_sdwa v35, v16, s51 dst_sel:DWORD dst_unused:UNUSED_PAD src0_sel:BYTE_3 src1_sel:DWORD
; %bb.5088:                             ;   in Loop: Header=BB6_4155 Depth=2
	s_or_b64 exec, exec, s[20:21]
	v_and_b32_e32 v16, 0xff, v39
	v_cmp_ne_u16_e32 vcc, 0, v16
	v_mov_b32_e32 v9, 0
	v_mov_b32_e32 v17, 0
	s_and_saveexec_b64 s[20:21], vcc
	s_cbranch_execz .LBB6_5094
; %bb.5089:                             ;   in Loop: Header=BB6_4155 Depth=2
	v_cmp_ne_u16_e32 vcc, s53, v16
	v_bfrev_b32_e32 v17, 1
	s_and_saveexec_b64 s[88:89], vcc
	s_cbranch_execz .LBB6_5093
; %bb.5090:                             ;   in Loop: Header=BB6_4155 Depth=2
	v_and_b32_e32 v18, 0x7f, v39
	v_cmp_ne_u32_e32 vcc, s51, v18
	v_mov_b32_e32 v17, 0x7f800001
	s_and_saveexec_b64 s[90:91], vcc
	s_cbranch_execz .LBB6_5092
; %bb.5091:                             ;   in Loop: Header=BB6_4155 Depth=2
	v_and_b32_e32 v29, 7, v16
	v_ffbh_u32_e32 v17, v29
	v_lshrrev_b32_e32 v30, 3, v18
	v_cmp_gt_u32_e32 vcc, 8, v18
	v_min_u32_e32 v18, 32, v17
	v_subrev_u32_e32 v17, 28, v18
	v_lshlrev_b64 v[16:17], v17, v[16:17]
	v_sub_u32_e32 v17, 29, v18
	v_and_b32_e32 v16, 7, v16
	v_cndmask_b32_e32 v17, v30, v17, vcc
	v_cndmask_b32_e32 v16, v29, v16, vcc
	v_lshlrev_b32_e32 v18, 24, v39
	v_bfrev_b32_e32 v26, 60
	v_lshlrev_b32_e32 v16, 20, v16
	v_and_b32_e32 v18, 0x80000000, v18
	v_lshl_add_u32 v17, v17, 23, v26
	v_or3_b32 v17, v18, v17, v16
.LBB6_5092:                             ;   in Loop: Header=BB6_4155 Depth=2
	s_or_b64 exec, exec, s[90:91]
.LBB6_5093:                             ;   in Loop: Header=BB6_4155 Depth=2
	s_or_b64 exec, exec, s[88:89]
.LBB6_5094:                             ;   in Loop: Header=BB6_4155 Depth=2
	s_or_b64 exec, exec, s[20:21]
	v_and_b32_e32 v16, 0xff, v25
	v_cmp_ne_u16_e32 vcc, 0, v16
	s_and_saveexec_b64 s[20:21], vcc
	s_cbranch_execz .LBB6_5100
; %bb.5095:                             ;   in Loop: Header=BB6_4155 Depth=2
	v_cmp_ne_u16_e32 vcc, s53, v16
	v_bfrev_b32_e32 v9, 1
	s_and_saveexec_b64 s[88:89], vcc
	s_cbranch_execz .LBB6_5099
; %bb.5096:                             ;   in Loop: Header=BB6_4155 Depth=2
	v_and_b32_e32 v18, 0x7f, v25
	v_cmp_ne_u32_e32 vcc, s51, v18
	v_mov_b32_e32 v9, 0x7f800001
	s_and_saveexec_b64 s[90:91], vcc
	s_cbranch_execz .LBB6_5098
; %bb.5097:                             ;   in Loop: Header=BB6_4155 Depth=2
	v_and_b32_e32 v9, 7, v16
	v_lshrrev_b32_e32 v31, 3, v18
	v_cmp_gt_u32_e32 vcc, 8, v18
	v_ffbh_u32_e32 v18, v9
	v_min_u32_e32 v18, 32, v18
	v_subrev_u32_e32 v29, 28, v18
	v_lshlrev_b64 v[29:30], v29, v[16:17]
	v_sub_u32_e32 v16, 29, v18
	v_and_b32_e32 v18, 7, v29
	v_cndmask_b32_e32 v16, v31, v16, vcc
	v_cndmask_b32_e32 v9, v9, v18, vcc
	v_lshlrev_b32_e32 v18, 24, v25
	v_bfrev_b32_e32 v25, 60
	v_lshlrev_b32_e32 v9, 20, v9
	v_and_b32_e32 v18, 0x80000000, v18
	v_lshl_add_u32 v16, v16, 23, v25
	v_or3_b32 v9, v18, v16, v9
.LBB6_5098:                             ;   in Loop: Header=BB6_4155 Depth=2
	s_or_b64 exec, exec, s[90:91]
.LBB6_5099:                             ;   in Loop: Header=BB6_4155 Depth=2
	s_or_b64 exec, exec, s[88:89]
.LBB6_5100:                             ;   in Loop: Header=BB6_4155 Depth=2
	s_or_b64 exec, exec, s[20:21]
	v_add_f32_e32 v16, v17, v9
	v_and_b32_e32 v52, 0x7f800000, v16
	v_cmp_ne_u64_e32 vcc, s[56:57], v[52:53]
                                        ; implicit-def: $vgpr39
	s_and_saveexec_b64 s[20:21], vcc
	s_xor_b64 s[88:89], exec, s[20:21]
	s_cbranch_execz .LBB6_5118
; %bb.5101:                             ;   in Loop: Header=BB6_4155 Depth=2
	v_and_b32_e32 v52, 0x7fffffff, v16
	v_cmp_gt_u64_e32 vcc, s[58:59], v[52:53]
	v_and_b32_sdwa v9, v16, s53 dst_sel:DWORD dst_unused:UNUSED_PAD src0_sel:BYTE_3 src1_sel:DWORD
                                        ; implicit-def: $vgpr39
	s_and_saveexec_b64 s[20:21], vcc
	s_xor_b64 s[90:91], exec, s[20:21]
	s_cbranch_execz .LBB6_5115
; %bb.5102:                             ;   in Loop: Header=BB6_4155 Depth=2
	v_cmp_ne_u32_e32 vcc, 0, v16
	v_mov_b32_e32 v39, 0
	s_and_saveexec_b64 s[92:93], vcc
	s_cbranch_execz .LBB6_5114
; %bb.5103:                             ;   in Loop: Header=BB6_4155 Depth=2
	v_bfe_u32 v25, v16, 23, 8
	v_and_b32_e32 v17, 0x7fffff, v16
	v_cmp_gt_u32_e64 s[20:21], s54, v25
	v_sub_u32_e32 v16, 0x79, v25
	v_cmp_eq_u32_e32 vcc, 0, v25
	v_cndmask_b32_e64 v16, 0, v16, s[20:21]
	v_mov_b32_e32 v29, 0x78
	v_cndmask_b32_e32 v29, v16, v29, vcc
	v_or_b32_e32 v18, 0x800000, v17
	v_add_u32_e32 v16, 20, v29
	v_cndmask_b32_e32 v52, v18, v17, vcc
	v_lshlrev_b64 v[16:17], v16, -1
	v_add_u32_e32 v18, 19, v29
	v_lshlrev_b64 v[30:31], v18, 1
	v_bfi_b32 v17, v17, 0, 0
	v_bfi_b32 v16, v16, 0, v52
	v_cmp_eq_u64_e64 s[20:21], v[16:17], v[30:31]
	v_lshrrev_b64 v[16:17], v29, v[52:53]
	v_mov_b32_e32 v18, v17
	v_mov_b32_e32 v17, v16
	s_and_saveexec_b64 s[94:95], s[20:21]
; %bb.5104:                             ;   in Loop: Header=BB6_4155 Depth=2
	v_bfe_u32 v17, v16, 20, 1
	v_add_co_u32_e64 v17, s[20:21], v16, v17
	v_add_co_u32_e64 v17, s[20:21], -1, v17
; %bb.5105:                             ;   in Loop: Header=BB6_4155 Depth=2
	s_or_b64 exec, exec, s[94:95]
	v_add_u32_e32 v18, 0xffffff81, v25
	v_mov_b32_e32 v25, 0xffffff82
	v_cndmask_b32_e32 v18, v18, v25, vcc
	v_lshrrev_b32_e32 v25, 23, v16
	v_add3_u32 v29, v29, v18, v25
	v_add_u32_e32 v25, 6, v29
	v_and_b32_e32 v17, 0xfffff, v17
	v_add_u32_e32 v52, v17, v16
	v_cmp_ne_u32_e32 vcc, 0, v25
                                        ; implicit-def: $vgpr16_vgpr17
                                        ; implicit-def: $vgpr18
	s_and_saveexec_b64 s[20:21], vcc
	s_xor_b64 s[20:21], exec, s[20:21]
; %bb.5106:                             ;   in Loop: Header=BB6_4155 Depth=2
	v_cmp_lt_u64_e32 vcc, s[60:61], v[52:53]
	v_add_u32_e32 v16, 7, v29
	v_cndmask_b32_e32 v18, v25, v16, vcc
	v_cndmask_b32_e64 v16, 0, 1, vcc
	v_lshrrev_b64 v[16:17], v16, v[52:53]
; %bb.5107:                             ;   in Loop: Header=BB6_4155 Depth=2
	s_andn2_saveexec_b64 s[20:21], s[20:21]
; %bb.5108:                             ;   in Loop: Header=BB6_4155 Depth=2
	v_mov_b32_e32 v16, v52
	v_mov_b32_e32 v17, v53
	v_bfe_u32 v18, v52, 23, 1
; %bb.5109:                             ;   in Loop: Header=BB6_4155 Depth=2
	s_or_b64 exec, exec, s[20:21]
	v_lshrrev_b64 v[16:17], 20, v[16:17]
	v_cmp_gt_i32_e32 vcc, 16, v18
	v_cndmask_b32_e32 v17, 0, v17, vcc
	v_cndmask_b32_e32 v16, 7, v16, vcc
	v_cmp_ne_u64_e32 vcc, 0, v[16:17]
	v_cmp_ne_u32_e64 s[20:21], 0, v18
	s_or_b64 s[20:21], s[20:21], vcc
                                        ; implicit-def: $vgpr39
	s_and_saveexec_b64 s[94:95], s[20:21]
	s_xor_b64 s[20:21], exec, s[94:95]
; %bb.5110:                             ;   in Loop: Header=BB6_4155 Depth=2
	v_min_i32_e32 v17, 15, v18
	v_lshl_or_b32 v9, v17, 3, v9
	v_and_or_b32 v39, v16, 7, v9
                                        ; implicit-def: $vgpr9
; %bb.5111:                             ;   in Loop: Header=BB6_4155 Depth=2
	s_andn2_saveexec_b64 s[20:21], s[20:21]
; %bb.5112:                             ;   in Loop: Header=BB6_4155 Depth=2
	v_mov_b32_e32 v39, v9
; %bb.5113:                             ;   in Loop: Header=BB6_4155 Depth=2
	s_or_b64 exec, exec, s[20:21]
.LBB6_5114:                             ;   in Loop: Header=BB6_4155 Depth=2
	s_or_b64 exec, exec, s[92:93]
                                        ; implicit-def: $vgpr9
.LBB6_5115:                             ;   in Loop: Header=BB6_4155 Depth=2
	s_andn2_saveexec_b64 s[20:21], s[90:91]
; %bb.5116:                             ;   in Loop: Header=BB6_4155 Depth=2
	v_or_b32_e32 v39, 0x7e, v9
; %bb.5117:                             ;   in Loop: Header=BB6_4155 Depth=2
	s_or_b64 exec, exec, s[20:21]
                                        ; implicit-def: $vgpr16
.LBB6_5118:                             ;   in Loop: Header=BB6_4155 Depth=2
	s_andn2_saveexec_b64 s[20:21], s[88:89]
; %bb.5119:                             ;   in Loop: Header=BB6_4155 Depth=2
	v_or_b32_sdwa v39, v16, s51 dst_sel:DWORD dst_unused:UNUSED_PAD src0_sel:BYTE_3 src1_sel:DWORD
; %bb.5120:                             ;   in Loop: Header=BB6_4155 Depth=2
	s_or_b64 exec, exec, s[20:21]
	v_and_b32_e32 v16, 0xff, v46
	v_cmp_ne_u16_e32 vcc, 0, v16
	v_mov_b32_e32 v9, 0
	v_mov_b32_e32 v17, 0
	s_and_saveexec_b64 s[20:21], vcc
	s_cbranch_execz .LBB6_5126
; %bb.5121:                             ;   in Loop: Header=BB6_4155 Depth=2
	v_cmp_ne_u16_e32 vcc, s53, v16
	v_bfrev_b32_e32 v17, 1
	s_and_saveexec_b64 s[88:89], vcc
	s_cbranch_execz .LBB6_5125
; %bb.5122:                             ;   in Loop: Header=BB6_4155 Depth=2
	v_and_b32_e32 v18, 0x7f, v46
	v_cmp_ne_u32_e32 vcc, s51, v18
	v_mov_b32_e32 v17, 0x7f800001
	s_and_saveexec_b64 s[90:91], vcc
	s_cbranch_execz .LBB6_5124
; %bb.5123:                             ;   in Loop: Header=BB6_4155 Depth=2
	v_and_b32_e32 v25, 7, v16
	v_ffbh_u32_e32 v17, v25
	v_lshrrev_b32_e32 v29, 3, v18
	v_cmp_gt_u32_e32 vcc, 8, v18
	v_min_u32_e32 v18, 32, v17
	v_subrev_u32_e32 v17, 28, v18
	v_lshlrev_b64 v[16:17], v17, v[16:17]
	v_sub_u32_e32 v17, 29, v18
	v_and_b32_e32 v16, 7, v16
	v_cndmask_b32_e32 v17, v29, v17, vcc
	v_cndmask_b32_e32 v16, v25, v16, vcc
	v_lshlrev_b32_e32 v18, 24, v46
	v_bfrev_b32_e32 v25, 60
	v_lshlrev_b32_e32 v16, 20, v16
	v_and_b32_e32 v18, 0x80000000, v18
	v_lshl_add_u32 v17, v17, 23, v25
	v_or3_b32 v17, v18, v17, v16
.LBB6_5124:                             ;   in Loop: Header=BB6_4155 Depth=2
	s_or_b64 exec, exec, s[90:91]
.LBB6_5125:                             ;   in Loop: Header=BB6_4155 Depth=2
	s_or_b64 exec, exec, s[88:89]
.LBB6_5126:                             ;   in Loop: Header=BB6_4155 Depth=2
	s_or_b64 exec, exec, s[20:21]
	v_and_b32_e32 v16, 0xff, v23
	v_cmp_ne_u16_e32 vcc, 0, v16
	s_and_saveexec_b64 s[20:21], vcc
	s_cbranch_execz .LBB6_5132
; %bb.5127:                             ;   in Loop: Header=BB6_4155 Depth=2
	v_cmp_ne_u16_e32 vcc, s53, v16
	v_bfrev_b32_e32 v9, 1
	s_and_saveexec_b64 s[88:89], vcc
	s_cbranch_execz .LBB6_5131
; %bb.5128:                             ;   in Loop: Header=BB6_4155 Depth=2
	v_and_b32_e32 v18, 0x7f, v23
	v_cmp_ne_u32_e32 vcc, s51, v18
	v_mov_b32_e32 v9, 0x7f800001
	s_and_saveexec_b64 s[90:91], vcc
	s_cbranch_execz .LBB6_5130
; %bb.5129:                             ;   in Loop: Header=BB6_4155 Depth=2
	v_and_b32_e32 v9, 7, v16
	v_lshrrev_b32_e32 v25, 3, v18
	v_cmp_gt_u32_e32 vcc, 8, v18
	v_ffbh_u32_e32 v18, v9
	v_min_u32_e32 v18, 32, v18
	v_subrev_u32_e32 v29, 28, v18
	v_lshlrev_b64 v[29:30], v29, v[16:17]
	v_sub_u32_e32 v16, 29, v18
	v_and_b32_e32 v18, 7, v29
	v_cndmask_b32_e32 v16, v25, v16, vcc
	v_cndmask_b32_e32 v9, v9, v18, vcc
	v_lshlrev_b32_e32 v18, 24, v23
	v_bfrev_b32_e32 v23, 60
	v_lshlrev_b32_e32 v9, 20, v9
	v_and_b32_e32 v18, 0x80000000, v18
	v_lshl_add_u32 v16, v16, 23, v23
	v_or3_b32 v9, v18, v16, v9
.LBB6_5130:                             ;   in Loop: Header=BB6_4155 Depth=2
	s_or_b64 exec, exec, s[90:91]
.LBB6_5131:                             ;   in Loop: Header=BB6_4155 Depth=2
	s_or_b64 exec, exec, s[88:89]
.LBB6_5132:                             ;   in Loop: Header=BB6_4155 Depth=2
	s_or_b64 exec, exec, s[20:21]
	v_add_f32_e32 v16, v17, v9
	v_and_b32_e32 v52, 0x7f800000, v16
	v_cmp_ne_u64_e32 vcc, s[56:57], v[52:53]
                                        ; implicit-def: $vgpr46
	s_and_saveexec_b64 s[20:21], vcc
	s_xor_b64 s[88:89], exec, s[20:21]
	s_cbranch_execz .LBB6_5150
; %bb.5133:                             ;   in Loop: Header=BB6_4155 Depth=2
	v_and_b32_e32 v52, 0x7fffffff, v16
	v_cmp_gt_u64_e32 vcc, s[58:59], v[52:53]
	v_and_b32_sdwa v9, v16, s53 dst_sel:DWORD dst_unused:UNUSED_PAD src0_sel:BYTE_3 src1_sel:DWORD
                                        ; implicit-def: $vgpr46
	s_and_saveexec_b64 s[20:21], vcc
	s_xor_b64 s[90:91], exec, s[20:21]
	s_cbranch_execz .LBB6_5147
; %bb.5134:                             ;   in Loop: Header=BB6_4155 Depth=2
	v_cmp_ne_u32_e32 vcc, 0, v16
	v_mov_b32_e32 v46, 0
	s_and_saveexec_b64 s[92:93], vcc
	s_cbranch_execz .LBB6_5146
; %bb.5135:                             ;   in Loop: Header=BB6_4155 Depth=2
	v_bfe_u32 v23, v16, 23, 8
	v_and_b32_e32 v17, 0x7fffff, v16
	v_cmp_gt_u32_e64 s[20:21], s54, v23
	v_sub_u32_e32 v16, 0x79, v23
	v_cmp_eq_u32_e32 vcc, 0, v23
	v_cndmask_b32_e64 v16, 0, v16, s[20:21]
	v_mov_b32_e32 v25, 0x78
	v_cndmask_b32_e32 v25, v16, v25, vcc
	v_or_b32_e32 v18, 0x800000, v17
	v_add_u32_e32 v16, 20, v25
	v_cndmask_b32_e32 v52, v18, v17, vcc
	v_lshlrev_b64 v[16:17], v16, -1
	v_add_u32_e32 v18, 19, v25
	v_lshlrev_b64 v[29:30], v18, 1
	v_bfi_b32 v17, v17, 0, 0
	v_bfi_b32 v16, v16, 0, v52
	v_cmp_eq_u64_e64 s[20:21], v[16:17], v[29:30]
	v_lshrrev_b64 v[16:17], v25, v[52:53]
	v_mov_b32_e32 v18, v17
	v_mov_b32_e32 v17, v16
	s_and_saveexec_b64 s[94:95], s[20:21]
; %bb.5136:                             ;   in Loop: Header=BB6_4155 Depth=2
	v_bfe_u32 v17, v16, 20, 1
	v_add_co_u32_e64 v17, s[20:21], v16, v17
	v_add_co_u32_e64 v17, s[20:21], -1, v17
; %bb.5137:                             ;   in Loop: Header=BB6_4155 Depth=2
	s_or_b64 exec, exec, s[94:95]
	v_add_u32_e32 v18, 0xffffff81, v23
	v_mov_b32_e32 v23, 0xffffff82
	v_cndmask_b32_e32 v18, v18, v23, vcc
	v_lshrrev_b32_e32 v23, 23, v16
	v_add3_u32 v25, v25, v18, v23
	v_add_u32_e32 v23, 6, v25
	v_and_b32_e32 v17, 0xfffff, v17
	v_add_u32_e32 v52, v17, v16
	v_cmp_ne_u32_e32 vcc, 0, v23
                                        ; implicit-def: $vgpr16_vgpr17
                                        ; implicit-def: $vgpr18
	s_and_saveexec_b64 s[20:21], vcc
	s_xor_b64 s[20:21], exec, s[20:21]
; %bb.5138:                             ;   in Loop: Header=BB6_4155 Depth=2
	v_cmp_lt_u64_e32 vcc, s[60:61], v[52:53]
	v_add_u32_e32 v16, 7, v25
	v_cndmask_b32_e32 v18, v23, v16, vcc
	v_cndmask_b32_e64 v16, 0, 1, vcc
	v_lshrrev_b64 v[16:17], v16, v[52:53]
; %bb.5139:                             ;   in Loop: Header=BB6_4155 Depth=2
	s_andn2_saveexec_b64 s[20:21], s[20:21]
; %bb.5140:                             ;   in Loop: Header=BB6_4155 Depth=2
	v_mov_b32_e32 v16, v52
	v_mov_b32_e32 v17, v53
	v_bfe_u32 v18, v52, 23, 1
; %bb.5141:                             ;   in Loop: Header=BB6_4155 Depth=2
	s_or_b64 exec, exec, s[20:21]
	v_lshrrev_b64 v[16:17], 20, v[16:17]
	v_cmp_gt_i32_e32 vcc, 16, v18
	v_cndmask_b32_e32 v17, 0, v17, vcc
	v_cndmask_b32_e32 v16, 7, v16, vcc
	v_cmp_ne_u64_e32 vcc, 0, v[16:17]
	v_cmp_ne_u32_e64 s[20:21], 0, v18
	s_or_b64 s[20:21], s[20:21], vcc
                                        ; implicit-def: $vgpr46
	s_and_saveexec_b64 s[94:95], s[20:21]
	s_xor_b64 s[20:21], exec, s[94:95]
; %bb.5142:                             ;   in Loop: Header=BB6_4155 Depth=2
	v_min_i32_e32 v17, 15, v18
	v_lshl_or_b32 v9, v17, 3, v9
	v_and_or_b32 v46, v16, 7, v9
                                        ; implicit-def: $vgpr9
; %bb.5143:                             ;   in Loop: Header=BB6_4155 Depth=2
	s_andn2_saveexec_b64 s[20:21], s[20:21]
; %bb.5144:                             ;   in Loop: Header=BB6_4155 Depth=2
	v_mov_b32_e32 v46, v9
; %bb.5145:                             ;   in Loop: Header=BB6_4155 Depth=2
	s_or_b64 exec, exec, s[20:21]
.LBB6_5146:                             ;   in Loop: Header=BB6_4155 Depth=2
	s_or_b64 exec, exec, s[92:93]
                                        ; implicit-def: $vgpr9
.LBB6_5147:                             ;   in Loop: Header=BB6_4155 Depth=2
	s_andn2_saveexec_b64 s[20:21], s[90:91]
; %bb.5148:                             ;   in Loop: Header=BB6_4155 Depth=2
	v_or_b32_e32 v46, 0x7e, v9
; %bb.5149:                             ;   in Loop: Header=BB6_4155 Depth=2
	s_or_b64 exec, exec, s[20:21]
                                        ; implicit-def: $vgpr16
.LBB6_5150:                             ;   in Loop: Header=BB6_4155 Depth=2
	s_andn2_saveexec_b64 s[20:21], s[88:89]
; %bb.5151:                             ;   in Loop: Header=BB6_4155 Depth=2
	v_or_b32_sdwa v46, v16, s51 dst_sel:DWORD dst_unused:UNUSED_PAD src0_sel:BYTE_3 src1_sel:DWORD
; %bb.5152:                             ;   in Loop: Header=BB6_4155 Depth=2
	s_or_b64 exec, exec, s[20:21]
	v_and_b32_e32 v16, 0xff, v57
	v_cmp_ne_u16_e32 vcc, 0, v16
	v_mov_b32_e32 v9, 0
	v_mov_b32_e32 v17, 0
	s_and_saveexec_b64 s[20:21], vcc
	s_cbranch_execz .LBB6_5158
; %bb.5153:                             ;   in Loop: Header=BB6_4155 Depth=2
	v_cmp_ne_u16_e32 vcc, s53, v16
	v_bfrev_b32_e32 v17, 1
	s_and_saveexec_b64 s[88:89], vcc
	s_cbranch_execz .LBB6_5157
; %bb.5154:                             ;   in Loop: Header=BB6_4155 Depth=2
	v_and_b32_e32 v18, 0x7f, v57
	v_cmp_ne_u32_e32 vcc, s51, v18
	v_mov_b32_e32 v17, 0x7f800001
	s_and_saveexec_b64 s[90:91], vcc
	s_cbranch_execz .LBB6_5156
; %bb.5155:                             ;   in Loop: Header=BB6_4155 Depth=2
	v_and_b32_e32 v23, 7, v16
	v_ffbh_u32_e32 v17, v23
	v_lshrrev_b32_e32 v25, 3, v18
	v_cmp_gt_u32_e32 vcc, 8, v18
	v_min_u32_e32 v18, 32, v17
	v_subrev_u32_e32 v17, 28, v18
	v_lshlrev_b64 v[16:17], v17, v[16:17]
	v_sub_u32_e32 v17, 29, v18
	v_and_b32_e32 v16, 7, v16
	v_cndmask_b32_e32 v17, v25, v17, vcc
	v_cndmask_b32_e32 v16, v23, v16, vcc
	v_lshlrev_b32_e32 v18, 24, v57
	v_bfrev_b32_e32 v23, 60
	v_lshlrev_b32_e32 v16, 20, v16
	v_and_b32_e32 v18, 0x80000000, v18
	v_lshl_add_u32 v17, v17, 23, v23
	v_or3_b32 v17, v18, v17, v16
.LBB6_5156:                             ;   in Loop: Header=BB6_4155 Depth=2
	s_or_b64 exec, exec, s[90:91]
.LBB6_5157:                             ;   in Loop: Header=BB6_4155 Depth=2
	s_or_b64 exec, exec, s[88:89]
.LBB6_5158:                             ;   in Loop: Header=BB6_4155 Depth=2
	s_or_b64 exec, exec, s[20:21]
	v_and_b32_e32 v16, 0xff, v22
	v_cmp_ne_u16_e32 vcc, 0, v16
	s_and_saveexec_b64 s[20:21], vcc
	s_cbranch_execz .LBB6_5164
; %bb.5159:                             ;   in Loop: Header=BB6_4155 Depth=2
	v_cmp_ne_u16_e32 vcc, s53, v16
	v_bfrev_b32_e32 v9, 1
	s_and_saveexec_b64 s[88:89], vcc
	s_cbranch_execz .LBB6_5163
; %bb.5160:                             ;   in Loop: Header=BB6_4155 Depth=2
	v_and_b32_e32 v18, 0x7f, v22
	v_cmp_ne_u32_e32 vcc, s51, v18
	v_mov_b32_e32 v9, 0x7f800001
	s_and_saveexec_b64 s[90:91], vcc
	s_cbranch_execz .LBB6_5162
; %bb.5161:                             ;   in Loop: Header=BB6_4155 Depth=2
	v_and_b32_e32 v9, 7, v16
	v_lshrrev_b32_e32 v23, 3, v18
	v_cmp_gt_u32_e32 vcc, 8, v18
	v_ffbh_u32_e32 v18, v9
	v_min_u32_e32 v18, 32, v18
	v_subrev_u32_e32 v25, 28, v18
	v_lshlrev_b64 v[29:30], v25, v[16:17]
	v_sub_u32_e32 v16, 29, v18
	v_and_b32_e32 v18, 7, v29
	v_cndmask_b32_e32 v16, v23, v16, vcc
	v_cndmask_b32_e32 v9, v9, v18, vcc
	v_lshlrev_b32_e32 v18, 24, v22
	v_bfrev_b32_e32 v22, 60
	v_lshlrev_b32_e32 v9, 20, v9
	v_and_b32_e32 v18, 0x80000000, v18
	v_lshl_add_u32 v16, v16, 23, v22
	v_or3_b32 v9, v18, v16, v9
.LBB6_5162:                             ;   in Loop: Header=BB6_4155 Depth=2
	s_or_b64 exec, exec, s[90:91]
.LBB6_5163:                             ;   in Loop: Header=BB6_4155 Depth=2
	s_or_b64 exec, exec, s[88:89]
.LBB6_5164:                             ;   in Loop: Header=BB6_4155 Depth=2
	s_or_b64 exec, exec, s[20:21]
	v_add_f32_e32 v16, v17, v9
	v_and_b32_e32 v52, 0x7f800000, v16
	v_cmp_ne_u64_e32 vcc, s[56:57], v[52:53]
                                        ; implicit-def: $vgpr57
	s_and_saveexec_b64 s[20:21], vcc
	s_xor_b64 s[88:89], exec, s[20:21]
	s_cbranch_execz .LBB6_5182
; %bb.5165:                             ;   in Loop: Header=BB6_4155 Depth=2
	v_and_b32_e32 v52, 0x7fffffff, v16
	v_cmp_gt_u64_e32 vcc, s[58:59], v[52:53]
	v_and_b32_sdwa v9, v16, s53 dst_sel:DWORD dst_unused:UNUSED_PAD src0_sel:BYTE_3 src1_sel:DWORD
                                        ; implicit-def: $vgpr57
	s_and_saveexec_b64 s[20:21], vcc
	s_xor_b64 s[90:91], exec, s[20:21]
	s_cbranch_execz .LBB6_5179
; %bb.5166:                             ;   in Loop: Header=BB6_4155 Depth=2
	v_cmp_ne_u32_e32 vcc, 0, v16
	v_mov_b32_e32 v57, 0
	s_and_saveexec_b64 s[92:93], vcc
	s_cbranch_execz .LBB6_5178
; %bb.5167:                             ;   in Loop: Header=BB6_4155 Depth=2
	v_bfe_u32 v22, v16, 23, 8
	v_and_b32_e32 v17, 0x7fffff, v16
	v_cmp_gt_u32_e64 s[20:21], s54, v22
	v_sub_u32_e32 v16, 0x79, v22
	v_cmp_eq_u32_e32 vcc, 0, v22
	v_cndmask_b32_e64 v16, 0, v16, s[20:21]
	v_mov_b32_e32 v23, 0x78
	v_cndmask_b32_e32 v23, v16, v23, vcc
	v_or_b32_e32 v18, 0x800000, v17
	v_add_u32_e32 v16, 20, v23
	v_cndmask_b32_e32 v52, v18, v17, vcc
	v_lshlrev_b64 v[16:17], v16, -1
	v_add_u32_e32 v18, 19, v23
	v_lshlrev_b64 v[29:30], v18, 1
	v_bfi_b32 v17, v17, 0, 0
	v_bfi_b32 v16, v16, 0, v52
	v_cmp_eq_u64_e64 s[20:21], v[16:17], v[29:30]
	v_lshrrev_b64 v[16:17], v23, v[52:53]
	v_mov_b32_e32 v18, v17
	v_mov_b32_e32 v17, v16
	s_and_saveexec_b64 s[94:95], s[20:21]
; %bb.5168:                             ;   in Loop: Header=BB6_4155 Depth=2
	v_bfe_u32 v17, v16, 20, 1
	v_add_co_u32_e64 v17, s[20:21], v16, v17
	v_add_co_u32_e64 v17, s[20:21], -1, v17
; %bb.5169:                             ;   in Loop: Header=BB6_4155 Depth=2
	s_or_b64 exec, exec, s[94:95]
	v_add_u32_e32 v18, 0xffffff81, v22
	v_mov_b32_e32 v22, 0xffffff82
	v_cndmask_b32_e32 v18, v18, v22, vcc
	v_lshrrev_b32_e32 v22, 23, v16
	v_add3_u32 v23, v23, v18, v22
	v_add_u32_e32 v22, 6, v23
	v_and_b32_e32 v17, 0xfffff, v17
	v_add_u32_e32 v52, v17, v16
	v_cmp_ne_u32_e32 vcc, 0, v22
                                        ; implicit-def: $vgpr16_vgpr17
                                        ; implicit-def: $vgpr18
	s_and_saveexec_b64 s[20:21], vcc
	s_xor_b64 s[20:21], exec, s[20:21]
; %bb.5170:                             ;   in Loop: Header=BB6_4155 Depth=2
	v_cmp_lt_u64_e32 vcc, s[60:61], v[52:53]
	v_add_u32_e32 v16, 7, v23
	v_cndmask_b32_e32 v18, v22, v16, vcc
	v_cndmask_b32_e64 v16, 0, 1, vcc
	v_lshrrev_b64 v[16:17], v16, v[52:53]
; %bb.5171:                             ;   in Loop: Header=BB6_4155 Depth=2
	s_andn2_saveexec_b64 s[20:21], s[20:21]
; %bb.5172:                             ;   in Loop: Header=BB6_4155 Depth=2
	v_mov_b32_e32 v16, v52
	v_mov_b32_e32 v17, v53
	v_bfe_u32 v18, v52, 23, 1
; %bb.5173:                             ;   in Loop: Header=BB6_4155 Depth=2
	s_or_b64 exec, exec, s[20:21]
	v_lshrrev_b64 v[16:17], 20, v[16:17]
	v_cmp_gt_i32_e32 vcc, 16, v18
	v_cndmask_b32_e32 v17, 0, v17, vcc
	v_cndmask_b32_e32 v16, 7, v16, vcc
	v_cmp_ne_u64_e32 vcc, 0, v[16:17]
	v_cmp_ne_u32_e64 s[20:21], 0, v18
	s_or_b64 s[20:21], s[20:21], vcc
                                        ; implicit-def: $vgpr57
	s_and_saveexec_b64 s[94:95], s[20:21]
	s_xor_b64 s[20:21], exec, s[94:95]
; %bb.5174:                             ;   in Loop: Header=BB6_4155 Depth=2
	v_min_i32_e32 v17, 15, v18
	v_lshl_or_b32 v9, v17, 3, v9
	v_and_or_b32 v57, v16, 7, v9
                                        ; implicit-def: $vgpr9
; %bb.5175:                             ;   in Loop: Header=BB6_4155 Depth=2
	s_andn2_saveexec_b64 s[20:21], s[20:21]
; %bb.5176:                             ;   in Loop: Header=BB6_4155 Depth=2
	v_mov_b32_e32 v57, v9
; %bb.5177:                             ;   in Loop: Header=BB6_4155 Depth=2
	s_or_b64 exec, exec, s[20:21]
.LBB6_5178:                             ;   in Loop: Header=BB6_4155 Depth=2
	s_or_b64 exec, exec, s[92:93]
                                        ; implicit-def: $vgpr9
.LBB6_5179:                             ;   in Loop: Header=BB6_4155 Depth=2
	s_andn2_saveexec_b64 s[20:21], s[90:91]
; %bb.5180:                             ;   in Loop: Header=BB6_4155 Depth=2
	v_or_b32_e32 v57, 0x7e, v9
; %bb.5181:                             ;   in Loop: Header=BB6_4155 Depth=2
	s_or_b64 exec, exec, s[20:21]
                                        ; implicit-def: $vgpr16
.LBB6_5182:                             ;   in Loop: Header=BB6_4155 Depth=2
	s_andn2_saveexec_b64 s[20:21], s[88:89]
; %bb.5183:                             ;   in Loop: Header=BB6_4155 Depth=2
	v_or_b32_sdwa v57, v16, s51 dst_sel:DWORD dst_unused:UNUSED_PAD src0_sel:BYTE_3 src1_sel:DWORD
; %bb.5184:                             ;   in Loop: Header=BB6_4155 Depth=2
	s_or_b64 exec, exec, s[20:21]
	v_and_b32_e32 v16, 0xff, v56
	v_cmp_ne_u16_e32 vcc, 0, v16
	v_mov_b32_e32 v9, 0
	v_mov_b32_e32 v17, 0
	s_and_saveexec_b64 s[20:21], vcc
	s_cbranch_execz .LBB6_5190
; %bb.5185:                             ;   in Loop: Header=BB6_4155 Depth=2
	v_cmp_ne_u16_e32 vcc, s53, v16
	v_bfrev_b32_e32 v17, 1
	s_and_saveexec_b64 s[88:89], vcc
	s_cbranch_execz .LBB6_5189
; %bb.5186:                             ;   in Loop: Header=BB6_4155 Depth=2
	v_and_b32_e32 v18, 0x7f, v56
	v_cmp_ne_u32_e32 vcc, s51, v18
	v_mov_b32_e32 v17, 0x7f800001
	s_and_saveexec_b64 s[90:91], vcc
	s_cbranch_execz .LBB6_5188
; %bb.5187:                             ;   in Loop: Header=BB6_4155 Depth=2
	v_and_b32_e32 v22, 7, v16
	v_ffbh_u32_e32 v17, v22
	v_lshrrev_b32_e32 v23, 3, v18
	v_cmp_gt_u32_e32 vcc, 8, v18
	v_min_u32_e32 v18, 32, v17
	v_subrev_u32_e32 v17, 28, v18
	v_lshlrev_b64 v[16:17], v17, v[16:17]
	v_sub_u32_e32 v17, 29, v18
	v_and_b32_e32 v16, 7, v16
	v_cndmask_b32_e32 v17, v23, v17, vcc
	v_cndmask_b32_e32 v16, v22, v16, vcc
	v_lshlrev_b32_e32 v18, 24, v56
	v_bfrev_b32_e32 v22, 60
	v_lshlrev_b32_e32 v16, 20, v16
	v_and_b32_e32 v18, 0x80000000, v18
	v_lshl_add_u32 v17, v17, 23, v22
	v_or3_b32 v17, v18, v17, v16
.LBB6_5188:                             ;   in Loop: Header=BB6_4155 Depth=2
	s_or_b64 exec, exec, s[90:91]
.LBB6_5189:                             ;   in Loop: Header=BB6_4155 Depth=2
	s_or_b64 exec, exec, s[88:89]
.LBB6_5190:                             ;   in Loop: Header=BB6_4155 Depth=2
	s_or_b64 exec, exec, s[20:21]
	v_and_b32_e32 v16, 0xff, v21
	v_cmp_ne_u16_e32 vcc, 0, v16
	s_and_saveexec_b64 s[20:21], vcc
	s_cbranch_execz .LBB6_5196
; %bb.5191:                             ;   in Loop: Header=BB6_4155 Depth=2
	v_cmp_ne_u16_e32 vcc, s53, v16
	v_bfrev_b32_e32 v9, 1
	s_and_saveexec_b64 s[88:89], vcc
	s_cbranch_execz .LBB6_5195
; %bb.5192:                             ;   in Loop: Header=BB6_4155 Depth=2
	v_and_b32_e32 v18, 0x7f, v21
	v_cmp_ne_u32_e32 vcc, s51, v18
	v_mov_b32_e32 v9, 0x7f800001
	s_and_saveexec_b64 s[90:91], vcc
	s_cbranch_execz .LBB6_5194
; %bb.5193:                             ;   in Loop: Header=BB6_4155 Depth=2
	v_and_b32_e32 v9, 7, v16
	v_lshrrev_b32_e32 v25, 3, v18
	v_cmp_gt_u32_e32 vcc, 8, v18
	v_ffbh_u32_e32 v18, v9
	v_min_u32_e32 v18, 32, v18
	v_subrev_u32_e32 v22, 28, v18
	v_lshlrev_b64 v[22:23], v22, v[16:17]
	v_sub_u32_e32 v16, 29, v18
	v_and_b32_e32 v18, 7, v22
	v_cndmask_b32_e32 v16, v25, v16, vcc
	v_cndmask_b32_e32 v9, v9, v18, vcc
	v_lshlrev_b32_e32 v18, 24, v21
	v_bfrev_b32_e32 v21, 60
	v_lshlrev_b32_e32 v9, 20, v9
	v_and_b32_e32 v18, 0x80000000, v18
	v_lshl_add_u32 v16, v16, 23, v21
	v_or3_b32 v9, v18, v16, v9
.LBB6_5194:                             ;   in Loop: Header=BB6_4155 Depth=2
	s_or_b64 exec, exec, s[90:91]
.LBB6_5195:                             ;   in Loop: Header=BB6_4155 Depth=2
	s_or_b64 exec, exec, s[88:89]
.LBB6_5196:                             ;   in Loop: Header=BB6_4155 Depth=2
	s_or_b64 exec, exec, s[20:21]
	v_add_f32_e32 v16, v17, v9
	v_and_b32_e32 v52, 0x7f800000, v16
	v_cmp_ne_u64_e32 vcc, s[56:57], v[52:53]
                                        ; implicit-def: $vgpr56
	s_and_saveexec_b64 s[20:21], vcc
	s_xor_b64 s[88:89], exec, s[20:21]
	s_cbranch_execz .LBB6_5214
; %bb.5197:                             ;   in Loop: Header=BB6_4155 Depth=2
	v_and_b32_e32 v52, 0x7fffffff, v16
	v_cmp_gt_u64_e32 vcc, s[58:59], v[52:53]
	v_and_b32_sdwa v9, v16, s53 dst_sel:DWORD dst_unused:UNUSED_PAD src0_sel:BYTE_3 src1_sel:DWORD
                                        ; implicit-def: $vgpr56
	s_and_saveexec_b64 s[20:21], vcc
	s_xor_b64 s[90:91], exec, s[20:21]
	s_cbranch_execz .LBB6_5211
; %bb.5198:                             ;   in Loop: Header=BB6_4155 Depth=2
	v_cmp_ne_u32_e32 vcc, 0, v16
	v_mov_b32_e32 v56, 0
	s_and_saveexec_b64 s[92:93], vcc
	s_cbranch_execz .LBB6_5210
; %bb.5199:                             ;   in Loop: Header=BB6_4155 Depth=2
	v_bfe_u32 v21, v16, 23, 8
	v_and_b32_e32 v17, 0x7fffff, v16
	v_cmp_gt_u32_e64 s[20:21], s54, v21
	v_sub_u32_e32 v16, 0x79, v21
	v_cmp_eq_u32_e32 vcc, 0, v21
	v_cndmask_b32_e64 v16, 0, v16, s[20:21]
	v_mov_b32_e32 v22, 0x78
	v_cndmask_b32_e32 v22, v16, v22, vcc
	v_or_b32_e32 v18, 0x800000, v17
	v_add_u32_e32 v16, 20, v22
	v_cndmask_b32_e32 v52, v18, v17, vcc
	v_lshlrev_b64 v[16:17], v16, -1
	v_add_u32_e32 v18, 19, v22
	v_lshlrev_b64 v[29:30], v18, 1
	v_bfi_b32 v17, v17, 0, 0
	v_bfi_b32 v16, v16, 0, v52
	v_cmp_eq_u64_e64 s[20:21], v[16:17], v[29:30]
	v_lshrrev_b64 v[16:17], v22, v[52:53]
	v_mov_b32_e32 v18, v17
	v_mov_b32_e32 v17, v16
	s_and_saveexec_b64 s[94:95], s[20:21]
; %bb.5200:                             ;   in Loop: Header=BB6_4155 Depth=2
	v_bfe_u32 v17, v16, 20, 1
	v_add_co_u32_e64 v17, s[20:21], v16, v17
	v_add_co_u32_e64 v17, s[20:21], -1, v17
; %bb.5201:                             ;   in Loop: Header=BB6_4155 Depth=2
	s_or_b64 exec, exec, s[94:95]
	v_add_u32_e32 v18, 0xffffff81, v21
	v_mov_b32_e32 v21, 0xffffff82
	v_cndmask_b32_e32 v18, v18, v21, vcc
	v_lshrrev_b32_e32 v21, 23, v16
	v_add3_u32 v22, v22, v18, v21
	v_add_u32_e32 v21, 6, v22
	v_and_b32_e32 v17, 0xfffff, v17
	v_add_u32_e32 v52, v17, v16
	v_cmp_ne_u32_e32 vcc, 0, v21
                                        ; implicit-def: $vgpr16_vgpr17
                                        ; implicit-def: $vgpr18
	s_and_saveexec_b64 s[20:21], vcc
	s_xor_b64 s[20:21], exec, s[20:21]
; %bb.5202:                             ;   in Loop: Header=BB6_4155 Depth=2
	v_cmp_lt_u64_e32 vcc, s[60:61], v[52:53]
	v_add_u32_e32 v16, 7, v22
	v_cndmask_b32_e32 v18, v21, v16, vcc
	v_cndmask_b32_e64 v16, 0, 1, vcc
	v_lshrrev_b64 v[16:17], v16, v[52:53]
; %bb.5203:                             ;   in Loop: Header=BB6_4155 Depth=2
	s_andn2_saveexec_b64 s[20:21], s[20:21]
; %bb.5204:                             ;   in Loop: Header=BB6_4155 Depth=2
	v_mov_b32_e32 v16, v52
	v_mov_b32_e32 v17, v53
	v_bfe_u32 v18, v52, 23, 1
; %bb.5205:                             ;   in Loop: Header=BB6_4155 Depth=2
	s_or_b64 exec, exec, s[20:21]
	v_lshrrev_b64 v[16:17], 20, v[16:17]
	v_cmp_gt_i32_e32 vcc, 16, v18
	v_cndmask_b32_e32 v17, 0, v17, vcc
	v_cndmask_b32_e32 v16, 7, v16, vcc
	v_cmp_ne_u64_e32 vcc, 0, v[16:17]
	v_cmp_ne_u32_e64 s[20:21], 0, v18
	s_or_b64 s[20:21], s[20:21], vcc
                                        ; implicit-def: $vgpr56
	s_and_saveexec_b64 s[94:95], s[20:21]
	s_xor_b64 s[20:21], exec, s[94:95]
; %bb.5206:                             ;   in Loop: Header=BB6_4155 Depth=2
	v_min_i32_e32 v17, 15, v18
	v_lshl_or_b32 v9, v17, 3, v9
	v_and_or_b32 v56, v16, 7, v9
                                        ; implicit-def: $vgpr9
; %bb.5207:                             ;   in Loop: Header=BB6_4155 Depth=2
	s_andn2_saveexec_b64 s[20:21], s[20:21]
; %bb.5208:                             ;   in Loop: Header=BB6_4155 Depth=2
	v_mov_b32_e32 v56, v9
; %bb.5209:                             ;   in Loop: Header=BB6_4155 Depth=2
	s_or_b64 exec, exec, s[20:21]
.LBB6_5210:                             ;   in Loop: Header=BB6_4155 Depth=2
	s_or_b64 exec, exec, s[92:93]
                                        ; implicit-def: $vgpr9
.LBB6_5211:                             ;   in Loop: Header=BB6_4155 Depth=2
	s_andn2_saveexec_b64 s[20:21], s[90:91]
; %bb.5212:                             ;   in Loop: Header=BB6_4155 Depth=2
	v_or_b32_e32 v56, 0x7e, v9
; %bb.5213:                             ;   in Loop: Header=BB6_4155 Depth=2
	s_or_b64 exec, exec, s[20:21]
                                        ; implicit-def: $vgpr16
.LBB6_5214:                             ;   in Loop: Header=BB6_4155 Depth=2
	s_andn2_saveexec_b64 s[20:21], s[88:89]
; %bb.5215:                             ;   in Loop: Header=BB6_4155 Depth=2
	v_or_b32_sdwa v56, v16, s51 dst_sel:DWORD dst_unused:UNUSED_PAD src0_sel:BYTE_3 src1_sel:DWORD
; %bb.5216:                             ;   in Loop: Header=BB6_4155 Depth=2
	s_or_b64 exec, exec, s[20:21]
	v_and_b32_e32 v16, 0xff, v45
	v_cmp_ne_u16_e32 vcc, 0, v16
	v_mov_b32_e32 v9, 0
	v_mov_b32_e32 v17, 0
	s_and_saveexec_b64 s[20:21], vcc
	s_cbranch_execz .LBB6_5222
; %bb.5217:                             ;   in Loop: Header=BB6_4155 Depth=2
	v_cmp_ne_u16_e32 vcc, s53, v16
	v_bfrev_b32_e32 v17, 1
	s_and_saveexec_b64 s[88:89], vcc
	s_cbranch_execz .LBB6_5221
; %bb.5218:                             ;   in Loop: Header=BB6_4155 Depth=2
	v_and_b32_e32 v18, 0x7f, v45
	v_cmp_ne_u32_e32 vcc, s51, v18
	v_mov_b32_e32 v17, 0x7f800001
	s_and_saveexec_b64 s[90:91], vcc
	s_cbranch_execz .LBB6_5220
; %bb.5219:                             ;   in Loop: Header=BB6_4155 Depth=2
	v_and_b32_e32 v21, 7, v16
	v_ffbh_u32_e32 v17, v21
	v_lshrrev_b32_e32 v22, 3, v18
	v_cmp_gt_u32_e32 vcc, 8, v18
	v_min_u32_e32 v18, 32, v17
	v_subrev_u32_e32 v17, 28, v18
	v_lshlrev_b64 v[16:17], v17, v[16:17]
	v_sub_u32_e32 v17, 29, v18
	v_and_b32_e32 v16, 7, v16
	v_cndmask_b32_e32 v17, v22, v17, vcc
	v_cndmask_b32_e32 v16, v21, v16, vcc
	v_lshlrev_b32_e32 v18, 24, v45
	v_bfrev_b32_e32 v21, 60
	v_lshlrev_b32_e32 v16, 20, v16
	v_and_b32_e32 v18, 0x80000000, v18
	v_lshl_add_u32 v17, v17, 23, v21
	v_or3_b32 v17, v18, v17, v16
.LBB6_5220:                             ;   in Loop: Header=BB6_4155 Depth=2
	s_or_b64 exec, exec, s[90:91]
.LBB6_5221:                             ;   in Loop: Header=BB6_4155 Depth=2
	s_or_b64 exec, exec, s[88:89]
.LBB6_5222:                             ;   in Loop: Header=BB6_4155 Depth=2
	s_or_b64 exec, exec, s[20:21]
	v_and_b32_e32 v16, 0xff, v20
	v_cmp_ne_u16_e32 vcc, 0, v16
	s_and_saveexec_b64 s[20:21], vcc
	s_cbranch_execz .LBB6_5228
; %bb.5223:                             ;   in Loop: Header=BB6_4155 Depth=2
	v_cmp_ne_u16_e32 vcc, s53, v16
	v_bfrev_b32_e32 v9, 1
	s_and_saveexec_b64 s[88:89], vcc
	s_cbranch_execz .LBB6_5227
; %bb.5224:                             ;   in Loop: Header=BB6_4155 Depth=2
	v_and_b32_e32 v18, 0x7f, v20
	v_cmp_ne_u32_e32 vcc, s51, v18
	v_mov_b32_e32 v9, 0x7f800001
	s_and_saveexec_b64 s[90:91], vcc
	s_cbranch_execz .LBB6_5226
; %bb.5225:                             ;   in Loop: Header=BB6_4155 Depth=2
	v_and_b32_e32 v9, 7, v16
	v_lshrrev_b32_e32 v23, 3, v18
	v_cmp_gt_u32_e32 vcc, 8, v18
	v_ffbh_u32_e32 v18, v9
	v_min_u32_e32 v18, 32, v18
	v_subrev_u32_e32 v21, 28, v18
	v_lshlrev_b64 v[21:22], v21, v[16:17]
	v_sub_u32_e32 v16, 29, v18
	v_and_b32_e32 v18, 7, v21
	v_cndmask_b32_e32 v16, v23, v16, vcc
	v_cndmask_b32_e32 v9, v9, v18, vcc
	v_lshlrev_b32_e32 v18, 24, v20
	v_bfrev_b32_e32 v20, 60
	v_lshlrev_b32_e32 v9, 20, v9
	v_and_b32_e32 v18, 0x80000000, v18
	v_lshl_add_u32 v16, v16, 23, v20
	v_or3_b32 v9, v18, v16, v9
.LBB6_5226:                             ;   in Loop: Header=BB6_4155 Depth=2
	s_or_b64 exec, exec, s[90:91]
.LBB6_5227:                             ;   in Loop: Header=BB6_4155 Depth=2
	s_or_b64 exec, exec, s[88:89]
.LBB6_5228:                             ;   in Loop: Header=BB6_4155 Depth=2
	s_or_b64 exec, exec, s[20:21]
	v_add_f32_e32 v16, v17, v9
	v_and_b32_e32 v52, 0x7f800000, v16
	v_cmp_ne_u64_e32 vcc, s[56:57], v[52:53]
                                        ; implicit-def: $vgpr45
	s_and_saveexec_b64 s[20:21], vcc
	s_xor_b64 s[88:89], exec, s[20:21]
	s_cbranch_execz .LBB6_5246
; %bb.5229:                             ;   in Loop: Header=BB6_4155 Depth=2
	v_and_b32_e32 v52, 0x7fffffff, v16
	v_cmp_gt_u64_e32 vcc, s[58:59], v[52:53]
	v_and_b32_sdwa v9, v16, s53 dst_sel:DWORD dst_unused:UNUSED_PAD src0_sel:BYTE_3 src1_sel:DWORD
                                        ; implicit-def: $vgpr45
	s_and_saveexec_b64 s[20:21], vcc
	s_xor_b64 s[90:91], exec, s[20:21]
	s_cbranch_execz .LBB6_5243
; %bb.5230:                             ;   in Loop: Header=BB6_4155 Depth=2
	v_cmp_ne_u32_e32 vcc, 0, v16
	v_mov_b32_e32 v45, 0
	s_and_saveexec_b64 s[92:93], vcc
	s_cbranch_execz .LBB6_5242
; %bb.5231:                             ;   in Loop: Header=BB6_4155 Depth=2
	v_bfe_u32 v20, v16, 23, 8
	v_and_b32_e32 v17, 0x7fffff, v16
	v_cmp_gt_u32_e64 s[20:21], s54, v20
	v_sub_u32_e32 v16, 0x79, v20
	v_cmp_eq_u32_e32 vcc, 0, v20
	v_cndmask_b32_e64 v16, 0, v16, s[20:21]
	v_mov_b32_e32 v21, 0x78
	v_cndmask_b32_e32 v21, v16, v21, vcc
	v_or_b32_e32 v18, 0x800000, v17
	v_add_u32_e32 v16, 20, v21
	v_cndmask_b32_e32 v52, v18, v17, vcc
	v_lshlrev_b64 v[16:17], v16, -1
	v_add_u32_e32 v18, 19, v21
	v_lshlrev_b64 v[22:23], v18, 1
	v_bfi_b32 v17, v17, 0, 0
	v_bfi_b32 v16, v16, 0, v52
	v_cmp_eq_u64_e64 s[20:21], v[16:17], v[22:23]
	v_lshrrev_b64 v[16:17], v21, v[52:53]
	v_mov_b32_e32 v18, v17
	v_mov_b32_e32 v17, v16
	s_and_saveexec_b64 s[94:95], s[20:21]
; %bb.5232:                             ;   in Loop: Header=BB6_4155 Depth=2
	v_bfe_u32 v17, v16, 20, 1
	v_add_co_u32_e64 v17, s[20:21], v16, v17
	v_add_co_u32_e64 v17, s[20:21], -1, v17
; %bb.5233:                             ;   in Loop: Header=BB6_4155 Depth=2
	s_or_b64 exec, exec, s[94:95]
	v_add_u32_e32 v18, 0xffffff81, v20
	v_mov_b32_e32 v20, 0xffffff82
	v_cndmask_b32_e32 v18, v18, v20, vcc
	v_lshrrev_b32_e32 v20, 23, v16
	v_add3_u32 v21, v21, v18, v20
	v_add_u32_e32 v20, 6, v21
	v_and_b32_e32 v17, 0xfffff, v17
	v_add_u32_e32 v52, v17, v16
	v_cmp_ne_u32_e32 vcc, 0, v20
                                        ; implicit-def: $vgpr16_vgpr17
                                        ; implicit-def: $vgpr18
	s_and_saveexec_b64 s[20:21], vcc
	s_xor_b64 s[20:21], exec, s[20:21]
; %bb.5234:                             ;   in Loop: Header=BB6_4155 Depth=2
	v_cmp_lt_u64_e32 vcc, s[60:61], v[52:53]
	v_add_u32_e32 v16, 7, v21
	v_cndmask_b32_e32 v18, v20, v16, vcc
	v_cndmask_b32_e64 v16, 0, 1, vcc
	v_lshrrev_b64 v[16:17], v16, v[52:53]
; %bb.5235:                             ;   in Loop: Header=BB6_4155 Depth=2
	s_andn2_saveexec_b64 s[20:21], s[20:21]
; %bb.5236:                             ;   in Loop: Header=BB6_4155 Depth=2
	v_mov_b32_e32 v16, v52
	v_mov_b32_e32 v17, v53
	v_bfe_u32 v18, v52, 23, 1
; %bb.5237:                             ;   in Loop: Header=BB6_4155 Depth=2
	s_or_b64 exec, exec, s[20:21]
	v_lshrrev_b64 v[16:17], 20, v[16:17]
	v_cmp_gt_i32_e32 vcc, 16, v18
	v_cndmask_b32_e32 v17, 0, v17, vcc
	v_cndmask_b32_e32 v16, 7, v16, vcc
	v_cmp_ne_u64_e32 vcc, 0, v[16:17]
	v_cmp_ne_u32_e64 s[20:21], 0, v18
	s_or_b64 s[20:21], s[20:21], vcc
                                        ; implicit-def: $vgpr45
	s_and_saveexec_b64 s[94:95], s[20:21]
	s_xor_b64 s[20:21], exec, s[94:95]
; %bb.5238:                             ;   in Loop: Header=BB6_4155 Depth=2
	v_min_i32_e32 v17, 15, v18
	v_lshl_or_b32 v9, v17, 3, v9
	v_and_or_b32 v45, v16, 7, v9
                                        ; implicit-def: $vgpr9
; %bb.5239:                             ;   in Loop: Header=BB6_4155 Depth=2
	s_andn2_saveexec_b64 s[20:21], s[20:21]
; %bb.5240:                             ;   in Loop: Header=BB6_4155 Depth=2
	v_mov_b32_e32 v45, v9
; %bb.5241:                             ;   in Loop: Header=BB6_4155 Depth=2
	s_or_b64 exec, exec, s[20:21]
.LBB6_5242:                             ;   in Loop: Header=BB6_4155 Depth=2
	s_or_b64 exec, exec, s[92:93]
                                        ; implicit-def: $vgpr9
.LBB6_5243:                             ;   in Loop: Header=BB6_4155 Depth=2
	s_andn2_saveexec_b64 s[20:21], s[90:91]
; %bb.5244:                             ;   in Loop: Header=BB6_4155 Depth=2
	v_or_b32_e32 v45, 0x7e, v9
; %bb.5245:                             ;   in Loop: Header=BB6_4155 Depth=2
	s_or_b64 exec, exec, s[20:21]
                                        ; implicit-def: $vgpr16
.LBB6_5246:                             ;   in Loop: Header=BB6_4155 Depth=2
	s_andn2_saveexec_b64 s[20:21], s[88:89]
; %bb.5247:                             ;   in Loop: Header=BB6_4155 Depth=2
	v_or_b32_sdwa v45, v16, s51 dst_sel:DWORD dst_unused:UNUSED_PAD src0_sel:BYTE_3 src1_sel:DWORD
; %bb.5248:                             ;   in Loop: Header=BB6_4155 Depth=2
	s_or_b64 exec, exec, s[20:21]
	v_and_b32_e32 v16, 0xff, v44
	v_cmp_ne_u16_e32 vcc, 0, v16
	v_mov_b32_e32 v9, 0
	v_mov_b32_e32 v17, 0
	s_and_saveexec_b64 s[20:21], vcc
	s_cbranch_execz .LBB6_5254
; %bb.5249:                             ;   in Loop: Header=BB6_4155 Depth=2
	v_cmp_ne_u16_e32 vcc, s53, v16
	v_bfrev_b32_e32 v17, 1
	s_and_saveexec_b64 s[88:89], vcc
	s_cbranch_execz .LBB6_5253
; %bb.5250:                             ;   in Loop: Header=BB6_4155 Depth=2
	v_and_b32_e32 v18, 0x7f, v44
	v_cmp_ne_u32_e32 vcc, s51, v18
	v_mov_b32_e32 v17, 0x7f800001
	s_and_saveexec_b64 s[90:91], vcc
	s_cbranch_execz .LBB6_5252
; %bb.5251:                             ;   in Loop: Header=BB6_4155 Depth=2
	v_and_b32_e32 v20, 7, v16
	v_ffbh_u32_e32 v17, v20
	v_lshrrev_b32_e32 v21, 3, v18
	v_cmp_gt_u32_e32 vcc, 8, v18
	v_min_u32_e32 v18, 32, v17
	v_subrev_u32_e32 v17, 28, v18
	v_lshlrev_b64 v[16:17], v17, v[16:17]
	v_sub_u32_e32 v17, 29, v18
	v_and_b32_e32 v16, 7, v16
	v_cndmask_b32_e32 v17, v21, v17, vcc
	v_cndmask_b32_e32 v16, v20, v16, vcc
	v_lshlrev_b32_e32 v18, 24, v44
	v_bfrev_b32_e32 v20, 60
	v_lshlrev_b32_e32 v16, 20, v16
	v_and_b32_e32 v18, 0x80000000, v18
	v_lshl_add_u32 v17, v17, 23, v20
	v_or3_b32 v17, v18, v17, v16
.LBB6_5252:                             ;   in Loop: Header=BB6_4155 Depth=2
	s_or_b64 exec, exec, s[90:91]
.LBB6_5253:                             ;   in Loop: Header=BB6_4155 Depth=2
	s_or_b64 exec, exec, s[88:89]
.LBB6_5254:                             ;   in Loop: Header=BB6_4155 Depth=2
	s_or_b64 exec, exec, s[20:21]
	v_and_b32_e32 v16, 0xff, v19
	v_cmp_ne_u16_e32 vcc, 0, v16
	s_and_saveexec_b64 s[20:21], vcc
	s_cbranch_execz .LBB6_5260
; %bb.5255:                             ;   in Loop: Header=BB6_4155 Depth=2
	v_cmp_ne_u16_e32 vcc, s53, v16
	v_bfrev_b32_e32 v9, 1
	s_and_saveexec_b64 s[88:89], vcc
	s_cbranch_execz .LBB6_5259
; %bb.5256:                             ;   in Loop: Header=BB6_4155 Depth=2
	v_and_b32_e32 v18, 0x7f, v19
	v_cmp_ne_u32_e32 vcc, s51, v18
	v_mov_b32_e32 v9, 0x7f800001
	s_and_saveexec_b64 s[90:91], vcc
	s_cbranch_execz .LBB6_5258
; %bb.5257:                             ;   in Loop: Header=BB6_4155 Depth=2
	v_and_b32_e32 v9, 7, v16
	v_lshrrev_b32_e32 v22, 3, v18
	v_cmp_gt_u32_e32 vcc, 8, v18
	v_ffbh_u32_e32 v18, v9
	v_min_u32_e32 v18, 32, v18
	v_subrev_u32_e32 v20, 28, v18
	v_lshlrev_b64 v[20:21], v20, v[16:17]
	v_sub_u32_e32 v16, 29, v18
	v_and_b32_e32 v18, 7, v20
	v_cndmask_b32_e32 v16, v22, v16, vcc
	v_cndmask_b32_e32 v9, v9, v18, vcc
	v_lshlrev_b32_e32 v18, 24, v19
	v_bfrev_b32_e32 v19, 60
	v_lshlrev_b32_e32 v9, 20, v9
	v_and_b32_e32 v18, 0x80000000, v18
	v_lshl_add_u32 v16, v16, 23, v19
	v_or3_b32 v9, v18, v16, v9
.LBB6_5258:                             ;   in Loop: Header=BB6_4155 Depth=2
	s_or_b64 exec, exec, s[90:91]
.LBB6_5259:                             ;   in Loop: Header=BB6_4155 Depth=2
	s_or_b64 exec, exec, s[88:89]
.LBB6_5260:                             ;   in Loop: Header=BB6_4155 Depth=2
	s_or_b64 exec, exec, s[20:21]
	v_add_f32_e32 v16, v17, v9
	v_and_b32_e32 v52, 0x7f800000, v16
	v_cmp_ne_u64_e32 vcc, s[56:57], v[52:53]
                                        ; implicit-def: $vgpr44
	s_and_saveexec_b64 s[20:21], vcc
	s_xor_b64 s[88:89], exec, s[20:21]
	s_cbranch_execz .LBB6_5278
; %bb.5261:                             ;   in Loop: Header=BB6_4155 Depth=2
	v_and_b32_e32 v52, 0x7fffffff, v16
	v_cmp_gt_u64_e32 vcc, s[58:59], v[52:53]
	v_and_b32_sdwa v9, v16, s53 dst_sel:DWORD dst_unused:UNUSED_PAD src0_sel:BYTE_3 src1_sel:DWORD
                                        ; implicit-def: $vgpr44
	s_and_saveexec_b64 s[20:21], vcc
	s_xor_b64 s[90:91], exec, s[20:21]
	s_cbranch_execz .LBB6_5275
; %bb.5262:                             ;   in Loop: Header=BB6_4155 Depth=2
	v_cmp_ne_u32_e32 vcc, 0, v16
	v_mov_b32_e32 v44, 0
	s_and_saveexec_b64 s[92:93], vcc
	s_cbranch_execz .LBB6_5274
; %bb.5263:                             ;   in Loop: Header=BB6_4155 Depth=2
	v_bfe_u32 v19, v16, 23, 8
	v_and_b32_e32 v17, 0x7fffff, v16
	v_cmp_gt_u32_e64 s[20:21], s54, v19
	v_sub_u32_e32 v16, 0x79, v19
	v_cmp_eq_u32_e32 vcc, 0, v19
	v_cndmask_b32_e64 v16, 0, v16, s[20:21]
	v_mov_b32_e32 v20, 0x78
	v_cndmask_b32_e32 v20, v16, v20, vcc
	v_or_b32_e32 v18, 0x800000, v17
	v_add_u32_e32 v16, 20, v20
	v_cndmask_b32_e32 v52, v18, v17, vcc
	v_lshlrev_b64 v[16:17], v16, -1
	v_add_u32_e32 v18, 19, v20
	v_lshlrev_b64 v[21:22], v18, 1
	v_bfi_b32 v17, v17, 0, 0
	v_bfi_b32 v16, v16, 0, v52
	v_cmp_eq_u64_e64 s[20:21], v[16:17], v[21:22]
	v_lshrrev_b64 v[16:17], v20, v[52:53]
	v_mov_b32_e32 v18, v17
	v_mov_b32_e32 v17, v16
	s_and_saveexec_b64 s[94:95], s[20:21]
; %bb.5264:                             ;   in Loop: Header=BB6_4155 Depth=2
	v_bfe_u32 v17, v16, 20, 1
	v_add_co_u32_e64 v17, s[20:21], v16, v17
	v_add_co_u32_e64 v17, s[20:21], -1, v17
; %bb.5265:                             ;   in Loop: Header=BB6_4155 Depth=2
	s_or_b64 exec, exec, s[94:95]
	v_add_u32_e32 v18, 0xffffff81, v19
	v_mov_b32_e32 v19, 0xffffff82
	v_cndmask_b32_e32 v18, v18, v19, vcc
	v_lshrrev_b32_e32 v19, 23, v16
	v_add3_u32 v20, v20, v18, v19
	v_add_u32_e32 v19, 6, v20
	v_and_b32_e32 v17, 0xfffff, v17
	v_add_u32_e32 v52, v17, v16
	v_cmp_ne_u32_e32 vcc, 0, v19
                                        ; implicit-def: $vgpr16_vgpr17
                                        ; implicit-def: $vgpr18
	s_and_saveexec_b64 s[20:21], vcc
	s_xor_b64 s[20:21], exec, s[20:21]
; %bb.5266:                             ;   in Loop: Header=BB6_4155 Depth=2
	v_cmp_lt_u64_e32 vcc, s[60:61], v[52:53]
	v_add_u32_e32 v16, 7, v20
	v_cndmask_b32_e32 v18, v19, v16, vcc
	v_cndmask_b32_e64 v16, 0, 1, vcc
	v_lshrrev_b64 v[16:17], v16, v[52:53]
; %bb.5267:                             ;   in Loop: Header=BB6_4155 Depth=2
	s_andn2_saveexec_b64 s[20:21], s[20:21]
; %bb.5268:                             ;   in Loop: Header=BB6_4155 Depth=2
	v_mov_b32_e32 v16, v52
	v_mov_b32_e32 v17, v53
	v_bfe_u32 v18, v52, 23, 1
; %bb.5269:                             ;   in Loop: Header=BB6_4155 Depth=2
	s_or_b64 exec, exec, s[20:21]
	v_lshrrev_b64 v[16:17], 20, v[16:17]
	v_cmp_gt_i32_e32 vcc, 16, v18
	v_cndmask_b32_e32 v17, 0, v17, vcc
	v_cndmask_b32_e32 v16, 7, v16, vcc
	v_cmp_ne_u64_e32 vcc, 0, v[16:17]
	v_cmp_ne_u32_e64 s[20:21], 0, v18
	s_or_b64 s[20:21], s[20:21], vcc
                                        ; implicit-def: $vgpr44
	s_and_saveexec_b64 s[94:95], s[20:21]
	s_xor_b64 s[20:21], exec, s[94:95]
; %bb.5270:                             ;   in Loop: Header=BB6_4155 Depth=2
	v_min_i32_e32 v17, 15, v18
	v_lshl_or_b32 v9, v17, 3, v9
	v_and_or_b32 v44, v16, 7, v9
                                        ; implicit-def: $vgpr9
; %bb.5271:                             ;   in Loop: Header=BB6_4155 Depth=2
	s_andn2_saveexec_b64 s[20:21], s[20:21]
; %bb.5272:                             ;   in Loop: Header=BB6_4155 Depth=2
	v_mov_b32_e32 v44, v9
; %bb.5273:                             ;   in Loop: Header=BB6_4155 Depth=2
	s_or_b64 exec, exec, s[20:21]
.LBB6_5274:                             ;   in Loop: Header=BB6_4155 Depth=2
	s_or_b64 exec, exec, s[92:93]
                                        ; implicit-def: $vgpr9
.LBB6_5275:                             ;   in Loop: Header=BB6_4155 Depth=2
	s_andn2_saveexec_b64 s[20:21], s[90:91]
; %bb.5276:                             ;   in Loop: Header=BB6_4155 Depth=2
	v_or_b32_e32 v44, 0x7e, v9
; %bb.5277:                             ;   in Loop: Header=BB6_4155 Depth=2
	s_or_b64 exec, exec, s[20:21]
                                        ; implicit-def: $vgpr16
.LBB6_5278:                             ;   in Loop: Header=BB6_4155 Depth=2
	s_andn2_saveexec_b64 s[20:21], s[88:89]
; %bb.5279:                             ;   in Loop: Header=BB6_4155 Depth=2
	v_or_b32_sdwa v44, v16, s51 dst_sel:DWORD dst_unused:UNUSED_PAD src0_sel:BYTE_3 src1_sel:DWORD
; %bb.5280:                             ;   in Loop: Header=BB6_4155 Depth=2
	s_or_b64 exec, exec, s[20:21]
	v_and_b32_e32 v16, 0xff, v43
	v_cmp_ne_u16_e32 vcc, 0, v16
	v_mov_b32_e32 v9, 0
	v_mov_b32_e32 v17, 0
	s_and_saveexec_b64 s[20:21], vcc
	s_cbranch_execz .LBB6_5286
; %bb.5281:                             ;   in Loop: Header=BB6_4155 Depth=2
	v_cmp_ne_u16_e32 vcc, s53, v16
	v_bfrev_b32_e32 v17, 1
	s_and_saveexec_b64 s[88:89], vcc
	s_cbranch_execz .LBB6_5285
; %bb.5282:                             ;   in Loop: Header=BB6_4155 Depth=2
	v_and_b32_e32 v18, 0x7f, v43
	v_cmp_ne_u32_e32 vcc, s51, v18
	v_mov_b32_e32 v17, 0x7f800001
	s_and_saveexec_b64 s[90:91], vcc
	s_cbranch_execz .LBB6_5284
; %bb.5283:                             ;   in Loop: Header=BB6_4155 Depth=2
	v_and_b32_e32 v19, 7, v16
	v_ffbh_u32_e32 v17, v19
	v_lshrrev_b32_e32 v20, 3, v18
	v_cmp_gt_u32_e32 vcc, 8, v18
	v_min_u32_e32 v18, 32, v17
	v_subrev_u32_e32 v17, 28, v18
	v_lshlrev_b64 v[16:17], v17, v[16:17]
	v_sub_u32_e32 v17, 29, v18
	v_and_b32_e32 v16, 7, v16
	v_cndmask_b32_e32 v17, v20, v17, vcc
	v_cndmask_b32_e32 v16, v19, v16, vcc
	v_lshlrev_b32_e32 v18, 24, v43
	v_bfrev_b32_e32 v19, 60
	v_lshlrev_b32_e32 v16, 20, v16
	v_and_b32_e32 v18, 0x80000000, v18
	v_lshl_add_u32 v17, v17, 23, v19
	v_or3_b32 v17, v18, v17, v16
.LBB6_5284:                             ;   in Loop: Header=BB6_4155 Depth=2
	s_or_b64 exec, exec, s[90:91]
.LBB6_5285:                             ;   in Loop: Header=BB6_4155 Depth=2
	s_or_b64 exec, exec, s[88:89]
.LBB6_5286:                             ;   in Loop: Header=BB6_4155 Depth=2
	s_or_b64 exec, exec, s[20:21]
	v_and_b32_e32 v16, 0xff, v34
	v_cmp_ne_u16_e32 vcc, 0, v16
	s_and_saveexec_b64 s[20:21], vcc
	s_cbranch_execz .LBB6_5292
; %bb.5287:                             ;   in Loop: Header=BB6_4155 Depth=2
	v_cmp_ne_u16_e32 vcc, s53, v16
	v_bfrev_b32_e32 v9, 1
	s_and_saveexec_b64 s[88:89], vcc
	s_cbranch_execz .LBB6_5291
; %bb.5288:                             ;   in Loop: Header=BB6_4155 Depth=2
	v_and_b32_e32 v18, 0x7f, v34
	v_cmp_ne_u32_e32 vcc, s51, v18
	v_mov_b32_e32 v9, 0x7f800001
	s_and_saveexec_b64 s[90:91], vcc
	s_cbranch_execz .LBB6_5290
; %bb.5289:                             ;   in Loop: Header=BB6_4155 Depth=2
	v_and_b32_e32 v9, 7, v16
	v_lshrrev_b32_e32 v20, 3, v18
	v_cmp_gt_u32_e32 vcc, 8, v18
	v_ffbh_u32_e32 v18, v9
	v_min_u32_e32 v21, 32, v18
	v_subrev_u32_e32 v18, 28, v21
	v_lshlrev_b64 v[18:19], v18, v[16:17]
	v_sub_u32_e32 v16, 29, v21
	v_and_b32_e32 v18, 7, v18
	v_cndmask_b32_e32 v16, v20, v16, vcc
	v_cndmask_b32_e32 v9, v9, v18, vcc
	v_lshlrev_b32_e32 v18, 24, v34
	v_bfrev_b32_e32 v19, 60
	v_lshlrev_b32_e32 v9, 20, v9
	v_and_b32_e32 v18, 0x80000000, v18
	v_lshl_add_u32 v16, v16, 23, v19
	v_or3_b32 v9, v18, v16, v9
.LBB6_5290:                             ;   in Loop: Header=BB6_4155 Depth=2
	s_or_b64 exec, exec, s[90:91]
.LBB6_5291:                             ;   in Loop: Header=BB6_4155 Depth=2
	s_or_b64 exec, exec, s[88:89]
.LBB6_5292:                             ;   in Loop: Header=BB6_4155 Depth=2
	s_or_b64 exec, exec, s[20:21]
	v_add_f32_e32 v16, v17, v9
	v_and_b32_e32 v52, 0x7f800000, v16
	v_cmp_ne_u64_e32 vcc, s[56:57], v[52:53]
                                        ; implicit-def: $vgpr43
	s_and_saveexec_b64 s[20:21], vcc
	s_xor_b64 s[88:89], exec, s[20:21]
	s_cbranch_execz .LBB6_5310
; %bb.5293:                             ;   in Loop: Header=BB6_4155 Depth=2
	v_and_b32_e32 v52, 0x7fffffff, v16
	v_cmp_gt_u64_e32 vcc, s[58:59], v[52:53]
	v_and_b32_sdwa v9, v16, s53 dst_sel:DWORD dst_unused:UNUSED_PAD src0_sel:BYTE_3 src1_sel:DWORD
                                        ; implicit-def: $vgpr43
	s_and_saveexec_b64 s[20:21], vcc
	s_xor_b64 s[90:91], exec, s[20:21]
	s_cbranch_execz .LBB6_5307
; %bb.5294:                             ;   in Loop: Header=BB6_4155 Depth=2
	v_cmp_ne_u32_e32 vcc, 0, v16
	v_mov_b32_e32 v43, 0
	s_and_saveexec_b64 s[92:93], vcc
	s_cbranch_execz .LBB6_5306
; %bb.5295:                             ;   in Loop: Header=BB6_4155 Depth=2
	v_bfe_u32 v19, v16, 23, 8
	v_and_b32_e32 v17, 0x7fffff, v16
	v_cmp_gt_u32_e64 s[20:21], s54, v19
	v_sub_u32_e32 v16, 0x79, v19
	v_cmp_eq_u32_e32 vcc, 0, v19
	v_cndmask_b32_e64 v16, 0, v16, s[20:21]
	v_mov_b32_e32 v20, 0x78
	v_cndmask_b32_e32 v20, v16, v20, vcc
	v_or_b32_e32 v18, 0x800000, v17
	v_add_u32_e32 v16, 20, v20
	v_cndmask_b32_e32 v52, v18, v17, vcc
	v_lshlrev_b64 v[16:17], v16, -1
	v_add_u32_e32 v18, 19, v20
	v_lshlrev_b64 v[21:22], v18, 1
	v_bfi_b32 v17, v17, 0, 0
	v_bfi_b32 v16, v16, 0, v52
	v_cmp_eq_u64_e64 s[20:21], v[16:17], v[21:22]
	v_lshrrev_b64 v[16:17], v20, v[52:53]
	v_mov_b32_e32 v18, v17
	v_mov_b32_e32 v17, v16
	s_and_saveexec_b64 s[94:95], s[20:21]
; %bb.5296:                             ;   in Loop: Header=BB6_4155 Depth=2
	v_bfe_u32 v17, v16, 20, 1
	v_add_co_u32_e64 v17, s[20:21], v16, v17
	v_add_co_u32_e64 v17, s[20:21], -1, v17
; %bb.5297:                             ;   in Loop: Header=BB6_4155 Depth=2
	s_or_b64 exec, exec, s[94:95]
	v_add_u32_e32 v18, 0xffffff81, v19
	v_mov_b32_e32 v19, 0xffffff82
	v_cndmask_b32_e32 v18, v18, v19, vcc
	v_lshrrev_b32_e32 v19, 23, v16
	v_add3_u32 v20, v20, v18, v19
	v_add_u32_e32 v19, 6, v20
	v_and_b32_e32 v17, 0xfffff, v17
	v_add_u32_e32 v52, v17, v16
	v_cmp_ne_u32_e32 vcc, 0, v19
                                        ; implicit-def: $vgpr16_vgpr17
                                        ; implicit-def: $vgpr18
	s_and_saveexec_b64 s[20:21], vcc
	s_xor_b64 s[20:21], exec, s[20:21]
; %bb.5298:                             ;   in Loop: Header=BB6_4155 Depth=2
	v_cmp_lt_u64_e32 vcc, s[60:61], v[52:53]
	v_add_u32_e32 v16, 7, v20
	v_cndmask_b32_e32 v18, v19, v16, vcc
	v_cndmask_b32_e64 v16, 0, 1, vcc
	v_lshrrev_b64 v[16:17], v16, v[52:53]
; %bb.5299:                             ;   in Loop: Header=BB6_4155 Depth=2
	s_andn2_saveexec_b64 s[20:21], s[20:21]
; %bb.5300:                             ;   in Loop: Header=BB6_4155 Depth=2
	v_mov_b32_e32 v16, v52
	v_mov_b32_e32 v17, v53
	v_bfe_u32 v18, v52, 23, 1
; %bb.5301:                             ;   in Loop: Header=BB6_4155 Depth=2
	s_or_b64 exec, exec, s[20:21]
	v_lshrrev_b64 v[16:17], 20, v[16:17]
	v_cmp_gt_i32_e32 vcc, 16, v18
	v_cndmask_b32_e32 v17, 0, v17, vcc
	v_cndmask_b32_e32 v16, 7, v16, vcc
	v_cmp_ne_u64_e32 vcc, 0, v[16:17]
	v_cmp_ne_u32_e64 s[20:21], 0, v18
	s_or_b64 s[20:21], s[20:21], vcc
                                        ; implicit-def: $vgpr43
	s_and_saveexec_b64 s[94:95], s[20:21]
	s_xor_b64 s[20:21], exec, s[94:95]
; %bb.5302:                             ;   in Loop: Header=BB6_4155 Depth=2
	v_min_i32_e32 v17, 15, v18
	v_lshl_or_b32 v9, v17, 3, v9
	v_and_or_b32 v43, v16, 7, v9
                                        ; implicit-def: $vgpr9
; %bb.5303:                             ;   in Loop: Header=BB6_4155 Depth=2
	s_andn2_saveexec_b64 s[20:21], s[20:21]
; %bb.5304:                             ;   in Loop: Header=BB6_4155 Depth=2
	v_mov_b32_e32 v43, v9
; %bb.5305:                             ;   in Loop: Header=BB6_4155 Depth=2
	s_or_b64 exec, exec, s[20:21]
.LBB6_5306:                             ;   in Loop: Header=BB6_4155 Depth=2
	s_or_b64 exec, exec, s[92:93]
                                        ; implicit-def: $vgpr9
.LBB6_5307:                             ;   in Loop: Header=BB6_4155 Depth=2
	s_andn2_saveexec_b64 s[20:21], s[90:91]
; %bb.5308:                             ;   in Loop: Header=BB6_4155 Depth=2
	v_or_b32_e32 v43, 0x7e, v9
; %bb.5309:                             ;   in Loop: Header=BB6_4155 Depth=2
	s_or_b64 exec, exec, s[20:21]
                                        ; implicit-def: $vgpr16
.LBB6_5310:                             ;   in Loop: Header=BB6_4155 Depth=2
	s_andn2_saveexec_b64 s[20:21], s[88:89]
; %bb.5311:                             ;   in Loop: Header=BB6_4155 Depth=2
	v_or_b32_sdwa v43, v16, s51 dst_sel:DWORD dst_unused:UNUSED_PAD src0_sel:BYTE_3 src1_sel:DWORD
; %bb.5312:                             ;   in Loop: Header=BB6_4155 Depth=2
	s_or_b64 exec, exec, s[20:21]
	v_and_b32_e32 v16, 0xff, v42
	v_cmp_ne_u16_e32 vcc, 0, v16
	v_mov_b32_e32 v9, 0
	v_mov_b32_e32 v17, 0
	s_and_saveexec_b64 s[20:21], vcc
	s_cbranch_execz .LBB6_5318
; %bb.5313:                             ;   in Loop: Header=BB6_4155 Depth=2
	v_cmp_ne_u16_e32 vcc, s53, v16
	v_bfrev_b32_e32 v17, 1
	s_and_saveexec_b64 s[88:89], vcc
	s_cbranch_execz .LBB6_5317
; %bb.5314:                             ;   in Loop: Header=BB6_4155 Depth=2
	v_and_b32_e32 v18, 0x7f, v42
	v_cmp_ne_u32_e32 vcc, s51, v18
	v_mov_b32_e32 v17, 0x7f800001
	s_and_saveexec_b64 s[90:91], vcc
	s_cbranch_execz .LBB6_5316
; %bb.5315:                             ;   in Loop: Header=BB6_4155 Depth=2
	v_and_b32_e32 v19, 7, v16
	v_ffbh_u32_e32 v17, v19
	v_lshrrev_b32_e32 v20, 3, v18
	v_cmp_gt_u32_e32 vcc, 8, v18
	v_min_u32_e32 v18, 32, v17
	v_subrev_u32_e32 v17, 28, v18
	v_lshlrev_b64 v[16:17], v17, v[16:17]
	v_sub_u32_e32 v17, 29, v18
	v_and_b32_e32 v16, 7, v16
	v_cndmask_b32_e32 v17, v20, v17, vcc
	v_cndmask_b32_e32 v16, v19, v16, vcc
	v_lshlrev_b32_e32 v18, 24, v42
	v_bfrev_b32_e32 v19, 60
	v_lshlrev_b32_e32 v16, 20, v16
	v_and_b32_e32 v18, 0x80000000, v18
	v_lshl_add_u32 v17, v17, 23, v19
	v_or3_b32 v17, v18, v17, v16
.LBB6_5316:                             ;   in Loop: Header=BB6_4155 Depth=2
	s_or_b64 exec, exec, s[90:91]
.LBB6_5317:                             ;   in Loop: Header=BB6_4155 Depth=2
	s_or_b64 exec, exec, s[88:89]
.LBB6_5318:                             ;   in Loop: Header=BB6_4155 Depth=2
	s_or_b64 exec, exec, s[20:21]
	v_and_b32_e32 v16, 0xff, v8
	v_cmp_ne_u16_e32 vcc, 0, v16
	s_and_saveexec_b64 s[20:21], vcc
	s_cbranch_execz .LBB6_5324
; %bb.5319:                             ;   in Loop: Header=BB6_4155 Depth=2
	v_cmp_ne_u16_e32 vcc, s53, v16
	v_bfrev_b32_e32 v9, 1
	s_and_saveexec_b64 s[88:89], vcc
	s_cbranch_execz .LBB6_5323
; %bb.5320:                             ;   in Loop: Header=BB6_4155 Depth=2
	v_and_b32_e32 v18, 0x7f, v8
	v_cmp_ne_u32_e32 vcc, s51, v18
	v_mov_b32_e32 v9, 0x7f800001
	s_and_saveexec_b64 s[90:91], vcc
	s_cbranch_execz .LBB6_5322
; %bb.5321:                             ;   in Loop: Header=BB6_4155 Depth=2
	v_and_b32_e32 v9, 7, v16
	v_lshrrev_b32_e32 v20, 3, v18
	v_cmp_gt_u32_e32 vcc, 8, v18
	v_ffbh_u32_e32 v18, v9
	v_min_u32_e32 v21, 32, v18
	v_subrev_u32_e32 v18, 28, v21
	v_lshlrev_b64 v[18:19], v18, v[16:17]
	v_sub_u32_e32 v16, 29, v21
	v_and_b32_e32 v18, 7, v18
	v_cndmask_b32_e32 v16, v20, v16, vcc
	v_cndmask_b32_e32 v9, v9, v18, vcc
	v_lshlrev_b32_e32 v8, 24, v8
	v_bfrev_b32_e32 v18, 60
	v_lshlrev_b32_e32 v9, 20, v9
	v_and_b32_e32 v8, 0x80000000, v8
	v_lshl_add_u32 v16, v16, 23, v18
	v_or3_b32 v9, v8, v16, v9
.LBB6_5322:                             ;   in Loop: Header=BB6_4155 Depth=2
	s_or_b64 exec, exec, s[90:91]
.LBB6_5323:                             ;   in Loop: Header=BB6_4155 Depth=2
	s_or_b64 exec, exec, s[88:89]
.LBB6_5324:                             ;   in Loop: Header=BB6_4155 Depth=2
	s_or_b64 exec, exec, s[20:21]
	v_add_f32_e32 v9, v17, v9
	v_and_b32_e32 v52, 0x7f800000, v9
	v_cmp_ne_u64_e32 vcc, s[56:57], v[52:53]
                                        ; implicit-def: $vgpr42
	s_and_saveexec_b64 s[20:21], vcc
	s_xor_b64 s[88:89], exec, s[20:21]
	s_cbranch_execz .LBB6_5342
; %bb.5325:                             ;   in Loop: Header=BB6_4155 Depth=2
	v_and_b32_e32 v52, 0x7fffffff, v9
	v_cmp_gt_u64_e32 vcc, s[58:59], v[52:53]
	v_and_b32_sdwa v8, v9, s53 dst_sel:DWORD dst_unused:UNUSED_PAD src0_sel:BYTE_3 src1_sel:DWORD
                                        ; implicit-def: $vgpr42
	s_and_saveexec_b64 s[20:21], vcc
	s_xor_b64 s[90:91], exec, s[20:21]
	s_cbranch_execz .LBB6_5339
; %bb.5326:                             ;   in Loop: Header=BB6_4155 Depth=2
	v_cmp_ne_u32_e32 vcc, 0, v9
	v_mov_b32_e32 v42, 0
	s_and_saveexec_b64 s[92:93], vcc
	s_cbranch_execz .LBB6_5338
; %bb.5327:                             ;   in Loop: Header=BB6_4155 Depth=2
	v_and_b32_e32 v16, 0x7fffff, v9
	v_bfe_u32 v9, v9, 23, 8
	v_cmp_gt_u32_e64 s[20:21], s54, v9
	v_sub_u32_e32 v17, 0x79, v9
	v_cmp_eq_u32_e32 vcc, 0, v9
	v_cndmask_b32_e64 v17, 0, v17, s[20:21]
	v_mov_b32_e32 v19, 0x78
	v_or_b32_e32 v18, 0x800000, v16
	v_cndmask_b32_e32 v19, v17, v19, vcc
	v_cndmask_b32_e32 v52, v18, v16, vcc
	v_add_u32_e32 v16, 20, v19
	v_lshlrev_b64 v[16:17], v16, -1
	v_add_u32_e32 v18, 19, v19
	v_lshlrev_b64 v[20:21], v18, 1
	v_bfi_b32 v17, v17, 0, 0
	v_bfi_b32 v16, v16, 0, v52
	v_cmp_eq_u64_e64 s[20:21], v[16:17], v[20:21]
	v_lshrrev_b64 v[16:17], v19, v[52:53]
	v_mov_b32_e32 v18, v17
	v_mov_b32_e32 v17, v16
	s_and_saveexec_b64 s[94:95], s[20:21]
; %bb.5328:                             ;   in Loop: Header=BB6_4155 Depth=2
	v_bfe_u32 v17, v16, 20, 1
	v_add_co_u32_e64 v17, s[20:21], v16, v17
	v_add_co_u32_e64 v17, s[20:21], -1, v17
; %bb.5329:                             ;   in Loop: Header=BB6_4155 Depth=2
	s_or_b64 exec, exec, s[94:95]
	v_add_u32_e32 v9, 0xffffff81, v9
	v_mov_b32_e32 v18, 0xffffff82
	v_cndmask_b32_e32 v9, v9, v18, vcc
	v_lshrrev_b32_e32 v18, 23, v16
	v_add3_u32 v19, v19, v9, v18
	v_add_u32_e32 v18, 6, v19
	v_and_b32_e32 v9, 0xfffff, v17
	v_add_u32_e32 v52, v9, v16
	v_cmp_ne_u32_e32 vcc, 0, v18
                                        ; implicit-def: $vgpr16_vgpr17
                                        ; implicit-def: $vgpr9
	s_and_saveexec_b64 s[20:21], vcc
	s_xor_b64 s[20:21], exec, s[20:21]
; %bb.5330:                             ;   in Loop: Header=BB6_4155 Depth=2
	v_cmp_lt_u64_e32 vcc, s[60:61], v[52:53]
	v_add_u32_e32 v9, 7, v19
	v_cndmask_b32_e64 v16, 0, 1, vcc
	v_lshrrev_b64 v[16:17], v16, v[52:53]
	v_cndmask_b32_e32 v9, v18, v9, vcc
; %bb.5331:                             ;   in Loop: Header=BB6_4155 Depth=2
	s_andn2_saveexec_b64 s[20:21], s[20:21]
; %bb.5332:                             ;   in Loop: Header=BB6_4155 Depth=2
	v_mov_b32_e32 v16, v52
	v_mov_b32_e32 v17, v53
	v_bfe_u32 v9, v52, 23, 1
; %bb.5333:                             ;   in Loop: Header=BB6_4155 Depth=2
	s_or_b64 exec, exec, s[20:21]
	v_lshrrev_b64 v[16:17], 20, v[16:17]
	v_cmp_gt_i32_e32 vcc, 16, v9
	v_cndmask_b32_e32 v17, 0, v17, vcc
	v_cndmask_b32_e32 v16, 7, v16, vcc
	v_cmp_ne_u64_e32 vcc, 0, v[16:17]
	v_cmp_ne_u32_e64 s[20:21], 0, v9
	s_or_b64 s[20:21], s[20:21], vcc
                                        ; implicit-def: $vgpr42
	s_and_saveexec_b64 s[94:95], s[20:21]
	s_xor_b64 s[20:21], exec, s[94:95]
; %bb.5334:                             ;   in Loop: Header=BB6_4155 Depth=2
	v_min_i32_e32 v9, 15, v9
	v_lshl_or_b32 v8, v9, 3, v8
	v_and_or_b32 v42, v16, 7, v8
                                        ; implicit-def: $vgpr8
; %bb.5335:                             ;   in Loop: Header=BB6_4155 Depth=2
	s_andn2_saveexec_b64 s[20:21], s[20:21]
; %bb.5336:                             ;   in Loop: Header=BB6_4155 Depth=2
	v_mov_b32_e32 v42, v8
; %bb.5337:                             ;   in Loop: Header=BB6_4155 Depth=2
	s_or_b64 exec, exec, s[20:21]
.LBB6_5338:                             ;   in Loop: Header=BB6_4155 Depth=2
	s_or_b64 exec, exec, s[92:93]
                                        ; implicit-def: $vgpr8
.LBB6_5339:                             ;   in Loop: Header=BB6_4155 Depth=2
	s_andn2_saveexec_b64 s[20:21], s[90:91]
; %bb.5340:                             ;   in Loop: Header=BB6_4155 Depth=2
	v_or_b32_e32 v42, 0x7e, v8
; %bb.5341:                             ;   in Loop: Header=BB6_4155 Depth=2
	s_or_b64 exec, exec, s[20:21]
                                        ; implicit-def: $vgpr9
.LBB6_5342:                             ;   in Loop: Header=BB6_4155 Depth=2
	s_andn2_saveexec_b64 s[20:21], s[88:89]
; %bb.5343:                             ;   in Loop: Header=BB6_4155 Depth=2
	v_or_b32_sdwa v42, v9, s51 dst_sel:DWORD dst_unused:UNUSED_PAD src0_sel:BYTE_3 src1_sel:DWORD
; %bb.5344:                             ;   in Loop: Header=BB6_4155 Depth=2
	s_or_b64 exec, exec, s[20:21]
	v_and_b32_e32 v16, 0xff, v41
	v_cmp_ne_u16_e32 vcc, 0, v16
	v_mov_b32_e32 v8, 0
	v_mov_b32_e32 v9, 0
	s_and_saveexec_b64 s[20:21], vcc
	s_cbranch_execz .LBB6_5350
; %bb.5345:                             ;   in Loop: Header=BB6_4155 Depth=2
	v_cmp_ne_u16_e32 vcc, s53, v16
	v_bfrev_b32_e32 v9, 1
	s_and_saveexec_b64 s[88:89], vcc
	s_cbranch_execz .LBB6_5349
; %bb.5346:                             ;   in Loop: Header=BB6_4155 Depth=2
	v_and_b32_e32 v17, 0x7f, v41
	v_cmp_ne_u32_e32 vcc, s51, v17
	v_mov_b32_e32 v9, 0x7f800001
	s_and_saveexec_b64 s[90:91], vcc
	s_cbranch_execz .LBB6_5348
; %bb.5347:                             ;   in Loop: Header=BB6_4155 Depth=2
	v_and_b32_e32 v9, 7, v16
	v_lshrrev_b32_e32 v18, 3, v17
	v_cmp_gt_u32_e32 vcc, 8, v17
	v_ffbh_u32_e32 v17, v9
	v_min_u32_e32 v19, 32, v17
	v_subrev_u32_e32 v17, 28, v19
	v_lshlrev_b64 v[16:17], v17, v[16:17]
	v_sub_u32_e32 v17, 29, v19
	v_and_b32_e32 v16, 7, v16
	v_cndmask_b32_e32 v17, v18, v17, vcc
	v_cndmask_b32_e32 v9, v9, v16, vcc
	v_lshlrev_b32_e32 v16, 24, v41
	v_bfrev_b32_e32 v18, 60
	v_lshlrev_b32_e32 v9, 20, v9
	v_and_b32_e32 v16, 0x80000000, v16
	v_lshl_add_u32 v17, v17, 23, v18
	v_or3_b32 v9, v16, v17, v9
.LBB6_5348:                             ;   in Loop: Header=BB6_4155 Depth=2
	s_or_b64 exec, exec, s[90:91]
.LBB6_5349:                             ;   in Loop: Header=BB6_4155 Depth=2
	s_or_b64 exec, exec, s[88:89]
.LBB6_5350:                             ;   in Loop: Header=BB6_4155 Depth=2
	s_or_b64 exec, exec, s[20:21]
	v_and_b32_e32 v16, 0xff, v1
	v_cmp_ne_u16_e32 vcc, 0, v16
	s_and_saveexec_b64 s[20:21], vcc
	s_cbranch_execz .LBB6_5356
; %bb.5351:                             ;   in Loop: Header=BB6_4155 Depth=2
	v_cmp_ne_u16_e32 vcc, s53, v16
	v_bfrev_b32_e32 v8, 1
	s_and_saveexec_b64 s[88:89], vcc
	s_cbranch_execz .LBB6_5355
; %bb.5352:                             ;   in Loop: Header=BB6_4155 Depth=2
	v_and_b32_e32 v17, 0x7f, v1
	v_cmp_ne_u32_e32 vcc, s51, v17
	v_mov_b32_e32 v8, 0x7f800001
	s_and_saveexec_b64 s[90:91], vcc
	s_cbranch_execz .LBB6_5354
; %bb.5353:                             ;   in Loop: Header=BB6_4155 Depth=2
	v_and_b32_e32 v8, 7, v16
	v_lshrrev_b32_e32 v18, 3, v17
	v_cmp_gt_u32_e32 vcc, 8, v17
	v_ffbh_u32_e32 v17, v8
	v_min_u32_e32 v19, 32, v17
	v_subrev_u32_e32 v17, 28, v19
	v_lshlrev_b64 v[16:17], v17, v[16:17]
	v_sub_u32_e32 v17, 29, v19
	v_and_b32_e32 v16, 7, v16
	v_cndmask_b32_e32 v17, v18, v17, vcc
	v_cndmask_b32_e32 v8, v8, v16, vcc
	v_lshlrev_b32_e32 v1, 24, v1
	v_bfrev_b32_e32 v16, 60
	v_lshlrev_b32_e32 v8, 20, v8
	v_and_b32_e32 v1, 0x80000000, v1
	v_lshl_add_u32 v16, v17, 23, v16
	v_or3_b32 v8, v1, v16, v8
.LBB6_5354:                             ;   in Loop: Header=BB6_4155 Depth=2
	s_or_b64 exec, exec, s[90:91]
.LBB6_5355:                             ;   in Loop: Header=BB6_4155 Depth=2
	s_or_b64 exec, exec, s[88:89]
.LBB6_5356:                             ;   in Loop: Header=BB6_4155 Depth=2
	s_or_b64 exec, exec, s[20:21]
	v_add_f32_e32 v8, v9, v8
	v_and_b32_e32 v52, 0x7f800000, v8
	v_cmp_ne_u64_e32 vcc, s[56:57], v[52:53]
                                        ; implicit-def: $vgpr41
	s_and_saveexec_b64 s[20:21], vcc
	s_xor_b64 s[88:89], exec, s[20:21]
	s_cbranch_execz .LBB6_5374
; %bb.5357:                             ;   in Loop: Header=BB6_4155 Depth=2
	v_and_b32_e32 v52, 0x7fffffff, v8
	v_cmp_gt_u64_e32 vcc, s[58:59], v[52:53]
	v_and_b32_sdwa v1, v8, s53 dst_sel:DWORD dst_unused:UNUSED_PAD src0_sel:BYTE_3 src1_sel:DWORD
                                        ; implicit-def: $vgpr41
	s_and_saveexec_b64 s[20:21], vcc
	s_xor_b64 s[90:91], exec, s[20:21]
	s_cbranch_execz .LBB6_5371
; %bb.5358:                             ;   in Loop: Header=BB6_4155 Depth=2
	v_cmp_ne_u32_e32 vcc, 0, v8
	v_mov_b32_e32 v41, 0
	s_and_saveexec_b64 s[92:93], vcc
	s_cbranch_execz .LBB6_5370
; %bb.5359:                             ;   in Loop: Header=BB6_4155 Depth=2
	v_and_b32_e32 v16, 0x7fffff, v8
	v_bfe_u32 v8, v8, 23, 8
	v_cmp_gt_u32_e64 s[20:21], s54, v8
	v_sub_u32_e32 v9, 0x79, v8
	v_cmp_eq_u32_e32 vcc, 0, v8
	v_cndmask_b32_e64 v9, 0, v9, s[20:21]
	v_mov_b32_e32 v18, 0x78
	v_or_b32_e32 v17, 0x800000, v16
	v_cndmask_b32_e32 v9, v9, v18, vcc
	v_cndmask_b32_e32 v52, v17, v16, vcc
	v_add_u32_e32 v16, 20, v9
	v_lshlrev_b64 v[16:17], v16, -1
	v_add_u32_e32 v18, 19, v9
	v_lshlrev_b64 v[18:19], v18, 1
	v_bfi_b32 v17, v17, 0, 0
	v_bfi_b32 v16, v16, 0, v52
	v_cmp_eq_u64_e64 s[20:21], v[16:17], v[18:19]
	v_lshrrev_b64 v[16:17], v9, v[52:53]
	v_mov_b32_e32 v18, v17
	v_mov_b32_e32 v17, v16
	s_and_saveexec_b64 s[94:95], s[20:21]
; %bb.5360:                             ;   in Loop: Header=BB6_4155 Depth=2
	v_bfe_u32 v17, v16, 20, 1
	v_add_co_u32_e64 v17, s[20:21], v16, v17
	v_add_co_u32_e64 v17, s[20:21], -1, v17
; %bb.5361:                             ;   in Loop: Header=BB6_4155 Depth=2
	s_or_b64 exec, exec, s[94:95]
	v_add_u32_e32 v8, 0xffffff81, v8
	v_mov_b32_e32 v18, 0xffffff82
	v_cndmask_b32_e32 v8, v8, v18, vcc
	v_lshrrev_b32_e32 v18, 23, v16
	v_add3_u32 v18, v9, v8, v18
	v_add_u32_e32 v9, 6, v18
	v_and_b32_e32 v8, 0xfffff, v17
	v_add_u32_e32 v52, v8, v16
	v_cmp_ne_u32_e32 vcc, 0, v9
                                        ; implicit-def: $vgpr16_vgpr17
                                        ; implicit-def: $vgpr8
	s_and_saveexec_b64 s[20:21], vcc
	s_xor_b64 s[20:21], exec, s[20:21]
; %bb.5362:                             ;   in Loop: Header=BB6_4155 Depth=2
	v_cmp_lt_u64_e32 vcc, s[60:61], v[52:53]
	v_add_u32_e32 v8, 7, v18
	v_cndmask_b32_e32 v8, v9, v8, vcc
	v_cndmask_b32_e64 v9, 0, 1, vcc
	v_lshrrev_b64 v[16:17], v9, v[52:53]
; %bb.5363:                             ;   in Loop: Header=BB6_4155 Depth=2
	s_andn2_saveexec_b64 s[20:21], s[20:21]
; %bb.5364:                             ;   in Loop: Header=BB6_4155 Depth=2
	v_mov_b32_e32 v16, v52
	v_mov_b32_e32 v17, v53
	v_bfe_u32 v8, v52, 23, 1
; %bb.5365:                             ;   in Loop: Header=BB6_4155 Depth=2
	s_or_b64 exec, exec, s[20:21]
	v_lshrrev_b64 v[16:17], 20, v[16:17]
	v_cmp_gt_i32_e32 vcc, 16, v8
	v_cndmask_b32_e32 v17, 0, v17, vcc
	v_cndmask_b32_e32 v16, 7, v16, vcc
	v_cmp_ne_u64_e32 vcc, 0, v[16:17]
	v_cmp_ne_u32_e64 s[20:21], 0, v8
	s_or_b64 s[20:21], s[20:21], vcc
                                        ; implicit-def: $vgpr41
	s_and_saveexec_b64 s[94:95], s[20:21]
	s_xor_b64 s[20:21], exec, s[94:95]
; %bb.5366:                             ;   in Loop: Header=BB6_4155 Depth=2
	v_min_i32_e32 v8, 15, v8
	v_lshl_or_b32 v1, v8, 3, v1
	v_and_or_b32 v41, v16, 7, v1
                                        ; implicit-def: $vgpr1
; %bb.5367:                             ;   in Loop: Header=BB6_4155 Depth=2
	s_andn2_saveexec_b64 s[20:21], s[20:21]
; %bb.5368:                             ;   in Loop: Header=BB6_4155 Depth=2
	v_mov_b32_e32 v41, v1
; %bb.5369:                             ;   in Loop: Header=BB6_4155 Depth=2
	s_or_b64 exec, exec, s[20:21]
.LBB6_5370:                             ;   in Loop: Header=BB6_4155 Depth=2
	s_or_b64 exec, exec, s[92:93]
                                        ; implicit-def: $vgpr1
.LBB6_5371:                             ;   in Loop: Header=BB6_4155 Depth=2
	s_andn2_saveexec_b64 s[20:21], s[90:91]
; %bb.5372:                             ;   in Loop: Header=BB6_4155 Depth=2
	v_or_b32_e32 v41, 0x7e, v1
; %bb.5373:                             ;   in Loop: Header=BB6_4155 Depth=2
	s_or_b64 exec, exec, s[20:21]
                                        ; implicit-def: $vgpr8
.LBB6_5374:                             ;   in Loop: Header=BB6_4155 Depth=2
	s_andn2_saveexec_b64 s[20:21], s[88:89]
; %bb.5375:                             ;   in Loop: Header=BB6_4155 Depth=2
	v_or_b32_sdwa v41, v8, s51 dst_sel:DWORD dst_unused:UNUSED_PAD src0_sel:BYTE_3 src1_sel:DWORD
; %bb.5376:                             ;   in Loop: Header=BB6_4155 Depth=2
	s_or_b64 exec, exec, s[20:21]
	v_and_b32_e32 v16, 0xff, v40
	v_cmp_ne_u16_e32 vcc, 0, v16
	v_mov_b32_e32 v1, 0
	v_mov_b32_e32 v8, 0
	s_and_saveexec_b64 s[20:21], vcc
	s_cbranch_execz .LBB6_5382
; %bb.5377:                             ;   in Loop: Header=BB6_4155 Depth=2
	v_cmp_ne_u16_e32 vcc, s53, v16
	v_bfrev_b32_e32 v8, 1
	s_and_saveexec_b64 s[88:89], vcc
	s_cbranch_execz .LBB6_5381
; %bb.5378:                             ;   in Loop: Header=BB6_4155 Depth=2
	v_and_b32_e32 v9, 0x7f, v40
	v_cmp_ne_u32_e32 vcc, s51, v9
	v_mov_b32_e32 v8, 0x7f800001
	s_and_saveexec_b64 s[90:91], vcc
	s_cbranch_execz .LBB6_5380
; %bb.5379:                             ;   in Loop: Header=BB6_4155 Depth=2
	v_and_b32_e32 v17, 7, v16
	v_ffbh_u32_e32 v8, v17
	v_min_u32_e32 v19, 32, v8
	v_subrev_u32_e32 v8, 28, v19
	v_lshrrev_b32_e32 v18, 3, v9
	v_cmp_gt_u32_e32 vcc, 8, v9
	v_lshlrev_b64 v[8:9], v8, v[16:17]
	v_sub_u32_e32 v9, 29, v19
	v_and_b32_e32 v8, 7, v8
	v_cndmask_b32_e32 v9, v18, v9, vcc
	v_cndmask_b32_e32 v8, v17, v8, vcc
	v_lshlrev_b32_e32 v16, 24, v40
	v_bfrev_b32_e32 v17, 60
	v_lshlrev_b32_e32 v8, 20, v8
	v_and_b32_e32 v16, 0x80000000, v16
	v_lshl_add_u32 v9, v9, 23, v17
	v_or3_b32 v8, v16, v9, v8
.LBB6_5380:                             ;   in Loop: Header=BB6_4155 Depth=2
	s_or_b64 exec, exec, s[90:91]
.LBB6_5381:                             ;   in Loop: Header=BB6_4155 Depth=2
	s_or_b64 exec, exec, s[88:89]
.LBB6_5382:                             ;   in Loop: Header=BB6_4155 Depth=2
	s_or_b64 exec, exec, s[20:21]
	v_and_b32_e32 v16, 0xff, v24
	v_cmp_ne_u16_e32 vcc, 0, v16
	s_and_saveexec_b64 s[20:21], vcc
	s_cbranch_execz .LBB6_5388
; %bb.5383:                             ;   in Loop: Header=BB6_4155 Depth=2
	v_cmp_ne_u16_e32 vcc, s53, v16
	v_bfrev_b32_e32 v1, 1
	s_and_saveexec_b64 s[88:89], vcc
	s_cbranch_execz .LBB6_5387
; %bb.5384:                             ;   in Loop: Header=BB6_4155 Depth=2
	v_and_b32_e32 v9, 0x7f, v24
	v_cmp_ne_u32_e32 vcc, s51, v9
	v_mov_b32_e32 v1, 0x7f800001
	s_and_saveexec_b64 s[90:91], vcc
	s_cbranch_execz .LBB6_5386
; %bb.5385:                             ;   in Loop: Header=BB6_4155 Depth=2
	v_and_b32_e32 v1, 7, v16
	v_lshrrev_b32_e32 v18, 3, v9
	v_cmp_gt_u32_e32 vcc, 8, v9
	v_ffbh_u32_e32 v9, v1
	v_min_u32_e32 v9, 32, v9
	v_subrev_u32_e32 v17, 28, v9
	v_lshlrev_b64 v[16:17], v17, v[16:17]
	v_sub_u32_e32 v9, 29, v9
	v_and_b32_e32 v16, 7, v16
	v_cndmask_b32_e32 v9, v18, v9, vcc
	v_cndmask_b32_e32 v1, v1, v16, vcc
	v_lshlrev_b32_e32 v16, 24, v24
	v_bfrev_b32_e32 v17, 60
	v_lshlrev_b32_e32 v1, 20, v1
	v_and_b32_e32 v16, 0x80000000, v16
	v_lshl_add_u32 v9, v9, 23, v17
	v_or3_b32 v1, v16, v9, v1
.LBB6_5386:                             ;   in Loop: Header=BB6_4155 Depth=2
	s_or_b64 exec, exec, s[90:91]
.LBB6_5387:                             ;   in Loop: Header=BB6_4155 Depth=2
	s_or_b64 exec, exec, s[88:89]
.LBB6_5388:                             ;   in Loop: Header=BB6_4155 Depth=2
	s_or_b64 exec, exec, s[20:21]
	v_add_f32_e32 v8, v8, v1
	v_and_b32_e32 v52, 0x7f800000, v8
	v_cmp_ne_u64_e32 vcc, s[56:57], v[52:53]
                                        ; implicit-def: $vgpr40
	s_and_saveexec_b64 s[20:21], vcc
	s_xor_b64 s[88:89], exec, s[20:21]
	s_cbranch_execz .LBB6_5406
; %bb.5389:                             ;   in Loop: Header=BB6_4155 Depth=2
	v_and_b32_e32 v52, 0x7fffffff, v8
	v_cmp_gt_u64_e32 vcc, s[58:59], v[52:53]
	v_and_b32_sdwa v1, v8, s53 dst_sel:DWORD dst_unused:UNUSED_PAD src0_sel:BYTE_3 src1_sel:DWORD
                                        ; implicit-def: $vgpr40
	s_and_saveexec_b64 s[20:21], vcc
	s_xor_b64 s[90:91], exec, s[20:21]
	s_cbranch_execz .LBB6_5403
; %bb.5390:                             ;   in Loop: Header=BB6_4155 Depth=2
	v_cmp_ne_u32_e32 vcc, 0, v8
	v_mov_b32_e32 v40, 0
	s_and_saveexec_b64 s[92:93], vcc
	s_cbranch_execz .LBB6_5402
; %bb.5391:                             ;   in Loop: Header=BB6_4155 Depth=2
	v_and_b32_e32 v16, 0x7fffff, v8
	v_bfe_u32 v8, v8, 23, 8
	v_cmp_gt_u32_e64 s[20:21], s54, v8
	v_sub_u32_e32 v9, 0x79, v8
	v_cmp_eq_u32_e32 vcc, 0, v8
	v_cndmask_b32_e64 v9, 0, v9, s[20:21]
	v_mov_b32_e32 v18, 0x78
	v_or_b32_e32 v17, 0x800000, v16
	v_cndmask_b32_e32 v9, v9, v18, vcc
	v_cndmask_b32_e32 v52, v17, v16, vcc
	v_add_u32_e32 v16, 20, v9
	v_lshlrev_b64 v[16:17], v16, -1
	v_add_u32_e32 v18, 19, v9
	v_lshlrev_b64 v[18:19], v18, 1
	v_bfi_b32 v17, v17, 0, 0
	v_bfi_b32 v16, v16, 0, v52
	v_cmp_eq_u64_e64 s[20:21], v[16:17], v[18:19]
	v_lshrrev_b64 v[16:17], v9, v[52:53]
	v_mov_b32_e32 v18, v17
	v_mov_b32_e32 v17, v16
	s_and_saveexec_b64 s[94:95], s[20:21]
; %bb.5392:                             ;   in Loop: Header=BB6_4155 Depth=2
	v_bfe_u32 v17, v16, 20, 1
	v_add_co_u32_e64 v17, s[20:21], v16, v17
	v_add_co_u32_e64 v17, s[20:21], -1, v17
; %bb.5393:                             ;   in Loop: Header=BB6_4155 Depth=2
	s_or_b64 exec, exec, s[94:95]
	v_add_u32_e32 v8, 0xffffff81, v8
	v_mov_b32_e32 v18, 0xffffff82
	v_cndmask_b32_e32 v8, v8, v18, vcc
	v_lshrrev_b32_e32 v18, 23, v16
	v_add3_u32 v18, v9, v8, v18
	v_add_u32_e32 v9, 6, v18
	v_and_b32_e32 v8, 0xfffff, v17
	v_add_u32_e32 v52, v8, v16
	v_cmp_ne_u32_e32 vcc, 0, v9
                                        ; implicit-def: $vgpr16_vgpr17
                                        ; implicit-def: $vgpr8
	s_and_saveexec_b64 s[20:21], vcc
	s_xor_b64 s[20:21], exec, s[20:21]
; %bb.5394:                             ;   in Loop: Header=BB6_4155 Depth=2
	v_cmp_lt_u64_e32 vcc, s[60:61], v[52:53]
	v_add_u32_e32 v8, 7, v18
	v_cndmask_b32_e32 v8, v9, v8, vcc
	v_cndmask_b32_e64 v9, 0, 1, vcc
	v_lshrrev_b64 v[16:17], v9, v[52:53]
; %bb.5395:                             ;   in Loop: Header=BB6_4155 Depth=2
	s_andn2_saveexec_b64 s[20:21], s[20:21]
; %bb.5396:                             ;   in Loop: Header=BB6_4155 Depth=2
	v_mov_b32_e32 v16, v52
	v_mov_b32_e32 v17, v53
	v_bfe_u32 v8, v52, 23, 1
; %bb.5397:                             ;   in Loop: Header=BB6_4155 Depth=2
	s_or_b64 exec, exec, s[20:21]
	v_lshrrev_b64 v[16:17], 20, v[16:17]
	v_cmp_gt_i32_e32 vcc, 16, v8
	v_cndmask_b32_e32 v17, 0, v17, vcc
	v_cndmask_b32_e32 v16, 7, v16, vcc
	v_cmp_ne_u64_e32 vcc, 0, v[16:17]
	v_cmp_ne_u32_e64 s[20:21], 0, v8
	s_or_b64 s[20:21], s[20:21], vcc
                                        ; implicit-def: $vgpr40
	s_and_saveexec_b64 s[94:95], s[20:21]
	s_xor_b64 s[20:21], exec, s[94:95]
; %bb.5398:                             ;   in Loop: Header=BB6_4155 Depth=2
	v_min_i32_e32 v8, 15, v8
	v_lshl_or_b32 v1, v8, 3, v1
	v_and_or_b32 v40, v16, 7, v1
                                        ; implicit-def: $vgpr1
; %bb.5399:                             ;   in Loop: Header=BB6_4155 Depth=2
	s_andn2_saveexec_b64 s[20:21], s[20:21]
; %bb.5400:                             ;   in Loop: Header=BB6_4155 Depth=2
	v_mov_b32_e32 v40, v1
; %bb.5401:                             ;   in Loop: Header=BB6_4155 Depth=2
	s_or_b64 exec, exec, s[20:21]
.LBB6_5402:                             ;   in Loop: Header=BB6_4155 Depth=2
	s_or_b64 exec, exec, s[92:93]
                                        ; implicit-def: $vgpr1
.LBB6_5403:                             ;   in Loop: Header=BB6_4155 Depth=2
	s_andn2_saveexec_b64 s[20:21], s[90:91]
; %bb.5404:                             ;   in Loop: Header=BB6_4155 Depth=2
	v_or_b32_e32 v40, 0x7e, v1
; %bb.5405:                             ;   in Loop: Header=BB6_4155 Depth=2
	s_or_b64 exec, exec, s[20:21]
                                        ; implicit-def: $vgpr8
.LBB6_5406:                             ;   in Loop: Header=BB6_4155 Depth=2
	s_andn2_saveexec_b64 s[20:21], s[88:89]
; %bb.5407:                             ;   in Loop: Header=BB6_4155 Depth=2
	v_or_b32_sdwa v40, v8, s51 dst_sel:DWORD dst_unused:UNUSED_PAD src0_sel:BYTE_3 src1_sel:DWORD
; %bb.5408:                             ;   in Loop: Header=BB6_4155 Depth=2
	s_or_b64 exec, exec, s[20:21]
	v_and_b32_e32 v16, 0xff, v38
	v_cmp_ne_u16_e32 vcc, 0, v16
	v_mov_b32_e32 v1, 0
	v_mov_b32_e32 v8, 0
	s_and_saveexec_b64 s[20:21], vcc
	s_cbranch_execz .LBB6_5414
; %bb.5409:                             ;   in Loop: Header=BB6_4155 Depth=2
	v_cmp_ne_u16_e32 vcc, s53, v16
	v_bfrev_b32_e32 v8, 1
	s_and_saveexec_b64 s[88:89], vcc
	s_cbranch_execz .LBB6_5413
; %bb.5410:                             ;   in Loop: Header=BB6_4155 Depth=2
	v_and_b32_e32 v9, 0x7f, v38
	v_cmp_ne_u32_e32 vcc, s51, v9
	v_mov_b32_e32 v8, 0x7f800001
	s_and_saveexec_b64 s[90:91], vcc
	s_cbranch_execz .LBB6_5412
; %bb.5411:                             ;   in Loop: Header=BB6_4155 Depth=2
	v_and_b32_e32 v17, 7, v16
	v_ffbh_u32_e32 v8, v17
	v_min_u32_e32 v19, 32, v8
	v_subrev_u32_e32 v8, 28, v19
	v_lshrrev_b32_e32 v18, 3, v9
	v_cmp_gt_u32_e32 vcc, 8, v9
	v_lshlrev_b64 v[8:9], v8, v[16:17]
	v_sub_u32_e32 v9, 29, v19
	v_and_b32_e32 v8, 7, v8
	v_cndmask_b32_e32 v9, v18, v9, vcc
	v_cndmask_b32_e32 v8, v17, v8, vcc
	v_lshlrev_b32_e32 v16, 24, v38
	v_bfrev_b32_e32 v17, 60
	v_lshlrev_b32_e32 v8, 20, v8
	v_and_b32_e32 v16, 0x80000000, v16
	v_lshl_add_u32 v9, v9, 23, v17
	v_or3_b32 v8, v16, v9, v8
.LBB6_5412:                             ;   in Loop: Header=BB6_4155 Depth=2
	s_or_b64 exec, exec, s[90:91]
.LBB6_5413:                             ;   in Loop: Header=BB6_4155 Depth=2
	s_or_b64 exec, exec, s[88:89]
.LBB6_5414:                             ;   in Loop: Header=BB6_4155 Depth=2
	s_or_b64 exec, exec, s[20:21]
	v_and_b32_e32 v16, 0xff, v7
	v_cmp_ne_u16_e32 vcc, 0, v16
	s_and_saveexec_b64 s[20:21], vcc
	s_cbranch_execz .LBB6_5420
; %bb.5415:                             ;   in Loop: Header=BB6_4155 Depth=2
	v_cmp_ne_u16_e32 vcc, s53, v16
	v_bfrev_b32_e32 v1, 1
	s_and_saveexec_b64 s[88:89], vcc
	s_cbranch_execz .LBB6_5419
; %bb.5416:                             ;   in Loop: Header=BB6_4155 Depth=2
	v_and_b32_e32 v9, 0x7f, v7
	v_cmp_ne_u32_e32 vcc, s51, v9
	v_mov_b32_e32 v1, 0x7f800001
	s_and_saveexec_b64 s[90:91], vcc
	s_cbranch_execz .LBB6_5418
; %bb.5417:                             ;   in Loop: Header=BB6_4155 Depth=2
	v_and_b32_e32 v1, 7, v16
	v_lshrrev_b32_e32 v18, 3, v9
	v_cmp_gt_u32_e32 vcc, 8, v9
	v_ffbh_u32_e32 v9, v1
	v_min_u32_e32 v9, 32, v9
	v_subrev_u32_e32 v17, 28, v9
	v_lshlrev_b64 v[16:17], v17, v[16:17]
	v_sub_u32_e32 v9, 29, v9
	v_and_b32_e32 v16, 7, v16
	v_cndmask_b32_e32 v9, v18, v9, vcc
	v_cndmask_b32_e32 v1, v1, v16, vcc
	v_lshlrev_b32_e32 v7, 24, v7
	v_bfrev_b32_e32 v16, 60
	v_lshlrev_b32_e32 v1, 20, v1
	v_and_b32_e32 v7, 0x80000000, v7
	v_lshl_add_u32 v9, v9, 23, v16
	v_or3_b32 v1, v7, v9, v1
.LBB6_5418:                             ;   in Loop: Header=BB6_4155 Depth=2
	s_or_b64 exec, exec, s[90:91]
.LBB6_5419:                             ;   in Loop: Header=BB6_4155 Depth=2
	s_or_b64 exec, exec, s[88:89]
.LBB6_5420:                             ;   in Loop: Header=BB6_4155 Depth=2
	s_or_b64 exec, exec, s[20:21]
	v_add_f32_e32 v7, v8, v1
	v_and_b32_e32 v52, 0x7f800000, v7
	v_cmp_ne_u64_e32 vcc, s[56:57], v[52:53]
                                        ; implicit-def: $vgpr38
	s_and_saveexec_b64 s[20:21], vcc
	s_xor_b64 s[88:89], exec, s[20:21]
	s_cbranch_execz .LBB6_5438
; %bb.5421:                             ;   in Loop: Header=BB6_4155 Depth=2
	v_and_b32_e32 v52, 0x7fffffff, v7
	v_cmp_gt_u64_e32 vcc, s[58:59], v[52:53]
	v_and_b32_sdwa v1, v7, s53 dst_sel:DWORD dst_unused:UNUSED_PAD src0_sel:BYTE_3 src1_sel:DWORD
                                        ; implicit-def: $vgpr38
	s_and_saveexec_b64 s[20:21], vcc
	s_xor_b64 s[90:91], exec, s[20:21]
	s_cbranch_execz .LBB6_5435
; %bb.5422:                             ;   in Loop: Header=BB6_4155 Depth=2
	v_cmp_ne_u32_e32 vcc, 0, v7
	v_mov_b32_e32 v38, 0
	s_and_saveexec_b64 s[92:93], vcc
	s_cbranch_execz .LBB6_5434
; %bb.5423:                             ;   in Loop: Header=BB6_4155 Depth=2
	v_and_b32_e32 v9, 0x7fffff, v7
	v_bfe_u32 v7, v7, 23, 8
	v_cmp_gt_u32_e64 s[20:21], s54, v7
	v_sub_u32_e32 v8, 0x79, v7
	v_cmp_eq_u32_e32 vcc, 0, v7
	v_cndmask_b32_e64 v8, 0, v8, s[20:21]
	v_mov_b32_e32 v17, 0x78
	v_or_b32_e32 v16, 0x800000, v9
	v_cndmask_b32_e32 v8, v8, v17, vcc
	v_cndmask_b32_e32 v52, v16, v9, vcc
	v_add_u32_e32 v9, 20, v8
	v_lshlrev_b64 v[16:17], v9, -1
	v_add_u32_e32 v9, 19, v8
	v_lshlrev_b64 v[18:19], v9, 1
	v_bfi_b32 v17, v17, 0, 0
	v_bfi_b32 v16, v16, 0, v52
	v_cmp_eq_u64_e64 s[20:21], v[16:17], v[18:19]
	v_lshrrev_b64 v[16:17], v8, v[52:53]
	v_mov_b32_e32 v18, v17
	v_mov_b32_e32 v17, v16
	s_and_saveexec_b64 s[94:95], s[20:21]
; %bb.5424:                             ;   in Loop: Header=BB6_4155 Depth=2
	v_bfe_u32 v9, v16, 20, 1
	v_add_co_u32_e64 v9, s[20:21], v16, v9
	v_add_co_u32_e64 v17, s[20:21], -1, v9
; %bb.5425:                             ;   in Loop: Header=BB6_4155 Depth=2
	s_or_b64 exec, exec, s[94:95]
	v_add_u32_e32 v7, 0xffffff81, v7
	v_mov_b32_e32 v9, 0xffffff82
	v_cndmask_b32_e32 v7, v7, v9, vcc
	v_lshrrev_b32_e32 v9, 23, v16
	v_add3_u32 v9, v8, v7, v9
	v_add_u32_e32 v8, 6, v9
	v_and_b32_e32 v7, 0xfffff, v17
	v_add_u32_e32 v52, v7, v16
	v_cmp_ne_u32_e32 vcc, 0, v8
                                        ; implicit-def: $vgpr16_vgpr17
                                        ; implicit-def: $vgpr7
	s_and_saveexec_b64 s[20:21], vcc
	s_xor_b64 s[20:21], exec, s[20:21]
; %bb.5426:                             ;   in Loop: Header=BB6_4155 Depth=2
	v_cmp_lt_u64_e32 vcc, s[60:61], v[52:53]
	v_add_u32_e32 v7, 7, v9
	v_cndmask_b32_e32 v7, v8, v7, vcc
	v_cndmask_b32_e64 v8, 0, 1, vcc
	v_lshrrev_b64 v[16:17], v8, v[52:53]
; %bb.5427:                             ;   in Loop: Header=BB6_4155 Depth=2
	s_andn2_saveexec_b64 s[20:21], s[20:21]
; %bb.5428:                             ;   in Loop: Header=BB6_4155 Depth=2
	v_mov_b32_e32 v16, v52
	v_mov_b32_e32 v17, v53
	v_bfe_u32 v7, v52, 23, 1
; %bb.5429:                             ;   in Loop: Header=BB6_4155 Depth=2
	s_or_b64 exec, exec, s[20:21]
	v_lshrrev_b64 v[8:9], 20, v[16:17]
	v_cmp_gt_i32_e32 vcc, 16, v7
	v_cndmask_b32_e32 v17, 0, v9, vcc
	v_cndmask_b32_e32 v16, 7, v8, vcc
	v_cmp_ne_u64_e32 vcc, 0, v[16:17]
	v_cmp_ne_u32_e64 s[20:21], 0, v7
	s_or_b64 s[20:21], s[20:21], vcc
                                        ; implicit-def: $vgpr38
	s_and_saveexec_b64 s[94:95], s[20:21]
	s_xor_b64 s[20:21], exec, s[94:95]
; %bb.5430:                             ;   in Loop: Header=BB6_4155 Depth=2
	v_min_i32_e32 v7, 15, v7
	v_lshl_or_b32 v1, v7, 3, v1
	v_and_or_b32 v38, v16, 7, v1
                                        ; implicit-def: $vgpr1
; %bb.5431:                             ;   in Loop: Header=BB6_4155 Depth=2
	s_andn2_saveexec_b64 s[20:21], s[20:21]
; %bb.5432:                             ;   in Loop: Header=BB6_4155 Depth=2
	v_mov_b32_e32 v38, v1
; %bb.5433:                             ;   in Loop: Header=BB6_4155 Depth=2
	s_or_b64 exec, exec, s[20:21]
.LBB6_5434:                             ;   in Loop: Header=BB6_4155 Depth=2
	s_or_b64 exec, exec, s[92:93]
                                        ; implicit-def: $vgpr1
.LBB6_5435:                             ;   in Loop: Header=BB6_4155 Depth=2
	s_andn2_saveexec_b64 s[20:21], s[90:91]
; %bb.5436:                             ;   in Loop: Header=BB6_4155 Depth=2
	v_or_b32_e32 v38, 0x7e, v1
; %bb.5437:                             ;   in Loop: Header=BB6_4155 Depth=2
	s_or_b64 exec, exec, s[20:21]
                                        ; implicit-def: $vgpr7
.LBB6_5438:                             ;   in Loop: Header=BB6_4155 Depth=2
	s_andn2_saveexec_b64 s[20:21], s[88:89]
; %bb.5439:                             ;   in Loop: Header=BB6_4155 Depth=2
	v_or_b32_sdwa v38, v7, s51 dst_sel:DWORD dst_unused:UNUSED_PAD src0_sel:BYTE_3 src1_sel:DWORD
; %bb.5440:                             ;   in Loop: Header=BB6_4155 Depth=2
	s_or_b64 exec, exec, s[20:21]
	v_and_b32_e32 v16, 0xff, v50
	v_cmp_ne_u16_e32 vcc, 0, v16
	v_mov_b32_e32 v1, 0
	v_mov_b32_e32 v7, 0
	s_and_saveexec_b64 s[20:21], vcc
	s_cbranch_execz .LBB6_5446
; %bb.5441:                             ;   in Loop: Header=BB6_4155 Depth=2
	v_cmp_ne_u16_e32 vcc, s53, v16
	v_bfrev_b32_e32 v7, 1
	s_and_saveexec_b64 s[88:89], vcc
	s_cbranch_execz .LBB6_5445
; %bb.5442:                             ;   in Loop: Header=BB6_4155 Depth=2
	v_and_b32_e32 v8, 0x7f, v50
	v_cmp_ne_u32_e32 vcc, s51, v8
	v_mov_b32_e32 v7, 0x7f800001
	s_and_saveexec_b64 s[90:91], vcc
	s_cbranch_execz .LBB6_5444
; %bb.5443:                             ;   in Loop: Header=BB6_4155 Depth=2
	v_and_b32_e32 v9, 7, v16
	v_ffbh_u32_e32 v7, v9
	v_min_u32_e32 v18, 32, v7
	v_lshrrev_b32_e32 v17, 3, v8
	v_subrev_u32_e32 v7, 28, v18
	v_cmp_gt_u32_e32 vcc, 8, v8
	v_lshlrev_b64 v[7:8], v7, v[16:17]
	v_sub_u32_e32 v8, 29, v18
	v_and_b32_e32 v7, 7, v7
	v_cndmask_b32_e32 v8, v17, v8, vcc
	v_cndmask_b32_e32 v7, v9, v7, vcc
	v_lshlrev_b32_e32 v9, 24, v50
	v_bfrev_b32_e32 v16, 60
	v_lshlrev_b32_e32 v7, 20, v7
	v_and_b32_e32 v9, 0x80000000, v9
	v_lshl_add_u32 v8, v8, 23, v16
	v_or3_b32 v7, v9, v8, v7
.LBB6_5444:                             ;   in Loop: Header=BB6_4155 Depth=2
	s_or_b64 exec, exec, s[90:91]
.LBB6_5445:                             ;   in Loop: Header=BB6_4155 Depth=2
	s_or_b64 exec, exec, s[88:89]
.LBB6_5446:                             ;   in Loop: Header=BB6_4155 Depth=2
	s_or_b64 exec, exec, s[20:21]
	v_and_b32_e32 v16, 0xff, v0
	v_cmp_ne_u16_e32 vcc, 0, v16
	s_and_saveexec_b64 s[20:21], vcc
	s_cbranch_execz .LBB6_5452
; %bb.5447:                             ;   in Loop: Header=BB6_4155 Depth=2
	v_cmp_ne_u16_e32 vcc, s53, v16
	v_bfrev_b32_e32 v1, 1
	s_and_saveexec_b64 s[88:89], vcc
	s_cbranch_execz .LBB6_5451
; %bb.5448:                             ;   in Loop: Header=BB6_4155 Depth=2
	v_and_b32_e32 v8, 0x7f, v0
	v_cmp_ne_u32_e32 vcc, s51, v8
	v_mov_b32_e32 v1, 0x7f800001
	s_and_saveexec_b64 s[90:91], vcc
	s_cbranch_execz .LBB6_5450
; %bb.5449:                             ;   in Loop: Header=BB6_4155 Depth=2
	v_and_b32_e32 v1, 7, v16
	v_lshrrev_b32_e32 v17, 3, v8
	v_cmp_gt_u32_e32 vcc, 8, v8
	v_ffbh_u32_e32 v8, v1
	v_min_u32_e32 v18, 32, v8
	v_subrev_u32_e32 v8, 28, v18
	v_lshlrev_b64 v[8:9], v8, v[16:17]
	v_sub_u32_e32 v9, 29, v18
	v_and_b32_e32 v8, 7, v8
	v_cndmask_b32_e32 v9, v17, v9, vcc
	v_cndmask_b32_e32 v1, v1, v8, vcc
	v_lshlrev_b32_e32 v0, 24, v0
	v_bfrev_b32_e32 v8, 60
	v_lshlrev_b32_e32 v1, 20, v1
	v_and_b32_e32 v0, 0x80000000, v0
	v_lshl_add_u32 v8, v9, 23, v8
	v_or3_b32 v1, v0, v8, v1
.LBB6_5450:                             ;   in Loop: Header=BB6_4155 Depth=2
	s_or_b64 exec, exec, s[90:91]
.LBB6_5451:                             ;   in Loop: Header=BB6_4155 Depth=2
	s_or_b64 exec, exec, s[88:89]
.LBB6_5452:                             ;   in Loop: Header=BB6_4155 Depth=2
	s_or_b64 exec, exec, s[20:21]
	v_add_f32_e32 v1, v7, v1
	v_and_b32_e32 v52, 0x7f800000, v1
	v_cmp_ne_u64_e32 vcc, s[56:57], v[52:53]
                                        ; implicit-def: $vgpr50
	s_and_saveexec_b64 s[20:21], vcc
	s_xor_b64 s[88:89], exec, s[20:21]
	s_cbranch_execz .LBB6_5470
; %bb.5453:                             ;   in Loop: Header=BB6_4155 Depth=2
	v_and_b32_e32 v52, 0x7fffffff, v1
	v_cmp_gt_u64_e32 vcc, s[58:59], v[52:53]
	v_and_b32_sdwa v0, v1, s53 dst_sel:DWORD dst_unused:UNUSED_PAD src0_sel:BYTE_3 src1_sel:DWORD
                                        ; implicit-def: $vgpr50
	s_and_saveexec_b64 s[20:21], vcc
	s_xor_b64 s[90:91], exec, s[20:21]
	s_cbranch_execz .LBB6_5467
; %bb.5454:                             ;   in Loop: Header=BB6_4155 Depth=2
	v_cmp_ne_u32_e32 vcc, 0, v1
	v_mov_b32_e32 v50, 0
	s_and_saveexec_b64 s[92:93], vcc
	s_cbranch_execz .LBB6_5466
; %bb.5455:                             ;   in Loop: Header=BB6_4155 Depth=2
	v_and_b32_e32 v8, 0x7fffff, v1
	v_bfe_u32 v1, v1, 23, 8
	v_cmp_gt_u32_e64 s[20:21], s54, v1
	v_sub_u32_e32 v7, 0x79, v1
	v_cmp_eq_u32_e32 vcc, 0, v1
	v_cndmask_b32_e64 v7, 0, v7, s[20:21]
	v_mov_b32_e32 v16, 0x78
	v_or_b32_e32 v9, 0x800000, v8
	v_cndmask_b32_e32 v7, v7, v16, vcc
	v_cndmask_b32_e32 v52, v9, v8, vcc
	v_add_u32_e32 v8, 20, v7
	v_lshlrev_b64 v[8:9], v8, -1
	v_add_u32_e32 v16, 19, v7
	v_lshlrev_b64 v[16:17], v16, 1
	v_bfi_b32 v9, v9, 0, 0
	v_bfi_b32 v8, v8, 0, v52
	v_cmp_eq_u64_e64 s[20:21], v[8:9], v[16:17]
	v_lshrrev_b64 v[16:17], v7, v[52:53]
	v_mov_b32_e32 v18, v17
	v_mov_b32_e32 v17, v16
	s_and_saveexec_b64 s[94:95], s[20:21]
; %bb.5456:                             ;   in Loop: Header=BB6_4155 Depth=2
	v_bfe_u32 v8, v16, 20, 1
	v_add_co_u32_e64 v8, s[20:21], v16, v8
	v_add_co_u32_e64 v17, s[20:21], -1, v8
; %bb.5457:                             ;   in Loop: Header=BB6_4155 Depth=2
	s_or_b64 exec, exec, s[94:95]
	v_add_u32_e32 v1, 0xffffff81, v1
	v_mov_b32_e32 v8, 0xffffff82
	v_cndmask_b32_e32 v1, v1, v8, vcc
	v_lshrrev_b32_e32 v8, 23, v16
	v_add3_u32 v8, v7, v1, v8
	v_add_u32_e32 v7, 6, v8
	v_and_b32_e32 v1, 0xfffff, v17
	v_add_u32_e32 v52, v1, v16
	v_cmp_ne_u32_e32 vcc, 0, v7
                                        ; implicit-def: $vgpr16_vgpr17
                                        ; implicit-def: $vgpr1
	s_and_saveexec_b64 s[20:21], vcc
	s_xor_b64 s[20:21], exec, s[20:21]
; %bb.5458:                             ;   in Loop: Header=BB6_4155 Depth=2
	v_cmp_lt_u64_e32 vcc, s[60:61], v[52:53]
	v_add_u32_e32 v1, 7, v8
	v_cndmask_b32_e32 v1, v7, v1, vcc
	v_cndmask_b32_e64 v7, 0, 1, vcc
	v_lshrrev_b64 v[16:17], v7, v[52:53]
; %bb.5459:                             ;   in Loop: Header=BB6_4155 Depth=2
	s_andn2_saveexec_b64 s[20:21], s[20:21]
; %bb.5460:                             ;   in Loop: Header=BB6_4155 Depth=2
	v_mov_b32_e32 v16, v52
	v_mov_b32_e32 v17, v53
	v_bfe_u32 v1, v52, 23, 1
; %bb.5461:                             ;   in Loop: Header=BB6_4155 Depth=2
	s_or_b64 exec, exec, s[20:21]
	v_lshrrev_b64 v[7:8], 20, v[16:17]
	v_cmp_gt_i32_e32 vcc, 16, v1
	v_cndmask_b32_e32 v17, 0, v8, vcc
	v_cndmask_b32_e32 v16, 7, v7, vcc
	v_cmp_ne_u64_e32 vcc, 0, v[16:17]
	v_cmp_ne_u32_e64 s[20:21], 0, v1
	s_or_b64 s[20:21], s[20:21], vcc
                                        ; implicit-def: $vgpr50
	s_and_saveexec_b64 s[94:95], s[20:21]
	s_xor_b64 s[20:21], exec, s[94:95]
; %bb.5462:                             ;   in Loop: Header=BB6_4155 Depth=2
	v_min_i32_e32 v1, 15, v1
	v_lshl_or_b32 v0, v1, 3, v0
	v_and_or_b32 v50, v16, 7, v0
                                        ; implicit-def: $vgpr0
; %bb.5463:                             ;   in Loop: Header=BB6_4155 Depth=2
	s_andn2_saveexec_b64 s[20:21], s[20:21]
; %bb.5464:                             ;   in Loop: Header=BB6_4155 Depth=2
	v_mov_b32_e32 v50, v0
; %bb.5465:                             ;   in Loop: Header=BB6_4155 Depth=2
	s_or_b64 exec, exec, s[20:21]
.LBB6_5466:                             ;   in Loop: Header=BB6_4155 Depth=2
	s_or_b64 exec, exec, s[92:93]
                                        ; implicit-def: $vgpr0
.LBB6_5467:                             ;   in Loop: Header=BB6_4155 Depth=2
	s_andn2_saveexec_b64 s[20:21], s[90:91]
; %bb.5468:                             ;   in Loop: Header=BB6_4155 Depth=2
	v_or_b32_e32 v50, 0x7e, v0
; %bb.5469:                             ;   in Loop: Header=BB6_4155 Depth=2
	s_or_b64 exec, exec, s[20:21]
                                        ; implicit-def: $vgpr1
.LBB6_5470:                             ;   in Loop: Header=BB6_4155 Depth=2
	s_andn2_saveexec_b64 s[20:21], s[88:89]
; %bb.5471:                             ;   in Loop: Header=BB6_4155 Depth=2
	v_or_b32_sdwa v50, v1, s51 dst_sel:DWORD dst_unused:UNUSED_PAD src0_sel:BYTE_3 src1_sel:DWORD
; %bb.5472:                             ;   in Loop: Header=BB6_4155 Depth=2
	s_or_b64 exec, exec, s[20:21]
	v_and_b32_e32 v16, 0xff, v49
	v_cmp_ne_u16_e32 vcc, 0, v16
	v_mov_b32_e32 v0, 0
	v_mov_b32_e32 v1, 0
	s_and_saveexec_b64 s[20:21], vcc
	s_cbranch_execz .LBB6_5478
; %bb.5473:                             ;   in Loop: Header=BB6_4155 Depth=2
	v_cmp_ne_u16_e32 vcc, s53, v16
	v_bfrev_b32_e32 v1, 1
	s_and_saveexec_b64 s[88:89], vcc
	s_cbranch_execz .LBB6_5477
; %bb.5474:                             ;   in Loop: Header=BB6_4155 Depth=2
	v_and_b32_e32 v7, 0x7f, v49
	v_cmp_ne_u32_e32 vcc, s51, v7
	v_mov_b32_e32 v1, 0x7f800001
	s_and_saveexec_b64 s[90:91], vcc
	s_cbranch_execz .LBB6_5476
; %bb.5475:                             ;   in Loop: Header=BB6_4155 Depth=2
	v_and_b32_e32 v1, 7, v16
	v_lshrrev_b32_e32 v9, 3, v7
	v_cmp_gt_u32_e32 vcc, 8, v7
	v_ffbh_u32_e32 v7, v1
	v_min_u32_e32 v17, 32, v7
	v_subrev_u32_e32 v7, 28, v17
	v_lshlrev_b64 v[7:8], v7, v[16:17]
	v_sub_u32_e32 v8, 29, v17
	v_and_b32_e32 v7, 7, v7
	v_cndmask_b32_e32 v8, v9, v8, vcc
	v_cndmask_b32_e32 v1, v1, v7, vcc
	v_lshlrev_b32_e32 v7, 24, v49
	v_bfrev_b32_e32 v9, 60
	v_lshlrev_b32_e32 v1, 20, v1
	v_and_b32_e32 v7, 0x80000000, v7
	v_lshl_add_u32 v8, v8, 23, v9
	v_or3_b32 v1, v7, v8, v1
.LBB6_5476:                             ;   in Loop: Header=BB6_4155 Depth=2
	s_or_b64 exec, exec, s[90:91]
.LBB6_5477:                             ;   in Loop: Header=BB6_4155 Depth=2
	s_or_b64 exec, exec, s[88:89]
.LBB6_5478:                             ;   in Loop: Header=BB6_4155 Depth=2
	s_or_b64 exec, exec, s[20:21]
	v_and_b32_e32 v16, 0xff, v27
	v_cmp_ne_u16_e32 vcc, 0, v16
	s_and_saveexec_b64 s[20:21], vcc
	s_cbranch_execz .LBB6_5484
; %bb.5479:                             ;   in Loop: Header=BB6_4155 Depth=2
	v_cmp_ne_u16_e32 vcc, s53, v16
	v_bfrev_b32_e32 v0, 1
	s_and_saveexec_b64 s[88:89], vcc
	s_cbranch_execz .LBB6_5483
; %bb.5480:                             ;   in Loop: Header=BB6_4155 Depth=2
	v_and_b32_e32 v7, 0x7f, v27
	v_cmp_ne_u32_e32 vcc, s51, v7
	v_mov_b32_e32 v0, 0x7f800001
	s_and_saveexec_b64 s[90:91], vcc
	s_cbranch_execz .LBB6_5482
; %bb.5481:                             ;   in Loop: Header=BB6_4155 Depth=2
	v_and_b32_e32 v0, 7, v16
	v_lshrrev_b32_e32 v9, 3, v7
	v_cmp_gt_u32_e32 vcc, 8, v7
	v_ffbh_u32_e32 v7, v0
	v_min_u32_e32 v17, 32, v7
	v_subrev_u32_e32 v7, 28, v17
	v_lshlrev_b64 v[7:8], v7, v[16:17]
	v_sub_u32_e32 v8, 29, v17
	v_and_b32_e32 v7, 7, v7
	v_cndmask_b32_e32 v8, v9, v8, vcc
	v_cndmask_b32_e32 v0, v0, v7, vcc
	v_lshlrev_b32_e32 v7, 24, v27
	v_bfrev_b32_e32 v9, 60
	v_lshlrev_b32_e32 v0, 20, v0
	v_and_b32_e32 v7, 0x80000000, v7
	v_lshl_add_u32 v8, v8, 23, v9
	v_or3_b32 v0, v7, v8, v0
.LBB6_5482:                             ;   in Loop: Header=BB6_4155 Depth=2
	s_or_b64 exec, exec, s[90:91]
.LBB6_5483:                             ;   in Loop: Header=BB6_4155 Depth=2
	s_or_b64 exec, exec, s[88:89]
.LBB6_5484:                             ;   in Loop: Header=BB6_4155 Depth=2
	s_or_b64 exec, exec, s[20:21]
	v_add_f32_e32 v1, v1, v0
	v_and_b32_e32 v52, 0x7f800000, v1
	v_cmp_ne_u64_e32 vcc, s[56:57], v[52:53]
                                        ; implicit-def: $vgpr49
	s_and_saveexec_b64 s[20:21], vcc
	s_xor_b64 s[88:89], exec, s[20:21]
	s_cbranch_execz .LBB6_5502
; %bb.5485:                             ;   in Loop: Header=BB6_4155 Depth=2
	v_and_b32_e32 v52, 0x7fffffff, v1
	v_cmp_gt_u64_e32 vcc, s[58:59], v[52:53]
	v_and_b32_sdwa v0, v1, s53 dst_sel:DWORD dst_unused:UNUSED_PAD src0_sel:BYTE_3 src1_sel:DWORD
                                        ; implicit-def: $vgpr49
	s_and_saveexec_b64 s[20:21], vcc
	s_xor_b64 s[90:91], exec, s[20:21]
	s_cbranch_execz .LBB6_5499
; %bb.5486:                             ;   in Loop: Header=BB6_4155 Depth=2
	v_cmp_ne_u32_e32 vcc, 0, v1
	v_mov_b32_e32 v49, 0
	s_and_saveexec_b64 s[92:93], vcc
	s_cbranch_execz .LBB6_5498
; %bb.5487:                             ;   in Loop: Header=BB6_4155 Depth=2
	v_and_b32_e32 v8, 0x7fffff, v1
	v_bfe_u32 v1, v1, 23, 8
	v_cmp_gt_u32_e64 s[20:21], s54, v1
	v_sub_u32_e32 v7, 0x79, v1
	v_cmp_eq_u32_e32 vcc, 0, v1
	v_cndmask_b32_e64 v7, 0, v7, s[20:21]
	v_mov_b32_e32 v16, 0x78
	v_or_b32_e32 v9, 0x800000, v8
	v_cndmask_b32_e32 v7, v7, v16, vcc
	v_cndmask_b32_e32 v52, v9, v8, vcc
	v_add_u32_e32 v8, 20, v7
	v_lshlrev_b64 v[8:9], v8, -1
	v_add_u32_e32 v16, 19, v7
	v_lshlrev_b64 v[16:17], v16, 1
	v_bfi_b32 v9, v9, 0, 0
	v_bfi_b32 v8, v8, 0, v52
	v_cmp_eq_u64_e64 s[20:21], v[8:9], v[16:17]
	v_lshrrev_b64 v[16:17], v7, v[52:53]
	v_mov_b32_e32 v18, v17
	v_mov_b32_e32 v17, v16
	s_and_saveexec_b64 s[94:95], s[20:21]
; %bb.5488:                             ;   in Loop: Header=BB6_4155 Depth=2
	v_bfe_u32 v8, v16, 20, 1
	v_add_co_u32_e64 v8, s[20:21], v16, v8
	v_add_co_u32_e64 v17, s[20:21], -1, v8
; %bb.5489:                             ;   in Loop: Header=BB6_4155 Depth=2
	s_or_b64 exec, exec, s[94:95]
	v_add_u32_e32 v1, 0xffffff81, v1
	v_mov_b32_e32 v8, 0xffffff82
	v_cndmask_b32_e32 v1, v1, v8, vcc
	v_lshrrev_b32_e32 v8, 23, v16
	v_add3_u32 v8, v7, v1, v8
	v_add_u32_e32 v7, 6, v8
	v_and_b32_e32 v1, 0xfffff, v17
	v_add_u32_e32 v52, v1, v16
	v_cmp_ne_u32_e32 vcc, 0, v7
                                        ; implicit-def: $vgpr16_vgpr17
                                        ; implicit-def: $vgpr1
	s_and_saveexec_b64 s[20:21], vcc
	s_xor_b64 s[20:21], exec, s[20:21]
; %bb.5490:                             ;   in Loop: Header=BB6_4155 Depth=2
	v_cmp_lt_u64_e32 vcc, s[60:61], v[52:53]
	v_add_u32_e32 v1, 7, v8
	v_cndmask_b32_e32 v1, v7, v1, vcc
	v_cndmask_b32_e64 v7, 0, 1, vcc
	v_lshrrev_b64 v[16:17], v7, v[52:53]
; %bb.5491:                             ;   in Loop: Header=BB6_4155 Depth=2
	s_andn2_saveexec_b64 s[20:21], s[20:21]
; %bb.5492:                             ;   in Loop: Header=BB6_4155 Depth=2
	v_mov_b32_e32 v16, v52
	v_mov_b32_e32 v17, v53
	v_bfe_u32 v1, v52, 23, 1
; %bb.5493:                             ;   in Loop: Header=BB6_4155 Depth=2
	s_or_b64 exec, exec, s[20:21]
	v_lshrrev_b64 v[7:8], 20, v[16:17]
	v_cmp_gt_i32_e32 vcc, 16, v1
	v_cndmask_b32_e32 v17, 0, v8, vcc
	v_cndmask_b32_e32 v16, 7, v7, vcc
	v_cmp_ne_u64_e32 vcc, 0, v[16:17]
	v_cmp_ne_u32_e64 s[20:21], 0, v1
	s_or_b64 s[20:21], s[20:21], vcc
                                        ; implicit-def: $vgpr49
	s_and_saveexec_b64 s[94:95], s[20:21]
	s_xor_b64 s[20:21], exec, s[94:95]
; %bb.5494:                             ;   in Loop: Header=BB6_4155 Depth=2
	v_min_i32_e32 v1, 15, v1
	v_lshl_or_b32 v0, v1, 3, v0
	v_and_or_b32 v49, v16, 7, v0
                                        ; implicit-def: $vgpr0
; %bb.5495:                             ;   in Loop: Header=BB6_4155 Depth=2
	s_andn2_saveexec_b64 s[20:21], s[20:21]
; %bb.5496:                             ;   in Loop: Header=BB6_4155 Depth=2
	v_mov_b32_e32 v49, v0
; %bb.5497:                             ;   in Loop: Header=BB6_4155 Depth=2
	s_or_b64 exec, exec, s[20:21]
.LBB6_5498:                             ;   in Loop: Header=BB6_4155 Depth=2
	s_or_b64 exec, exec, s[92:93]
                                        ; implicit-def: $vgpr0
.LBB6_5499:                             ;   in Loop: Header=BB6_4155 Depth=2
	s_andn2_saveexec_b64 s[20:21], s[90:91]
; %bb.5500:                             ;   in Loop: Header=BB6_4155 Depth=2
	v_or_b32_e32 v49, 0x7e, v0
; %bb.5501:                             ;   in Loop: Header=BB6_4155 Depth=2
	s_or_b64 exec, exec, s[20:21]
                                        ; implicit-def: $vgpr1
.LBB6_5502:                             ;   in Loop: Header=BB6_4155 Depth=2
	s_andn2_saveexec_b64 s[20:21], s[88:89]
; %bb.5503:                             ;   in Loop: Header=BB6_4155 Depth=2
	v_or_b32_sdwa v49, v1, s51 dst_sel:DWORD dst_unused:UNUSED_PAD src0_sel:BYTE_3 src1_sel:DWORD
; %bb.5504:                             ;   in Loop: Header=BB6_4155 Depth=2
	s_or_b64 exec, exec, s[20:21]
	v_and_b32_e32 v16, 0xff, v48
	v_cmp_ne_u16_e32 vcc, 0, v16
	v_mov_b32_e32 v0, 0
	v_mov_b32_e32 v1, 0
	s_and_saveexec_b64 s[20:21], vcc
	s_cbranch_execz .LBB6_5510
; %bb.5505:                             ;   in Loop: Header=BB6_4155 Depth=2
	v_cmp_ne_u16_e32 vcc, s53, v16
	v_bfrev_b32_e32 v1, 1
	s_and_saveexec_b64 s[88:89], vcc
	s_cbranch_execz .LBB6_5509
; %bb.5506:                             ;   in Loop: Header=BB6_4155 Depth=2
	v_and_b32_e32 v7, 0x7f, v48
	v_cmp_ne_u32_e32 vcc, s51, v7
	v_mov_b32_e32 v1, 0x7f800001
	s_and_saveexec_b64 s[90:91], vcc
	s_cbranch_execz .LBB6_5508
; %bb.5507:                             ;   in Loop: Header=BB6_4155 Depth=2
	v_and_b32_e32 v1, 7, v16
	v_lshrrev_b32_e32 v9, 3, v7
	v_cmp_gt_u32_e32 vcc, 8, v7
	v_ffbh_u32_e32 v7, v1
	v_min_u32_e32 v17, 32, v7
	v_subrev_u32_e32 v7, 28, v17
	v_lshlrev_b64 v[7:8], v7, v[16:17]
	v_sub_u32_e32 v8, 29, v17
	v_and_b32_e32 v7, 7, v7
	v_cndmask_b32_e32 v8, v9, v8, vcc
	v_cndmask_b32_e32 v1, v1, v7, vcc
	v_lshlrev_b32_e32 v7, 24, v48
	v_bfrev_b32_e32 v9, 60
	v_lshlrev_b32_e32 v1, 20, v1
	v_and_b32_e32 v7, 0x80000000, v7
	v_lshl_add_u32 v8, v8, 23, v9
	v_or3_b32 v1, v7, v8, v1
.LBB6_5508:                             ;   in Loop: Header=BB6_4155 Depth=2
	s_or_b64 exec, exec, s[90:91]
.LBB6_5509:                             ;   in Loop: Header=BB6_4155 Depth=2
	s_or_b64 exec, exec, s[88:89]
.LBB6_5510:                             ;   in Loop: Header=BB6_4155 Depth=2
	s_or_b64 exec, exec, s[20:21]
	v_and_b32_e32 v16, 0xff, v55
	v_cmp_ne_u16_e32 vcc, 0, v16
	s_and_saveexec_b64 s[20:21], vcc
	s_cbranch_execz .LBB6_5516
; %bb.5511:                             ;   in Loop: Header=BB6_4155 Depth=2
	v_cmp_ne_u16_e32 vcc, s53, v16
	v_bfrev_b32_e32 v0, 1
	s_and_saveexec_b64 s[88:89], vcc
	s_cbranch_execz .LBB6_5515
; %bb.5512:                             ;   in Loop: Header=BB6_4155 Depth=2
	v_and_b32_e32 v7, 0x7f, v55
	v_cmp_ne_u32_e32 vcc, s51, v7
	v_mov_b32_e32 v0, 0x7f800001
	s_and_saveexec_b64 s[90:91], vcc
	s_cbranch_execz .LBB6_5514
; %bb.5513:                             ;   in Loop: Header=BB6_4155 Depth=2
	v_and_b32_e32 v0, 7, v16
	v_lshrrev_b32_e32 v9, 3, v7
	v_cmp_gt_u32_e32 vcc, 8, v7
	v_ffbh_u32_e32 v7, v0
	v_min_u32_e32 v17, 32, v7
	v_subrev_u32_e32 v7, 28, v17
	v_lshlrev_b64 v[7:8], v7, v[16:17]
	v_sub_u32_e32 v8, 29, v17
	v_and_b32_e32 v7, 7, v7
	v_cndmask_b32_e32 v8, v9, v8, vcc
	v_cndmask_b32_e32 v0, v0, v7, vcc
	v_lshlrev_b32_e32 v7, 24, v55
	v_bfrev_b32_e32 v9, 60
	v_lshlrev_b32_e32 v0, 20, v0
	v_and_b32_e32 v7, 0x80000000, v7
	v_lshl_add_u32 v8, v8, 23, v9
	v_or3_b32 v0, v7, v8, v0
.LBB6_5514:                             ;   in Loop: Header=BB6_4155 Depth=2
	s_or_b64 exec, exec, s[90:91]
.LBB6_5515:                             ;   in Loop: Header=BB6_4155 Depth=2
	s_or_b64 exec, exec, s[88:89]
.LBB6_5516:                             ;   in Loop: Header=BB6_4155 Depth=2
	s_or_b64 exec, exec, s[20:21]
	v_add_f32_e32 v1, v1, v0
	v_and_b32_e32 v52, 0x7f800000, v1
	v_cmp_ne_u64_e32 vcc, s[56:57], v[52:53]
                                        ; implicit-def: $vgpr48
	s_and_saveexec_b64 s[20:21], vcc
	s_xor_b64 s[88:89], exec, s[20:21]
	s_cbranch_execz .LBB6_5534
; %bb.5517:                             ;   in Loop: Header=BB6_4155 Depth=2
	v_and_b32_e32 v52, 0x7fffffff, v1
	v_cmp_gt_u64_e32 vcc, s[58:59], v[52:53]
	v_and_b32_sdwa v0, v1, s53 dst_sel:DWORD dst_unused:UNUSED_PAD src0_sel:BYTE_3 src1_sel:DWORD
                                        ; implicit-def: $vgpr48
	s_and_saveexec_b64 s[20:21], vcc
	s_xor_b64 s[90:91], exec, s[20:21]
	s_cbranch_execz .LBB6_5531
; %bb.5518:                             ;   in Loop: Header=BB6_4155 Depth=2
	v_cmp_ne_u32_e32 vcc, 0, v1
	v_mov_b32_e32 v48, 0
	s_and_saveexec_b64 s[92:93], vcc
	s_cbranch_execz .LBB6_5530
; %bb.5519:                             ;   in Loop: Header=BB6_4155 Depth=2
	v_and_b32_e32 v8, 0x7fffff, v1
	v_bfe_u32 v1, v1, 23, 8
	v_cmp_gt_u32_e64 s[20:21], s54, v1
	v_sub_u32_e32 v7, 0x79, v1
	v_cmp_eq_u32_e32 vcc, 0, v1
	v_cndmask_b32_e64 v7, 0, v7, s[20:21]
	v_mov_b32_e32 v16, 0x78
	v_or_b32_e32 v9, 0x800000, v8
	v_cndmask_b32_e32 v7, v7, v16, vcc
	v_cndmask_b32_e32 v52, v9, v8, vcc
	v_add_u32_e32 v8, 20, v7
	v_lshlrev_b64 v[8:9], v8, -1
	v_add_u32_e32 v16, 19, v7
	v_lshlrev_b64 v[16:17], v16, 1
	v_bfi_b32 v9, v9, 0, 0
	v_bfi_b32 v8, v8, 0, v52
	v_cmp_eq_u64_e64 s[20:21], v[8:9], v[16:17]
	v_lshrrev_b64 v[16:17], v7, v[52:53]
	v_mov_b32_e32 v18, v17
	v_mov_b32_e32 v17, v16
	s_and_saveexec_b64 s[94:95], s[20:21]
; %bb.5520:                             ;   in Loop: Header=BB6_4155 Depth=2
	v_bfe_u32 v8, v16, 20, 1
	v_add_co_u32_e64 v8, s[20:21], v16, v8
	v_add_co_u32_e64 v17, s[20:21], -1, v8
; %bb.5521:                             ;   in Loop: Header=BB6_4155 Depth=2
	s_or_b64 exec, exec, s[94:95]
	v_add_u32_e32 v1, 0xffffff81, v1
	v_mov_b32_e32 v8, 0xffffff82
	v_cndmask_b32_e32 v1, v1, v8, vcc
	v_lshrrev_b32_e32 v8, 23, v16
	v_add3_u32 v8, v7, v1, v8
	v_add_u32_e32 v7, 6, v8
	v_and_b32_e32 v1, 0xfffff, v17
	v_add_u32_e32 v52, v1, v16
	v_cmp_ne_u32_e32 vcc, 0, v7
                                        ; implicit-def: $vgpr16_vgpr17
                                        ; implicit-def: $vgpr1
	s_and_saveexec_b64 s[20:21], vcc
	s_xor_b64 s[20:21], exec, s[20:21]
; %bb.5522:                             ;   in Loop: Header=BB6_4155 Depth=2
	v_cmp_lt_u64_e32 vcc, s[60:61], v[52:53]
	v_add_u32_e32 v1, 7, v8
	v_cndmask_b32_e32 v1, v7, v1, vcc
	v_cndmask_b32_e64 v7, 0, 1, vcc
	v_lshrrev_b64 v[16:17], v7, v[52:53]
; %bb.5523:                             ;   in Loop: Header=BB6_4155 Depth=2
	s_andn2_saveexec_b64 s[20:21], s[20:21]
; %bb.5524:                             ;   in Loop: Header=BB6_4155 Depth=2
	v_mov_b32_e32 v16, v52
	v_mov_b32_e32 v17, v53
	v_bfe_u32 v1, v52, 23, 1
; %bb.5525:                             ;   in Loop: Header=BB6_4155 Depth=2
	s_or_b64 exec, exec, s[20:21]
	v_lshrrev_b64 v[7:8], 20, v[16:17]
	v_cmp_gt_i32_e32 vcc, 16, v1
	v_cndmask_b32_e32 v17, 0, v8, vcc
	v_cndmask_b32_e32 v16, 7, v7, vcc
	v_cmp_ne_u64_e32 vcc, 0, v[16:17]
	v_cmp_ne_u32_e64 s[20:21], 0, v1
	s_or_b64 s[20:21], s[20:21], vcc
                                        ; implicit-def: $vgpr48
	s_and_saveexec_b64 s[94:95], s[20:21]
	s_xor_b64 s[20:21], exec, s[94:95]
; %bb.5526:                             ;   in Loop: Header=BB6_4155 Depth=2
	v_min_i32_e32 v1, 15, v1
	v_lshl_or_b32 v0, v1, 3, v0
	v_and_or_b32 v48, v16, 7, v0
                                        ; implicit-def: $vgpr0
; %bb.5527:                             ;   in Loop: Header=BB6_4155 Depth=2
	s_andn2_saveexec_b64 s[20:21], s[20:21]
; %bb.5528:                             ;   in Loop: Header=BB6_4155 Depth=2
	v_mov_b32_e32 v48, v0
; %bb.5529:                             ;   in Loop: Header=BB6_4155 Depth=2
	s_or_b64 exec, exec, s[20:21]
.LBB6_5530:                             ;   in Loop: Header=BB6_4155 Depth=2
	s_or_b64 exec, exec, s[92:93]
                                        ; implicit-def: $vgpr0
.LBB6_5531:                             ;   in Loop: Header=BB6_4155 Depth=2
	s_andn2_saveexec_b64 s[20:21], s[90:91]
; %bb.5532:                             ;   in Loop: Header=BB6_4155 Depth=2
	v_or_b32_e32 v48, 0x7e, v0
; %bb.5533:                             ;   in Loop: Header=BB6_4155 Depth=2
	s_or_b64 exec, exec, s[20:21]
                                        ; implicit-def: $vgpr1
.LBB6_5534:                             ;   in Loop: Header=BB6_4155 Depth=2
	s_andn2_saveexec_b64 s[20:21], s[88:89]
; %bb.5535:                             ;   in Loop: Header=BB6_4155 Depth=2
	v_or_b32_sdwa v48, v1, s51 dst_sel:DWORD dst_unused:UNUSED_PAD src0_sel:BYTE_3 src1_sel:DWORD
; %bb.5536:                             ;   in Loop: Header=BB6_4155 Depth=2
	s_or_b64 exec, exec, s[20:21]
	v_and_b32_e32 v16, 0xff, v37
	v_cmp_ne_u16_e32 vcc, 0, v16
	v_mov_b32_e32 v0, 0
	v_mov_b32_e32 v1, 0
	s_and_saveexec_b64 s[20:21], vcc
	s_cbranch_execz .LBB6_5542
; %bb.5537:                             ;   in Loop: Header=BB6_4155 Depth=2
	v_cmp_ne_u16_e32 vcc, s53, v16
	v_bfrev_b32_e32 v1, 1
	s_and_saveexec_b64 s[88:89], vcc
	s_cbranch_execz .LBB6_5541
; %bb.5538:                             ;   in Loop: Header=BB6_4155 Depth=2
	v_and_b32_e32 v7, 0x7f, v37
	v_cmp_ne_u32_e32 vcc, s51, v7
	v_mov_b32_e32 v1, 0x7f800001
	s_and_saveexec_b64 s[90:91], vcc
	s_cbranch_execz .LBB6_5540
; %bb.5539:                             ;   in Loop: Header=BB6_4155 Depth=2
	v_and_b32_e32 v1, 7, v16
	v_lshrrev_b32_e32 v9, 3, v7
	v_cmp_gt_u32_e32 vcc, 8, v7
	v_ffbh_u32_e32 v7, v1
	v_min_u32_e32 v17, 32, v7
	v_subrev_u32_e32 v7, 28, v17
	v_lshlrev_b64 v[7:8], v7, v[16:17]
	v_sub_u32_e32 v8, 29, v17
	v_and_b32_e32 v7, 7, v7
	v_cndmask_b32_e32 v8, v9, v8, vcc
	v_cndmask_b32_e32 v1, v1, v7, vcc
	v_lshlrev_b32_e32 v7, 24, v37
	v_bfrev_b32_e32 v9, 60
	v_lshlrev_b32_e32 v1, 20, v1
	v_and_b32_e32 v7, 0x80000000, v7
	v_lshl_add_u32 v8, v8, 23, v9
	v_or3_b32 v1, v7, v8, v1
.LBB6_5540:                             ;   in Loop: Header=BB6_4155 Depth=2
	s_or_b64 exec, exec, s[90:91]
.LBB6_5541:                             ;   in Loop: Header=BB6_4155 Depth=2
	s_or_b64 exec, exec, s[88:89]
.LBB6_5542:                             ;   in Loop: Header=BB6_4155 Depth=2
	s_or_b64 exec, exec, s[20:21]
	v_and_b32_e32 v16, 0xff, v54
	v_cmp_ne_u16_e32 vcc, 0, v16
	s_and_saveexec_b64 s[20:21], vcc
	s_cbranch_execz .LBB6_5548
; %bb.5543:                             ;   in Loop: Header=BB6_4155 Depth=2
	v_cmp_ne_u16_e32 vcc, s53, v16
	v_bfrev_b32_e32 v0, 1
	s_and_saveexec_b64 s[88:89], vcc
	s_cbranch_execz .LBB6_5547
; %bb.5544:                             ;   in Loop: Header=BB6_4155 Depth=2
	v_and_b32_e32 v7, 0x7f, v54
	v_cmp_ne_u32_e32 vcc, s51, v7
	v_mov_b32_e32 v0, 0x7f800001
	s_and_saveexec_b64 s[90:91], vcc
	s_cbranch_execz .LBB6_5546
; %bb.5545:                             ;   in Loop: Header=BB6_4155 Depth=2
	v_and_b32_e32 v0, 7, v16
	v_lshrrev_b32_e32 v9, 3, v7
	v_cmp_gt_u32_e32 vcc, 8, v7
	v_ffbh_u32_e32 v7, v0
	v_min_u32_e32 v17, 32, v7
	v_subrev_u32_e32 v7, 28, v17
	v_lshlrev_b64 v[7:8], v7, v[16:17]
	v_sub_u32_e32 v8, 29, v17
	v_and_b32_e32 v7, 7, v7
	v_cndmask_b32_e32 v8, v9, v8, vcc
	v_cndmask_b32_e32 v0, v0, v7, vcc
	v_lshlrev_b32_e32 v7, 24, v54
	v_bfrev_b32_e32 v9, 60
	v_lshlrev_b32_e32 v0, 20, v0
	v_and_b32_e32 v7, 0x80000000, v7
	v_lshl_add_u32 v8, v8, 23, v9
	v_or3_b32 v0, v7, v8, v0
.LBB6_5546:                             ;   in Loop: Header=BB6_4155 Depth=2
	s_or_b64 exec, exec, s[90:91]
.LBB6_5547:                             ;   in Loop: Header=BB6_4155 Depth=2
	s_or_b64 exec, exec, s[88:89]
.LBB6_5548:                             ;   in Loop: Header=BB6_4155 Depth=2
	s_or_b64 exec, exec, s[20:21]
	v_add_f32_e32 v1, v1, v0
	v_and_b32_e32 v52, 0x7f800000, v1
	v_cmp_ne_u64_e32 vcc, s[56:57], v[52:53]
                                        ; implicit-def: $vgpr27
	s_and_saveexec_b64 s[20:21], vcc
	s_xor_b64 s[88:89], exec, s[20:21]
	s_cbranch_execz .LBB6_5566
; %bb.5549:                             ;   in Loop: Header=BB6_4155 Depth=2
	v_and_b32_e32 v52, 0x7fffffff, v1
	v_cmp_gt_u64_e32 vcc, s[58:59], v[52:53]
	v_and_b32_sdwa v0, v1, s53 dst_sel:DWORD dst_unused:UNUSED_PAD src0_sel:BYTE_3 src1_sel:DWORD
                                        ; implicit-def: $vgpr27
	s_and_saveexec_b64 s[20:21], vcc
	s_xor_b64 s[90:91], exec, s[20:21]
	s_cbranch_execz .LBB6_5563
; %bb.5550:                             ;   in Loop: Header=BB6_4155 Depth=2
	v_cmp_ne_u32_e32 vcc, 0, v1
	v_mov_b32_e32 v27, 0
	s_and_saveexec_b64 s[92:93], vcc
	s_cbranch_execz .LBB6_5562
; %bb.5551:                             ;   in Loop: Header=BB6_4155 Depth=2
	v_and_b32_e32 v8, 0x7fffff, v1
	v_bfe_u32 v1, v1, 23, 8
	v_cmp_gt_u32_e64 s[20:21], s54, v1
	v_sub_u32_e32 v7, 0x79, v1
	v_cmp_eq_u32_e32 vcc, 0, v1
	v_cndmask_b32_e64 v7, 0, v7, s[20:21]
	v_mov_b32_e32 v16, 0x78
	v_or_b32_e32 v9, 0x800000, v8
	v_cndmask_b32_e32 v7, v7, v16, vcc
	v_cndmask_b32_e32 v52, v9, v8, vcc
	v_add_u32_e32 v8, 20, v7
	v_lshlrev_b64 v[8:9], v8, -1
	v_add_u32_e32 v16, 19, v7
	v_lshlrev_b64 v[16:17], v16, 1
	v_bfi_b32 v9, v9, 0, 0
	v_bfi_b32 v8, v8, 0, v52
	v_cmp_eq_u64_e64 s[20:21], v[8:9], v[16:17]
	v_lshrrev_b64 v[16:17], v7, v[52:53]
	v_mov_b32_e32 v18, v17
	v_mov_b32_e32 v17, v16
	s_and_saveexec_b64 s[94:95], s[20:21]
; %bb.5552:                             ;   in Loop: Header=BB6_4155 Depth=2
	v_bfe_u32 v8, v16, 20, 1
	v_add_co_u32_e64 v8, s[20:21], v16, v8
	v_add_co_u32_e64 v17, s[20:21], -1, v8
; %bb.5553:                             ;   in Loop: Header=BB6_4155 Depth=2
	s_or_b64 exec, exec, s[94:95]
	v_add_u32_e32 v1, 0xffffff81, v1
	v_mov_b32_e32 v8, 0xffffff82
	v_cndmask_b32_e32 v1, v1, v8, vcc
	v_lshrrev_b32_e32 v8, 23, v16
	v_add3_u32 v8, v7, v1, v8
	v_add_u32_e32 v7, 6, v8
	v_and_b32_e32 v1, 0xfffff, v17
	v_add_u32_e32 v52, v1, v16
	v_cmp_ne_u32_e32 vcc, 0, v7
                                        ; implicit-def: $vgpr16_vgpr17
                                        ; implicit-def: $vgpr1
	s_and_saveexec_b64 s[20:21], vcc
	s_xor_b64 s[20:21], exec, s[20:21]
; %bb.5554:                             ;   in Loop: Header=BB6_4155 Depth=2
	v_cmp_lt_u64_e32 vcc, s[60:61], v[52:53]
	v_add_u32_e32 v1, 7, v8
	v_cndmask_b32_e32 v1, v7, v1, vcc
	v_cndmask_b32_e64 v7, 0, 1, vcc
	v_lshrrev_b64 v[16:17], v7, v[52:53]
; %bb.5555:                             ;   in Loop: Header=BB6_4155 Depth=2
	s_andn2_saveexec_b64 s[20:21], s[20:21]
; %bb.5556:                             ;   in Loop: Header=BB6_4155 Depth=2
	v_mov_b32_e32 v16, v52
	v_mov_b32_e32 v17, v53
	v_bfe_u32 v1, v52, 23, 1
; %bb.5557:                             ;   in Loop: Header=BB6_4155 Depth=2
	s_or_b64 exec, exec, s[20:21]
	v_lshrrev_b64 v[7:8], 20, v[16:17]
	v_cmp_gt_i32_e32 vcc, 16, v1
	v_cndmask_b32_e32 v17, 0, v8, vcc
	v_cndmask_b32_e32 v16, 7, v7, vcc
	v_cmp_ne_u64_e32 vcc, 0, v[16:17]
	v_cmp_ne_u32_e64 s[20:21], 0, v1
	s_or_b64 s[20:21], s[20:21], vcc
                                        ; implicit-def: $vgpr27
	s_and_saveexec_b64 s[94:95], s[20:21]
	s_xor_b64 s[20:21], exec, s[94:95]
; %bb.5558:                             ;   in Loop: Header=BB6_4155 Depth=2
	v_min_i32_e32 v1, 15, v1
	v_lshl_or_b32 v0, v1, 3, v0
	v_and_or_b32 v27, v16, 7, v0
                                        ; implicit-def: $vgpr0
; %bb.5559:                             ;   in Loop: Header=BB6_4155 Depth=2
	s_andn2_saveexec_b64 s[20:21], s[20:21]
; %bb.5560:                             ;   in Loop: Header=BB6_4155 Depth=2
	v_mov_b32_e32 v27, v0
; %bb.5561:                             ;   in Loop: Header=BB6_4155 Depth=2
	s_or_b64 exec, exec, s[20:21]
.LBB6_5562:                             ;   in Loop: Header=BB6_4155 Depth=2
	s_or_b64 exec, exec, s[92:93]
                                        ; implicit-def: $vgpr0
.LBB6_5563:                             ;   in Loop: Header=BB6_4155 Depth=2
	s_andn2_saveexec_b64 s[20:21], s[90:91]
; %bb.5564:                             ;   in Loop: Header=BB6_4155 Depth=2
	v_or_b32_e32 v27, 0x7e, v0
; %bb.5565:                             ;   in Loop: Header=BB6_4155 Depth=2
	s_or_b64 exec, exec, s[20:21]
                                        ; implicit-def: $vgpr1
.LBB6_5566:                             ;   in Loop: Header=BB6_4155 Depth=2
	s_andn2_saveexec_b64 s[20:21], s[88:89]
; %bb.5567:                             ;   in Loop: Header=BB6_4155 Depth=2
	v_or_b32_sdwa v27, v1, s51 dst_sel:DWORD dst_unused:UNUSED_PAD src0_sel:BYTE_3 src1_sel:DWORD
; %bb.5568:                             ;   in Loop: Header=BB6_4155 Depth=2
	s_or_b64 exec, exec, s[20:21]
	buffer_load_dword v0, off, s[0:3], s33 offset:152 ; 4-byte Folded Reload
	v_mov_b32_e32 v1, 0
	s_waitcnt vmcnt(0)
	v_and_b32_e32 v16, 0xff, v0
	v_cmp_ne_u16_e32 vcc, 0, v16
	v_mov_b32_e32 v0, 0
	s_and_saveexec_b64 s[20:21], vcc
	s_cbranch_execz .LBB6_5574
; %bb.5569:                             ;   in Loop: Header=BB6_4155 Depth=2
	v_cmp_ne_u16_e32 vcc, s53, v16
	v_bfrev_b32_e32 v1, 1
	s_and_saveexec_b64 s[88:89], vcc
	s_cbranch_execz .LBB6_5573
; %bb.5570:                             ;   in Loop: Header=BB6_4155 Depth=2
	buffer_load_dword v18, off, s[0:3], s33 offset:152 ; 4-byte Folded Reload
	v_mov_b32_e32 v1, 0x7f800001
	s_waitcnt vmcnt(0)
	v_and_b32_e32 v7, 0x7f, v18
	v_cmp_ne_u32_e32 vcc, s51, v7
	s_and_saveexec_b64 s[90:91], vcc
	s_cbranch_execz .LBB6_5572
; %bb.5571:                             ;   in Loop: Header=BB6_4155 Depth=2
	v_and_b32_e32 v1, 7, v16
	v_lshrrev_b32_e32 v9, 3, v7
	v_cmp_gt_u32_e32 vcc, 8, v7
	v_ffbh_u32_e32 v7, v1
	v_min_u32_e32 v17, 32, v7
	v_subrev_u32_e32 v7, 28, v17
	v_lshlrev_b64 v[7:8], v7, v[16:17]
	v_sub_u32_e32 v8, 29, v17
	v_and_b32_e32 v7, 7, v7
	v_cndmask_b32_e32 v8, v9, v8, vcc
	v_cndmask_b32_e32 v1, v1, v7, vcc
	v_lshlrev_b32_e32 v7, 24, v18
	v_bfrev_b32_e32 v9, 60
	v_lshlrev_b32_e32 v1, 20, v1
	v_and_b32_e32 v7, 0x80000000, v7
	v_lshl_add_u32 v8, v8, 23, v9
	v_or3_b32 v1, v7, v8, v1
.LBB6_5572:                             ;   in Loop: Header=BB6_4155 Depth=2
	s_or_b64 exec, exec, s[90:91]
.LBB6_5573:                             ;   in Loop: Header=BB6_4155 Depth=2
	s_or_b64 exec, exec, s[88:89]
.LBB6_5574:                             ;   in Loop: Header=BB6_4155 Depth=2
	s_or_b64 exec, exec, s[20:21]
	v_and_b32_e32 v16, 0xff, v4
	v_cmp_ne_u16_e32 vcc, 0, v16
	s_and_saveexec_b64 s[20:21], vcc
	s_cbranch_execz .LBB6_5580
; %bb.5575:                             ;   in Loop: Header=BB6_4155 Depth=2
	v_cmp_ne_u16_e32 vcc, s53, v16
	v_bfrev_b32_e32 v0, 1
	s_and_saveexec_b64 s[88:89], vcc
	s_cbranch_execz .LBB6_5579
; %bb.5576:                             ;   in Loop: Header=BB6_4155 Depth=2
	v_and_b32_e32 v7, 0x7f, v4
	v_cmp_ne_u32_e32 vcc, s51, v7
	v_mov_b32_e32 v0, 0x7f800001
	s_and_saveexec_b64 s[90:91], vcc
	s_cbranch_execz .LBB6_5578
; %bb.5577:                             ;   in Loop: Header=BB6_4155 Depth=2
	v_and_b32_e32 v0, 7, v16
	v_lshrrev_b32_e32 v9, 3, v7
	v_cmp_gt_u32_e32 vcc, 8, v7
	v_ffbh_u32_e32 v7, v0
	v_min_u32_e32 v17, 32, v7
	v_subrev_u32_e32 v7, 28, v17
	v_lshlrev_b64 v[7:8], v7, v[16:17]
	v_sub_u32_e32 v8, 29, v17
	v_and_b32_e32 v7, 7, v7
	v_cndmask_b32_e32 v8, v9, v8, vcc
	v_cndmask_b32_e32 v0, v0, v7, vcc
	v_lshlrev_b32_e32 v4, 24, v4
	v_bfrev_b32_e32 v7, 60
	v_lshlrev_b32_e32 v0, 20, v0
	v_and_b32_e32 v4, 0x80000000, v4
	v_lshl_add_u32 v7, v8, 23, v7
	v_or3_b32 v0, v4, v7, v0
.LBB6_5578:                             ;   in Loop: Header=BB6_4155 Depth=2
	s_or_b64 exec, exec, s[90:91]
.LBB6_5579:                             ;   in Loop: Header=BB6_4155 Depth=2
	s_or_b64 exec, exec, s[88:89]
.LBB6_5580:                             ;   in Loop: Header=BB6_4155 Depth=2
	s_or_b64 exec, exec, s[20:21]
	v_add_f32_e32 v4, v1, v0
	v_and_b32_e32 v52, 0x7f800000, v4
	v_cmp_ne_u64_e32 vcc, s[56:57], v[52:53]
                                        ; implicit-def: $vgpr0
	s_and_saveexec_b64 s[20:21], vcc
	s_xor_b64 s[88:89], exec, s[20:21]
	s_cbranch_execz .LBB6_5598
; %bb.5581:                             ;   in Loop: Header=BB6_4155 Depth=2
	v_and_b32_e32 v52, 0x7fffffff, v4
	v_cmp_gt_u64_e32 vcc, s[58:59], v[52:53]
	v_and_b32_sdwa v1, v4, s53 dst_sel:DWORD dst_unused:UNUSED_PAD src0_sel:BYTE_3 src1_sel:DWORD
                                        ; implicit-def: $vgpr0
	s_and_saveexec_b64 s[20:21], vcc
	s_xor_b64 s[90:91], exec, s[20:21]
	s_cbranch_execz .LBB6_5595
; %bb.5582:                             ;   in Loop: Header=BB6_4155 Depth=2
	v_cmp_ne_u32_e32 vcc, 0, v4
	v_mov_b32_e32 v0, 0
	s_and_saveexec_b64 s[92:93], vcc
	s_cbranch_execz .LBB6_5594
; %bb.5583:                             ;   in Loop: Header=BB6_4155 Depth=2
	v_bfe_u32 v0, v4, 23, 8
	v_and_b32_e32 v7, 0x7fffff, v4
	v_cmp_gt_u32_e64 s[20:21], s54, v0
	v_sub_u32_e32 v4, 0x79, v0
	v_cmp_eq_u32_e32 vcc, 0, v0
	v_cndmask_b32_e64 v4, 0, v4, s[20:21]
	v_mov_b32_e32 v9, 0x78
	v_or_b32_e32 v8, 0x800000, v7
	v_cndmask_b32_e32 v4, v4, v9, vcc
	v_cndmask_b32_e32 v52, v8, v7, vcc
	v_add_u32_e32 v7, 20, v4
	v_lshlrev_b64 v[7:8], v7, -1
	v_add_u32_e32 v9, 19, v4
	v_lshlrev_b64 v[16:17], v9, 1
	v_bfi_b32 v8, v8, 0, 0
	v_bfi_b32 v7, v7, 0, v52
	v_cmp_eq_u64_e64 s[20:21], v[7:8], v[16:17]
	v_lshrrev_b64 v[16:17], v4, v[52:53]
	v_mov_b32_e32 v18, v17
	v_mov_b32_e32 v17, v16
	s_and_saveexec_b64 s[94:95], s[20:21]
; %bb.5584:                             ;   in Loop: Header=BB6_4155 Depth=2
	v_bfe_u32 v7, v16, 20, 1
	v_add_co_u32_e64 v7, s[20:21], v16, v7
	v_add_co_u32_e64 v17, s[20:21], -1, v7
; %bb.5585:                             ;   in Loop: Header=BB6_4155 Depth=2
	s_or_b64 exec, exec, s[94:95]
	v_add_u32_e32 v0, 0xffffff81, v0
	v_mov_b32_e32 v7, 0xffffff82
	v_cndmask_b32_e32 v0, v0, v7, vcc
	v_lshrrev_b32_e32 v7, 23, v16
	v_add3_u32 v7, v4, v0, v7
	v_add_u32_e32 v0, 6, v7
	v_and_b32_e32 v4, 0xfffff, v17
	v_add_u32_e32 v52, v4, v16
	v_cmp_ne_u32_e32 vcc, 0, v0
                                        ; implicit-def: $vgpr16_vgpr17
                                        ; implicit-def: $vgpr4
	s_and_saveexec_b64 s[20:21], vcc
	s_xor_b64 s[20:21], exec, s[20:21]
; %bb.5586:                             ;   in Loop: Header=BB6_4155 Depth=2
	v_cmp_lt_u64_e32 vcc, s[60:61], v[52:53]
	v_add_u32_e32 v4, 7, v7
	v_cndmask_b32_e32 v4, v0, v4, vcc
	v_cndmask_b32_e64 v0, 0, 1, vcc
	v_lshrrev_b64 v[16:17], v0, v[52:53]
; %bb.5587:                             ;   in Loop: Header=BB6_4155 Depth=2
	s_andn2_saveexec_b64 s[20:21], s[20:21]
; %bb.5588:                             ;   in Loop: Header=BB6_4155 Depth=2
	v_mov_b32_e32 v16, v52
	v_mov_b32_e32 v17, v53
	v_bfe_u32 v4, v52, 23, 1
; %bb.5589:                             ;   in Loop: Header=BB6_4155 Depth=2
	s_or_b64 exec, exec, s[20:21]
	v_lshrrev_b64 v[7:8], 20, v[16:17]
	v_cmp_gt_i32_e32 vcc, 16, v4
	v_cndmask_b32_e32 v17, 0, v8, vcc
	v_cndmask_b32_e32 v16, 7, v7, vcc
	v_cmp_ne_u64_e32 vcc, 0, v[16:17]
	v_cmp_ne_u32_e64 s[20:21], 0, v4
	s_or_b64 s[20:21], s[20:21], vcc
                                        ; implicit-def: $vgpr0
	s_and_saveexec_b64 s[94:95], s[20:21]
	s_xor_b64 s[20:21], exec, s[94:95]
; %bb.5590:                             ;   in Loop: Header=BB6_4155 Depth=2
	v_min_i32_e32 v0, 15, v4
	v_lshl_or_b32 v0, v0, 3, v1
	v_and_or_b32 v0, v16, 7, v0
                                        ; implicit-def: $vgpr1
; %bb.5591:                             ;   in Loop: Header=BB6_4155 Depth=2
	s_andn2_saveexec_b64 s[20:21], s[20:21]
; %bb.5592:                             ;   in Loop: Header=BB6_4155 Depth=2
	v_mov_b32_e32 v0, v1
; %bb.5593:                             ;   in Loop: Header=BB6_4155 Depth=2
	s_or_b64 exec, exec, s[20:21]
.LBB6_5594:                             ;   in Loop: Header=BB6_4155 Depth=2
	s_or_b64 exec, exec, s[92:93]
                                        ; implicit-def: $vgpr1
.LBB6_5595:                             ;   in Loop: Header=BB6_4155 Depth=2
	s_andn2_saveexec_b64 s[20:21], s[90:91]
; %bb.5596:                             ;   in Loop: Header=BB6_4155 Depth=2
	v_or_b32_e32 v0, 0x7e, v1
; %bb.5597:                             ;   in Loop: Header=BB6_4155 Depth=2
	s_or_b64 exec, exec, s[20:21]
                                        ; implicit-def: $vgpr4
.LBB6_5598:                             ;   in Loop: Header=BB6_4155 Depth=2
	s_andn2_saveexec_b64 s[20:21], s[88:89]
; %bb.5599:                             ;   in Loop: Header=BB6_4155 Depth=2
	v_or_b32_sdwa v0, v4, s51 dst_sel:DWORD dst_unused:UNUSED_PAD src0_sel:BYTE_3 src1_sel:DWORD
; %bb.5600:                             ;   in Loop: Header=BB6_4155 Depth=2
	s_or_b64 exec, exec, s[20:21]
	buffer_load_dword v1, off, s[0:3], s33 offset:148 ; 4-byte Folded Reload
	v_mov_b32_e32 v4, 0
	s_waitcnt vmcnt(0)
	v_and_b32_e32 v16, 0xff, v1
	v_cmp_ne_u16_e32 vcc, 0, v16
	v_mov_b32_e32 v1, 0
	s_and_saveexec_b64 s[20:21], vcc
	s_cbranch_execz .LBB6_5606
; %bb.5601:                             ;   in Loop: Header=BB6_4155 Depth=2
	v_cmp_ne_u16_e32 vcc, s53, v16
	v_bfrev_b32_e32 v4, 1
	s_and_saveexec_b64 s[88:89], vcc
	s_cbranch_execz .LBB6_5605
; %bb.5602:                             ;   in Loop: Header=BB6_4155 Depth=2
	buffer_load_dword v18, off, s[0:3], s33 offset:148 ; 4-byte Folded Reload
	v_mov_b32_e32 v4, 0x7f800001
	s_waitcnt vmcnt(0)
	v_and_b32_e32 v7, 0x7f, v18
	v_cmp_ne_u32_e32 vcc, s51, v7
	s_and_saveexec_b64 s[90:91], vcc
	s_cbranch_execz .LBB6_5604
; %bb.5603:                             ;   in Loop: Header=BB6_4155 Depth=2
	v_and_b32_e32 v4, 7, v16
	v_lshrrev_b32_e32 v9, 3, v7
	v_cmp_gt_u32_e32 vcc, 8, v7
	v_ffbh_u32_e32 v7, v4
	v_min_u32_e32 v17, 32, v7
	v_subrev_u32_e32 v7, 28, v17
	v_lshlrev_b64 v[7:8], v7, v[16:17]
	v_sub_u32_e32 v8, 29, v17
	v_and_b32_e32 v7, 7, v7
	v_cndmask_b32_e32 v8, v9, v8, vcc
	v_cndmask_b32_e32 v4, v4, v7, vcc
	v_lshlrev_b32_e32 v7, 24, v18
	v_bfrev_b32_e32 v9, 60
	v_lshlrev_b32_e32 v4, 20, v4
	v_and_b32_e32 v7, 0x80000000, v7
	v_lshl_add_u32 v8, v8, 23, v9
	v_or3_b32 v4, v7, v8, v4
.LBB6_5604:                             ;   in Loop: Header=BB6_4155 Depth=2
	s_or_b64 exec, exec, s[90:91]
.LBB6_5605:                             ;   in Loop: Header=BB6_4155 Depth=2
	s_or_b64 exec, exec, s[88:89]
.LBB6_5606:                             ;   in Loop: Header=BB6_4155 Depth=2
	s_or_b64 exec, exec, s[20:21]
	v_and_b32_e32 v16, 0xff, v5
	v_cmp_ne_u16_e32 vcc, 0, v16
	s_and_saveexec_b64 s[20:21], vcc
	s_cbranch_execz .LBB6_5612
; %bb.5607:                             ;   in Loop: Header=BB6_4155 Depth=2
	v_cmp_ne_u16_e32 vcc, s53, v16
	v_bfrev_b32_e32 v1, 1
	s_and_saveexec_b64 s[88:89], vcc
	s_cbranch_execz .LBB6_5611
; %bb.5608:                             ;   in Loop: Header=BB6_4155 Depth=2
	v_and_b32_e32 v7, 0x7f, v5
	v_cmp_ne_u32_e32 vcc, s51, v7
	v_mov_b32_e32 v1, 0x7f800001
	s_and_saveexec_b64 s[90:91], vcc
	s_cbranch_execz .LBB6_5610
; %bb.5609:                             ;   in Loop: Header=BB6_4155 Depth=2
	v_and_b32_e32 v1, 7, v16
	v_lshrrev_b32_e32 v9, 3, v7
	v_cmp_gt_u32_e32 vcc, 8, v7
	v_ffbh_u32_e32 v7, v1
	v_min_u32_e32 v17, 32, v7
	v_subrev_u32_e32 v7, 28, v17
	v_lshlrev_b64 v[7:8], v7, v[16:17]
	v_sub_u32_e32 v8, 29, v17
	v_and_b32_e32 v7, 7, v7
	v_cndmask_b32_e32 v8, v9, v8, vcc
	v_cndmask_b32_e32 v1, v1, v7, vcc
	v_lshlrev_b32_e32 v5, 24, v5
	v_bfrev_b32_e32 v7, 60
	v_lshlrev_b32_e32 v1, 20, v1
	v_and_b32_e32 v5, 0x80000000, v5
	v_lshl_add_u32 v7, v8, 23, v7
	v_or3_b32 v1, v5, v7, v1
.LBB6_5610:                             ;   in Loop: Header=BB6_4155 Depth=2
	s_or_b64 exec, exec, s[90:91]
.LBB6_5611:                             ;   in Loop: Header=BB6_4155 Depth=2
	s_or_b64 exec, exec, s[88:89]
.LBB6_5612:                             ;   in Loop: Header=BB6_4155 Depth=2
	s_or_b64 exec, exec, s[20:21]
	v_add_f32_e32 v5, v4, v1
	v_and_b32_e32 v52, 0x7f800000, v5
	v_cmp_ne_u64_e32 vcc, s[56:57], v[52:53]
                                        ; implicit-def: $vgpr4
	s_and_saveexec_b64 s[20:21], vcc
	s_xor_b64 s[88:89], exec, s[20:21]
	s_cbranch_execz .LBB6_5630
; %bb.5613:                             ;   in Loop: Header=BB6_4155 Depth=2
	v_and_b32_e32 v52, 0x7fffffff, v5
	v_cmp_gt_u64_e32 vcc, s[58:59], v[52:53]
	v_and_b32_sdwa v1, v5, s53 dst_sel:DWORD dst_unused:UNUSED_PAD src0_sel:BYTE_3 src1_sel:DWORD
                                        ; implicit-def: $vgpr4
	s_and_saveexec_b64 s[20:21], vcc
	s_xor_b64 s[90:91], exec, s[20:21]
	s_cbranch_execz .LBB6_5627
; %bb.5614:                             ;   in Loop: Header=BB6_4155 Depth=2
	v_cmp_ne_u32_e32 vcc, 0, v5
	v_mov_b32_e32 v4, 0
	s_and_saveexec_b64 s[92:93], vcc
	s_cbranch_execz .LBB6_5626
; %bb.5615:                             ;   in Loop: Header=BB6_4155 Depth=2
	v_bfe_u32 v4, v5, 23, 8
	v_and_b32_e32 v7, 0x7fffff, v5
	v_cmp_gt_u32_e64 s[20:21], s54, v4
	v_sub_u32_e32 v5, 0x79, v4
	v_cmp_eq_u32_e32 vcc, 0, v4
	v_cndmask_b32_e64 v5, 0, v5, s[20:21]
	v_mov_b32_e32 v9, 0x78
	v_or_b32_e32 v8, 0x800000, v7
	v_cndmask_b32_e32 v5, v5, v9, vcc
	v_cndmask_b32_e32 v52, v8, v7, vcc
	v_add_u32_e32 v7, 20, v5
	v_lshlrev_b64 v[7:8], v7, -1
	v_add_u32_e32 v9, 19, v5
	v_lshlrev_b64 v[16:17], v9, 1
	v_bfi_b32 v8, v8, 0, 0
	v_bfi_b32 v7, v7, 0, v52
	v_cmp_eq_u64_e64 s[20:21], v[7:8], v[16:17]
	v_lshrrev_b64 v[16:17], v5, v[52:53]
	v_mov_b32_e32 v18, v17
	v_mov_b32_e32 v17, v16
	s_and_saveexec_b64 s[94:95], s[20:21]
; %bb.5616:                             ;   in Loop: Header=BB6_4155 Depth=2
	v_bfe_u32 v7, v16, 20, 1
	v_add_co_u32_e64 v7, s[20:21], v16, v7
	v_add_co_u32_e64 v17, s[20:21], -1, v7
; %bb.5617:                             ;   in Loop: Header=BB6_4155 Depth=2
	s_or_b64 exec, exec, s[94:95]
	v_add_u32_e32 v4, 0xffffff81, v4
	v_mov_b32_e32 v7, 0xffffff82
	v_cndmask_b32_e32 v4, v4, v7, vcc
	v_lshrrev_b32_e32 v7, 23, v16
	v_add3_u32 v7, v5, v4, v7
	v_add_u32_e32 v4, 6, v7
	v_and_b32_e32 v5, 0xfffff, v17
	v_add_u32_e32 v52, v5, v16
	v_cmp_ne_u32_e32 vcc, 0, v4
                                        ; implicit-def: $vgpr16_vgpr17
                                        ; implicit-def: $vgpr5
	s_and_saveexec_b64 s[20:21], vcc
	s_xor_b64 s[20:21], exec, s[20:21]
; %bb.5618:                             ;   in Loop: Header=BB6_4155 Depth=2
	v_cmp_lt_u64_e32 vcc, s[60:61], v[52:53]
	v_add_u32_e32 v5, 7, v7
	v_cndmask_b32_e32 v5, v4, v5, vcc
	v_cndmask_b32_e64 v4, 0, 1, vcc
	v_lshrrev_b64 v[16:17], v4, v[52:53]
; %bb.5619:                             ;   in Loop: Header=BB6_4155 Depth=2
	s_andn2_saveexec_b64 s[20:21], s[20:21]
; %bb.5620:                             ;   in Loop: Header=BB6_4155 Depth=2
	v_mov_b32_e32 v16, v52
	v_mov_b32_e32 v17, v53
	v_bfe_u32 v5, v52, 23, 1
; %bb.5621:                             ;   in Loop: Header=BB6_4155 Depth=2
	s_or_b64 exec, exec, s[20:21]
	v_lshrrev_b64 v[7:8], 20, v[16:17]
	v_cmp_gt_i32_e32 vcc, 16, v5
	v_cndmask_b32_e32 v17, 0, v8, vcc
	v_cndmask_b32_e32 v16, 7, v7, vcc
	v_cmp_ne_u64_e32 vcc, 0, v[16:17]
	v_cmp_ne_u32_e64 s[20:21], 0, v5
	s_or_b64 s[20:21], s[20:21], vcc
                                        ; implicit-def: $vgpr4
	s_and_saveexec_b64 s[94:95], s[20:21]
	s_xor_b64 s[20:21], exec, s[94:95]
; %bb.5622:                             ;   in Loop: Header=BB6_4155 Depth=2
	v_min_i32_e32 v4, 15, v5
	v_lshl_or_b32 v1, v4, 3, v1
	v_and_or_b32 v4, v16, 7, v1
                                        ; implicit-def: $vgpr1
; %bb.5623:                             ;   in Loop: Header=BB6_4155 Depth=2
	s_andn2_saveexec_b64 s[20:21], s[20:21]
; %bb.5624:                             ;   in Loop: Header=BB6_4155 Depth=2
	v_mov_b32_e32 v4, v1
; %bb.5625:                             ;   in Loop: Header=BB6_4155 Depth=2
	s_or_b64 exec, exec, s[20:21]
.LBB6_5626:                             ;   in Loop: Header=BB6_4155 Depth=2
	s_or_b64 exec, exec, s[92:93]
                                        ; implicit-def: $vgpr1
.LBB6_5627:                             ;   in Loop: Header=BB6_4155 Depth=2
	s_andn2_saveexec_b64 s[20:21], s[90:91]
; %bb.5628:                             ;   in Loop: Header=BB6_4155 Depth=2
	v_or_b32_e32 v4, 0x7e, v1
; %bb.5629:                             ;   in Loop: Header=BB6_4155 Depth=2
	s_or_b64 exec, exec, s[20:21]
                                        ; implicit-def: $vgpr5
.LBB6_5630:                             ;   in Loop: Header=BB6_4155 Depth=2
	s_andn2_saveexec_b64 s[20:21], s[88:89]
; %bb.5631:                             ;   in Loop: Header=BB6_4155 Depth=2
	v_or_b32_sdwa v4, v5, s51 dst_sel:DWORD dst_unused:UNUSED_PAD src0_sel:BYTE_3 src1_sel:DWORD
; %bb.5632:                             ;   in Loop: Header=BB6_4155 Depth=2
	s_or_b64 exec, exec, s[20:21]
	buffer_load_dword v1, off, s[0:3], s33 offset:144 ; 4-byte Folded Reload
	v_mov_b32_e32 v5, 0
	s_waitcnt vmcnt(0)
	v_and_b32_e32 v16, 0xff, v1
	v_cmp_ne_u16_e32 vcc, 0, v16
	v_mov_b32_e32 v1, 0
	s_and_saveexec_b64 s[20:21], vcc
	s_cbranch_execz .LBB6_5638
; %bb.5633:                             ;   in Loop: Header=BB6_4155 Depth=2
	v_cmp_ne_u16_e32 vcc, s53, v16
	v_bfrev_b32_e32 v5, 1
	s_and_saveexec_b64 s[88:89], vcc
	s_cbranch_execz .LBB6_5637
; %bb.5634:                             ;   in Loop: Header=BB6_4155 Depth=2
	buffer_load_dword v18, off, s[0:3], s33 offset:144 ; 4-byte Folded Reload
	v_mov_b32_e32 v5, 0x7f800001
	s_waitcnt vmcnt(0)
	v_and_b32_e32 v7, 0x7f, v18
	v_cmp_ne_u32_e32 vcc, s51, v7
	s_and_saveexec_b64 s[90:91], vcc
	s_cbranch_execz .LBB6_5636
; %bb.5635:                             ;   in Loop: Header=BB6_4155 Depth=2
	v_and_b32_e32 v5, 7, v16
	v_lshrrev_b32_e32 v9, 3, v7
	v_cmp_gt_u32_e32 vcc, 8, v7
	v_ffbh_u32_e32 v7, v5
	v_min_u32_e32 v17, 32, v7
	v_subrev_u32_e32 v7, 28, v17
	v_lshlrev_b64 v[7:8], v7, v[16:17]
	v_sub_u32_e32 v8, 29, v17
	v_and_b32_e32 v7, 7, v7
	v_cndmask_b32_e32 v8, v9, v8, vcc
	v_cndmask_b32_e32 v5, v5, v7, vcc
	v_lshlrev_b32_e32 v7, 24, v18
	v_bfrev_b32_e32 v9, 60
	v_lshlrev_b32_e32 v5, 20, v5
	v_and_b32_e32 v7, 0x80000000, v7
	v_lshl_add_u32 v8, v8, 23, v9
	v_or3_b32 v5, v7, v8, v5
.LBB6_5636:                             ;   in Loop: Header=BB6_4155 Depth=2
	s_or_b64 exec, exec, s[90:91]
.LBB6_5637:                             ;   in Loop: Header=BB6_4155 Depth=2
	s_or_b64 exec, exec, s[88:89]
.LBB6_5638:                             ;   in Loop: Header=BB6_4155 Depth=2
	s_or_b64 exec, exec, s[20:21]
	v_and_b32_e32 v16, 0xff, v3
	v_cmp_ne_u16_e32 vcc, 0, v16
	s_and_saveexec_b64 s[20:21], vcc
	s_cbranch_execz .LBB6_5644
; %bb.5639:                             ;   in Loop: Header=BB6_4155 Depth=2
	v_cmp_ne_u16_e32 vcc, s53, v16
	v_bfrev_b32_e32 v1, 1
	s_and_saveexec_b64 s[88:89], vcc
	s_cbranch_execz .LBB6_5643
; %bb.5640:                             ;   in Loop: Header=BB6_4155 Depth=2
	v_and_b32_e32 v7, 0x7f, v3
	v_cmp_ne_u32_e32 vcc, s51, v7
	v_mov_b32_e32 v1, 0x7f800001
	s_and_saveexec_b64 s[90:91], vcc
	s_cbranch_execz .LBB6_5642
; %bb.5641:                             ;   in Loop: Header=BB6_4155 Depth=2
	v_and_b32_e32 v1, 7, v16
	v_lshrrev_b32_e32 v9, 3, v7
	v_cmp_gt_u32_e32 vcc, 8, v7
	v_ffbh_u32_e32 v7, v1
	v_min_u32_e32 v17, 32, v7
	v_subrev_u32_e32 v7, 28, v17
	v_lshlrev_b64 v[7:8], v7, v[16:17]
	v_sub_u32_e32 v8, 29, v17
	v_and_b32_e32 v7, 7, v7
	v_cndmask_b32_e32 v8, v9, v8, vcc
	v_cndmask_b32_e32 v1, v1, v7, vcc
	v_lshlrev_b32_e32 v3, 24, v3
	v_bfrev_b32_e32 v7, 60
	v_lshlrev_b32_e32 v1, 20, v1
	v_and_b32_e32 v3, 0x80000000, v3
	v_lshl_add_u32 v7, v8, 23, v7
	v_or3_b32 v1, v3, v7, v1
.LBB6_5642:                             ;   in Loop: Header=BB6_4155 Depth=2
	s_or_b64 exec, exec, s[90:91]
.LBB6_5643:                             ;   in Loop: Header=BB6_4155 Depth=2
	s_or_b64 exec, exec, s[88:89]
.LBB6_5644:                             ;   in Loop: Header=BB6_4155 Depth=2
	s_or_b64 exec, exec, s[20:21]
	v_add_f32_e32 v5, v5, v1
	v_and_b32_e32 v52, 0x7f800000, v5
	v_cmp_ne_u64_e32 vcc, s[56:57], v[52:53]
                                        ; implicit-def: $vgpr3
	s_and_saveexec_b64 s[20:21], vcc
	s_xor_b64 s[88:89], exec, s[20:21]
	s_cbranch_execz .LBB6_5662
; %bb.5645:                             ;   in Loop: Header=BB6_4155 Depth=2
	v_and_b32_e32 v52, 0x7fffffff, v5
	v_cmp_gt_u64_e32 vcc, s[58:59], v[52:53]
	v_and_b32_sdwa v1, v5, s53 dst_sel:DWORD dst_unused:UNUSED_PAD src0_sel:BYTE_3 src1_sel:DWORD
                                        ; implicit-def: $vgpr3
	s_and_saveexec_b64 s[20:21], vcc
	s_xor_b64 s[90:91], exec, s[20:21]
	s_cbranch_execz .LBB6_5659
; %bb.5646:                             ;   in Loop: Header=BB6_4155 Depth=2
	v_cmp_ne_u32_e32 vcc, 0, v5
	v_mov_b32_e32 v3, 0
	s_and_saveexec_b64 s[92:93], vcc
	s_cbranch_execz .LBB6_5658
; %bb.5647:                             ;   in Loop: Header=BB6_4155 Depth=2
	v_bfe_u32 v3, v5, 23, 8
	v_and_b32_e32 v7, 0x7fffff, v5
	v_cmp_gt_u32_e64 s[20:21], s54, v3
	v_sub_u32_e32 v5, 0x79, v3
	v_cmp_eq_u32_e32 vcc, 0, v3
	v_cndmask_b32_e64 v5, 0, v5, s[20:21]
	v_mov_b32_e32 v9, 0x78
	v_or_b32_e32 v8, 0x800000, v7
	v_cndmask_b32_e32 v5, v5, v9, vcc
	v_cndmask_b32_e32 v52, v8, v7, vcc
	v_add_u32_e32 v7, 20, v5
	v_lshlrev_b64 v[7:8], v7, -1
	v_add_u32_e32 v9, 19, v5
	v_lshlrev_b64 v[16:17], v9, 1
	v_bfi_b32 v8, v8, 0, 0
	v_bfi_b32 v7, v7, 0, v52
	v_cmp_eq_u64_e64 s[20:21], v[7:8], v[16:17]
	v_lshrrev_b64 v[16:17], v5, v[52:53]
	v_mov_b32_e32 v18, v17
	v_mov_b32_e32 v17, v16
	s_and_saveexec_b64 s[94:95], s[20:21]
; %bb.5648:                             ;   in Loop: Header=BB6_4155 Depth=2
	v_bfe_u32 v7, v16, 20, 1
	v_add_co_u32_e64 v7, s[20:21], v16, v7
	v_add_co_u32_e64 v17, s[20:21], -1, v7
; %bb.5649:                             ;   in Loop: Header=BB6_4155 Depth=2
	s_or_b64 exec, exec, s[94:95]
	v_add_u32_e32 v3, 0xffffff81, v3
	v_mov_b32_e32 v7, 0xffffff82
	v_cndmask_b32_e32 v3, v3, v7, vcc
	v_lshrrev_b32_e32 v7, 23, v16
	v_add3_u32 v7, v5, v3, v7
	v_add_u32_e32 v3, 6, v7
	v_and_b32_e32 v5, 0xfffff, v17
	v_add_u32_e32 v52, v5, v16
	v_cmp_ne_u32_e32 vcc, 0, v3
                                        ; implicit-def: $vgpr16_vgpr17
                                        ; implicit-def: $vgpr5
	s_and_saveexec_b64 s[20:21], vcc
	s_xor_b64 s[20:21], exec, s[20:21]
; %bb.5650:                             ;   in Loop: Header=BB6_4155 Depth=2
	v_cmp_lt_u64_e32 vcc, s[60:61], v[52:53]
	v_add_u32_e32 v5, 7, v7
	v_cndmask_b32_e32 v5, v3, v5, vcc
	v_cndmask_b32_e64 v3, 0, 1, vcc
	v_lshrrev_b64 v[16:17], v3, v[52:53]
; %bb.5651:                             ;   in Loop: Header=BB6_4155 Depth=2
	s_andn2_saveexec_b64 s[20:21], s[20:21]
; %bb.5652:                             ;   in Loop: Header=BB6_4155 Depth=2
	v_mov_b32_e32 v16, v52
	v_mov_b32_e32 v17, v53
	v_bfe_u32 v5, v52, 23, 1
; %bb.5653:                             ;   in Loop: Header=BB6_4155 Depth=2
	s_or_b64 exec, exec, s[20:21]
	v_lshrrev_b64 v[7:8], 20, v[16:17]
	v_cmp_gt_i32_e32 vcc, 16, v5
	v_cndmask_b32_e32 v17, 0, v8, vcc
	v_cndmask_b32_e32 v16, 7, v7, vcc
	v_cmp_ne_u64_e32 vcc, 0, v[16:17]
	v_cmp_ne_u32_e64 s[20:21], 0, v5
	s_or_b64 s[20:21], s[20:21], vcc
                                        ; implicit-def: $vgpr3
	s_and_saveexec_b64 s[94:95], s[20:21]
	s_xor_b64 s[20:21], exec, s[94:95]
; %bb.5654:                             ;   in Loop: Header=BB6_4155 Depth=2
	v_min_i32_e32 v3, 15, v5
	v_lshl_or_b32 v1, v3, 3, v1
	v_and_or_b32 v3, v16, 7, v1
                                        ; implicit-def: $vgpr1
; %bb.5655:                             ;   in Loop: Header=BB6_4155 Depth=2
	s_andn2_saveexec_b64 s[20:21], s[20:21]
; %bb.5656:                             ;   in Loop: Header=BB6_4155 Depth=2
	v_mov_b32_e32 v3, v1
; %bb.5657:                             ;   in Loop: Header=BB6_4155 Depth=2
	s_or_b64 exec, exec, s[20:21]
.LBB6_5658:                             ;   in Loop: Header=BB6_4155 Depth=2
	s_or_b64 exec, exec, s[92:93]
                                        ; implicit-def: $vgpr1
.LBB6_5659:                             ;   in Loop: Header=BB6_4155 Depth=2
	s_andn2_saveexec_b64 s[20:21], s[90:91]
; %bb.5660:                             ;   in Loop: Header=BB6_4155 Depth=2
	v_or_b32_e32 v3, 0x7e, v1
; %bb.5661:                             ;   in Loop: Header=BB6_4155 Depth=2
	s_or_b64 exec, exec, s[20:21]
                                        ; implicit-def: $vgpr5
.LBB6_5662:                             ;   in Loop: Header=BB6_4155 Depth=2
	s_andn2_saveexec_b64 s[20:21], s[88:89]
; %bb.5663:                             ;   in Loop: Header=BB6_4155 Depth=2
	v_or_b32_sdwa v3, v5, s51 dst_sel:DWORD dst_unused:UNUSED_PAD src0_sel:BYTE_3 src1_sel:DWORD
; %bb.5664:                             ;   in Loop: Header=BB6_4155 Depth=2
	s_or_b64 exec, exec, s[20:21]
	buffer_load_dword v1, off, s[0:3], s33 offset:140 ; 4-byte Folded Reload
	v_mov_b32_e32 v5, 0
	s_waitcnt vmcnt(0)
	v_and_b32_e32 v16, 0xff, v1
	v_cmp_ne_u16_e32 vcc, 0, v16
	v_mov_b32_e32 v1, 0
	s_and_saveexec_b64 s[20:21], vcc
	s_cbranch_execz .LBB6_5670
; %bb.5665:                             ;   in Loop: Header=BB6_4155 Depth=2
	v_cmp_ne_u16_e32 vcc, s53, v16
	v_bfrev_b32_e32 v5, 1
	s_and_saveexec_b64 s[88:89], vcc
	s_cbranch_execz .LBB6_5669
; %bb.5666:                             ;   in Loop: Header=BB6_4155 Depth=2
	buffer_load_dword v18, off, s[0:3], s33 offset:140 ; 4-byte Folded Reload
	v_mov_b32_e32 v5, 0x7f800001
	s_waitcnt vmcnt(0)
	v_and_b32_e32 v7, 0x7f, v18
	v_cmp_ne_u32_e32 vcc, s51, v7
	s_and_saveexec_b64 s[90:91], vcc
	s_cbranch_execz .LBB6_5668
; %bb.5667:                             ;   in Loop: Header=BB6_4155 Depth=2
	v_and_b32_e32 v5, 7, v16
	v_lshrrev_b32_e32 v9, 3, v7
	v_cmp_gt_u32_e32 vcc, 8, v7
	v_ffbh_u32_e32 v7, v5
	v_min_u32_e32 v17, 32, v7
	v_subrev_u32_e32 v7, 28, v17
	v_lshlrev_b64 v[7:8], v7, v[16:17]
	v_sub_u32_e32 v8, 29, v17
	v_and_b32_e32 v7, 7, v7
	v_cndmask_b32_e32 v8, v9, v8, vcc
	v_cndmask_b32_e32 v5, v5, v7, vcc
	v_lshlrev_b32_e32 v7, 24, v18
	v_bfrev_b32_e32 v9, 60
	v_lshlrev_b32_e32 v5, 20, v5
	v_and_b32_e32 v7, 0x80000000, v7
	v_lshl_add_u32 v8, v8, 23, v9
	v_or3_b32 v5, v7, v8, v5
.LBB6_5668:                             ;   in Loop: Header=BB6_4155 Depth=2
	s_or_b64 exec, exec, s[90:91]
.LBB6_5669:                             ;   in Loop: Header=BB6_4155 Depth=2
	s_or_b64 exec, exec, s[88:89]
.LBB6_5670:                             ;   in Loop: Header=BB6_4155 Depth=2
	s_or_b64 exec, exec, s[20:21]
	v_and_b32_e32 v16, 0xff, v2
	v_cmp_ne_u16_e32 vcc, 0, v16
	s_and_saveexec_b64 s[20:21], vcc
	s_cbranch_execz .LBB6_5676
; %bb.5671:                             ;   in Loop: Header=BB6_4155 Depth=2
	v_cmp_ne_u16_e32 vcc, s53, v16
	v_bfrev_b32_e32 v1, 1
	s_and_saveexec_b64 s[88:89], vcc
	s_cbranch_execz .LBB6_5675
; %bb.5672:                             ;   in Loop: Header=BB6_4155 Depth=2
	v_and_b32_e32 v7, 0x7f, v2
	v_cmp_ne_u32_e32 vcc, s51, v7
	v_mov_b32_e32 v1, 0x7f800001
	s_and_saveexec_b64 s[90:91], vcc
	s_cbranch_execz .LBB6_5674
; %bb.5673:                             ;   in Loop: Header=BB6_4155 Depth=2
	v_and_b32_e32 v1, 7, v16
	v_lshrrev_b32_e32 v9, 3, v7
	v_cmp_gt_u32_e32 vcc, 8, v7
	v_ffbh_u32_e32 v7, v1
	v_min_u32_e32 v17, 32, v7
	v_subrev_u32_e32 v7, 28, v17
	v_lshlrev_b64 v[7:8], v7, v[16:17]
	v_sub_u32_e32 v8, 29, v17
	v_and_b32_e32 v7, 7, v7
	v_cndmask_b32_e32 v8, v9, v8, vcc
	v_cndmask_b32_e32 v1, v1, v7, vcc
	v_lshlrev_b32_e32 v2, 24, v2
	v_bfrev_b32_e32 v7, 60
	v_lshlrev_b32_e32 v1, 20, v1
	v_and_b32_e32 v2, 0x80000000, v2
	v_lshl_add_u32 v7, v8, 23, v7
	v_or3_b32 v1, v2, v7, v1
.LBB6_5674:                             ;   in Loop: Header=BB6_4155 Depth=2
	s_or_b64 exec, exec, s[90:91]
.LBB6_5675:                             ;   in Loop: Header=BB6_4155 Depth=2
	s_or_b64 exec, exec, s[88:89]
.LBB6_5676:                             ;   in Loop: Header=BB6_4155 Depth=2
	s_or_b64 exec, exec, s[20:21]
	v_add_f32_e32 v5, v5, v1
	v_and_b32_e32 v52, 0x7f800000, v5
	v_cmp_ne_u64_e32 vcc, s[56:57], v[52:53]
                                        ; implicit-def: $vgpr1
	s_and_saveexec_b64 s[20:21], vcc
	s_xor_b64 s[88:89], exec, s[20:21]
	s_cbranch_execz .LBB6_5694
; %bb.5677:                             ;   in Loop: Header=BB6_4155 Depth=2
	v_and_b32_e32 v52, 0x7fffffff, v5
	v_cmp_gt_u64_e32 vcc, s[58:59], v[52:53]
	v_and_b32_sdwa v2, v5, s53 dst_sel:DWORD dst_unused:UNUSED_PAD src0_sel:BYTE_3 src1_sel:DWORD
                                        ; implicit-def: $vgpr1
	s_and_saveexec_b64 s[20:21], vcc
	s_xor_b64 s[90:91], exec, s[20:21]
	s_cbranch_execz .LBB6_5691
; %bb.5678:                             ;   in Loop: Header=BB6_4155 Depth=2
	v_cmp_ne_u32_e32 vcc, 0, v5
	v_mov_b32_e32 v1, 0
	s_and_saveexec_b64 s[92:93], vcc
	s_cbranch_execz .LBB6_5690
; %bb.5679:                             ;   in Loop: Header=BB6_4155 Depth=2
	v_bfe_u32 v1, v5, 23, 8
	v_and_b32_e32 v7, 0x7fffff, v5
	v_cmp_gt_u32_e64 s[20:21], s54, v1
	v_sub_u32_e32 v5, 0x79, v1
	v_cmp_eq_u32_e32 vcc, 0, v1
	v_cndmask_b32_e64 v5, 0, v5, s[20:21]
	v_mov_b32_e32 v9, 0x78
	v_or_b32_e32 v8, 0x800000, v7
	v_cndmask_b32_e32 v5, v5, v9, vcc
	v_cndmask_b32_e32 v52, v8, v7, vcc
	v_add_u32_e32 v7, 20, v5
	v_lshlrev_b64 v[7:8], v7, -1
	v_add_u32_e32 v9, 19, v5
	v_lshlrev_b64 v[16:17], v9, 1
	v_bfi_b32 v8, v8, 0, 0
	v_bfi_b32 v7, v7, 0, v52
	v_cmp_eq_u64_e64 s[20:21], v[7:8], v[16:17]
	v_lshrrev_b64 v[16:17], v5, v[52:53]
	v_mov_b32_e32 v18, v17
	v_mov_b32_e32 v17, v16
	s_and_saveexec_b64 s[94:95], s[20:21]
; %bb.5680:                             ;   in Loop: Header=BB6_4155 Depth=2
	v_bfe_u32 v7, v16, 20, 1
	v_add_co_u32_e64 v7, s[20:21], v16, v7
	v_add_co_u32_e64 v17, s[20:21], -1, v7
; %bb.5681:                             ;   in Loop: Header=BB6_4155 Depth=2
	s_or_b64 exec, exec, s[94:95]
	v_add_u32_e32 v1, 0xffffff81, v1
	v_mov_b32_e32 v7, 0xffffff82
	v_cndmask_b32_e32 v1, v1, v7, vcc
	v_lshrrev_b32_e32 v7, 23, v16
	v_add3_u32 v7, v5, v1, v7
	v_add_u32_e32 v1, 6, v7
	v_and_b32_e32 v5, 0xfffff, v17
	v_add_u32_e32 v52, v5, v16
	v_cmp_ne_u32_e32 vcc, 0, v1
                                        ; implicit-def: $vgpr16_vgpr17
                                        ; implicit-def: $vgpr5
	s_and_saveexec_b64 s[20:21], vcc
	s_xor_b64 s[20:21], exec, s[20:21]
; %bb.5682:                             ;   in Loop: Header=BB6_4155 Depth=2
	v_cmp_lt_u64_e32 vcc, s[60:61], v[52:53]
	v_add_u32_e32 v5, 7, v7
	v_cndmask_b32_e32 v5, v1, v5, vcc
	v_cndmask_b32_e64 v1, 0, 1, vcc
	v_lshrrev_b64 v[16:17], v1, v[52:53]
; %bb.5683:                             ;   in Loop: Header=BB6_4155 Depth=2
	s_andn2_saveexec_b64 s[20:21], s[20:21]
; %bb.5684:                             ;   in Loop: Header=BB6_4155 Depth=2
	v_mov_b32_e32 v16, v52
	v_mov_b32_e32 v17, v53
	v_bfe_u32 v5, v52, 23, 1
; %bb.5685:                             ;   in Loop: Header=BB6_4155 Depth=2
	s_or_b64 exec, exec, s[20:21]
	v_lshrrev_b64 v[7:8], 20, v[16:17]
	v_cmp_gt_i32_e32 vcc, 16, v5
	v_cndmask_b32_e32 v17, 0, v8, vcc
	v_cndmask_b32_e32 v16, 7, v7, vcc
	v_cmp_ne_u64_e32 vcc, 0, v[16:17]
	v_cmp_ne_u32_e64 s[20:21], 0, v5
	s_or_b64 s[20:21], s[20:21], vcc
                                        ; implicit-def: $vgpr1
	s_and_saveexec_b64 s[94:95], s[20:21]
	s_xor_b64 s[20:21], exec, s[94:95]
; %bb.5686:                             ;   in Loop: Header=BB6_4155 Depth=2
	v_min_i32_e32 v1, 15, v5
	v_lshl_or_b32 v1, v1, 3, v2
	v_and_or_b32 v1, v16, 7, v1
                                        ; implicit-def: $vgpr2
; %bb.5687:                             ;   in Loop: Header=BB6_4155 Depth=2
	s_andn2_saveexec_b64 s[20:21], s[20:21]
; %bb.5688:                             ;   in Loop: Header=BB6_4155 Depth=2
	v_mov_b32_e32 v1, v2
; %bb.5689:                             ;   in Loop: Header=BB6_4155 Depth=2
	s_or_b64 exec, exec, s[20:21]
.LBB6_5690:                             ;   in Loop: Header=BB6_4155 Depth=2
	s_or_b64 exec, exec, s[92:93]
                                        ; implicit-def: $vgpr2
.LBB6_5691:                             ;   in Loop: Header=BB6_4155 Depth=2
	s_andn2_saveexec_b64 s[20:21], s[90:91]
; %bb.5692:                             ;   in Loop: Header=BB6_4155 Depth=2
	v_or_b32_e32 v1, 0x7e, v2
; %bb.5693:                             ;   in Loop: Header=BB6_4155 Depth=2
	s_or_b64 exec, exec, s[20:21]
                                        ; implicit-def: $vgpr5
.LBB6_5694:                             ;   in Loop: Header=BB6_4155 Depth=2
	s_andn2_saveexec_b64 s[20:21], s[88:89]
; %bb.5695:                             ;   in Loop: Header=BB6_4155 Depth=2
	v_or_b32_sdwa v1, v5, s51 dst_sel:DWORD dst_unused:UNUSED_PAD src0_sel:BYTE_3 src1_sel:DWORD
; %bb.5696:                             ;   in Loop: Header=BB6_4155 Depth=2
	s_or_b64 exec, exec, s[20:21]
	buffer_load_dword v2, off, s[0:3], s33 offset:136 ; 4-byte Folded Reload
	v_mov_b32_e32 v5, 0
	s_waitcnt vmcnt(0)
	v_and_b32_e32 v16, 0xff, v2
	v_cmp_ne_u16_e32 vcc, 0, v16
	v_mov_b32_e32 v2, 0
	s_and_saveexec_b64 s[20:21], vcc
	s_cbranch_execz .LBB6_5702
; %bb.5697:                             ;   in Loop: Header=BB6_4155 Depth=2
	v_cmp_ne_u16_e32 vcc, s53, v16
	v_bfrev_b32_e32 v5, 1
	s_and_saveexec_b64 s[88:89], vcc
	s_cbranch_execz .LBB6_5701
; %bb.5698:                             ;   in Loop: Header=BB6_4155 Depth=2
	buffer_load_dword v18, off, s[0:3], s33 offset:136 ; 4-byte Folded Reload
	v_mov_b32_e32 v5, 0x7f800001
	s_waitcnt vmcnt(0)
	v_and_b32_e32 v7, 0x7f, v18
	v_cmp_ne_u32_e32 vcc, s51, v7
	s_and_saveexec_b64 s[90:91], vcc
	s_cbranch_execz .LBB6_5700
; %bb.5699:                             ;   in Loop: Header=BB6_4155 Depth=2
	v_and_b32_e32 v5, 7, v16
	v_lshrrev_b32_e32 v9, 3, v7
	v_cmp_gt_u32_e32 vcc, 8, v7
	v_ffbh_u32_e32 v7, v5
	v_min_u32_e32 v17, 32, v7
	v_subrev_u32_e32 v7, 28, v17
	v_lshlrev_b64 v[7:8], v7, v[16:17]
	v_sub_u32_e32 v8, 29, v17
	v_and_b32_e32 v7, 7, v7
	v_cndmask_b32_e32 v8, v9, v8, vcc
	v_cndmask_b32_e32 v5, v5, v7, vcc
	v_lshlrev_b32_e32 v7, 24, v18
	v_bfrev_b32_e32 v9, 60
	v_lshlrev_b32_e32 v5, 20, v5
	v_and_b32_e32 v7, 0x80000000, v7
	v_lshl_add_u32 v8, v8, 23, v9
	v_or3_b32 v5, v7, v8, v5
.LBB6_5700:                             ;   in Loop: Header=BB6_4155 Depth=2
	s_or_b64 exec, exec, s[90:91]
.LBB6_5701:                             ;   in Loop: Header=BB6_4155 Depth=2
	s_or_b64 exec, exec, s[88:89]
.LBB6_5702:                             ;   in Loop: Header=BB6_4155 Depth=2
	s_or_b64 exec, exec, s[20:21]
	v_and_b32_e32 v16, 0xff, v62
	v_cmp_ne_u16_e32 vcc, 0, v16
	s_and_saveexec_b64 s[20:21], vcc
	s_cbranch_execz .LBB6_5708
; %bb.5703:                             ;   in Loop: Header=BB6_4155 Depth=2
	v_cmp_ne_u16_e32 vcc, s53, v16
	v_bfrev_b32_e32 v2, 1
	s_and_saveexec_b64 s[88:89], vcc
	s_cbranch_execz .LBB6_5707
; %bb.5704:                             ;   in Loop: Header=BB6_4155 Depth=2
	v_and_b32_e32 v7, 0x7f, v62
	v_cmp_ne_u32_e32 vcc, s51, v7
	v_mov_b32_e32 v2, 0x7f800001
	s_and_saveexec_b64 s[90:91], vcc
	s_cbranch_execz .LBB6_5706
; %bb.5705:                             ;   in Loop: Header=BB6_4155 Depth=2
	v_and_b32_e32 v2, 7, v16
	v_lshrrev_b32_e32 v9, 3, v7
	v_cmp_gt_u32_e32 vcc, 8, v7
	v_ffbh_u32_e32 v7, v2
	v_min_u32_e32 v17, 32, v7
	v_subrev_u32_e32 v7, 28, v17
	v_lshlrev_b64 v[7:8], v7, v[16:17]
	v_sub_u32_e32 v8, 29, v17
	v_and_b32_e32 v7, 7, v7
	v_cndmask_b32_e32 v8, v9, v8, vcc
	v_cndmask_b32_e32 v2, v2, v7, vcc
	v_lshlrev_b32_e32 v7, 24, v62
	v_bfrev_b32_e32 v9, 60
	v_lshlrev_b32_e32 v2, 20, v2
	v_and_b32_e32 v7, 0x80000000, v7
	v_lshl_add_u32 v8, v8, 23, v9
	v_or3_b32 v2, v7, v8, v2
.LBB6_5706:                             ;   in Loop: Header=BB6_4155 Depth=2
	s_or_b64 exec, exec, s[90:91]
.LBB6_5707:                             ;   in Loop: Header=BB6_4155 Depth=2
	s_or_b64 exec, exec, s[88:89]
.LBB6_5708:                             ;   in Loop: Header=BB6_4155 Depth=2
	s_or_b64 exec, exec, s[20:21]
	v_add_f32_e32 v7, v5, v2
	v_and_b32_e32 v52, 0x7f800000, v7
	v_cmp_ne_u64_e32 vcc, s[56:57], v[52:53]
                                        ; implicit-def: $vgpr2
	s_and_saveexec_b64 s[20:21], vcc
	s_xor_b64 s[88:89], exec, s[20:21]
	s_cbranch_execz .LBB6_5726
; %bb.5709:                             ;   in Loop: Header=BB6_4155 Depth=2
	v_and_b32_e32 v52, 0x7fffffff, v7
	v_cmp_gt_u64_e32 vcc, s[58:59], v[52:53]
	v_and_b32_sdwa v5, v7, s53 dst_sel:DWORD dst_unused:UNUSED_PAD src0_sel:BYTE_3 src1_sel:DWORD
                                        ; implicit-def: $vgpr2
	s_and_saveexec_b64 s[20:21], vcc
	s_xor_b64 s[90:91], exec, s[20:21]
	s_cbranch_execz .LBB6_5723
; %bb.5710:                             ;   in Loop: Header=BB6_4155 Depth=2
	v_cmp_ne_u32_e32 vcc, 0, v7
	v_mov_b32_e32 v2, 0
	s_and_saveexec_b64 s[92:93], vcc
	s_cbranch_execz .LBB6_5722
; %bb.5711:                             ;   in Loop: Header=BB6_4155 Depth=2
	v_bfe_u32 v2, v7, 23, 8
	v_and_b32_e32 v8, 0x7fffff, v7
	v_cmp_gt_u32_e64 s[20:21], s54, v2
	v_sub_u32_e32 v7, 0x79, v2
	v_cmp_eq_u32_e32 vcc, 0, v2
	v_cndmask_b32_e64 v7, 0, v7, s[20:21]
	v_mov_b32_e32 v16, 0x78
	v_or_b32_e32 v9, 0x800000, v8
	v_cndmask_b32_e32 v7, v7, v16, vcc
	v_cndmask_b32_e32 v52, v9, v8, vcc
	v_add_u32_e32 v8, 20, v7
	v_lshlrev_b64 v[8:9], v8, -1
	v_add_u32_e32 v16, 19, v7
	v_lshlrev_b64 v[16:17], v16, 1
	v_bfi_b32 v9, v9, 0, 0
	v_bfi_b32 v8, v8, 0, v52
	v_cmp_eq_u64_e64 s[20:21], v[8:9], v[16:17]
	v_lshrrev_b64 v[16:17], v7, v[52:53]
	v_mov_b32_e32 v18, v17
	v_mov_b32_e32 v17, v16
	s_and_saveexec_b64 s[94:95], s[20:21]
; %bb.5712:                             ;   in Loop: Header=BB6_4155 Depth=2
	v_bfe_u32 v8, v16, 20, 1
	v_add_co_u32_e64 v8, s[20:21], v16, v8
	v_add_co_u32_e64 v17, s[20:21], -1, v8
; %bb.5713:                             ;   in Loop: Header=BB6_4155 Depth=2
	s_or_b64 exec, exec, s[94:95]
	v_add_u32_e32 v2, 0xffffff81, v2
	v_mov_b32_e32 v8, 0xffffff82
	v_cndmask_b32_e32 v2, v2, v8, vcc
	v_lshrrev_b32_e32 v8, 23, v16
	v_add3_u32 v8, v7, v2, v8
	v_add_u32_e32 v2, 6, v8
	v_and_b32_e32 v7, 0xfffff, v17
	v_add_u32_e32 v52, v7, v16
	v_cmp_ne_u32_e32 vcc, 0, v2
                                        ; implicit-def: $vgpr16_vgpr17
                                        ; implicit-def: $vgpr7
	s_and_saveexec_b64 s[20:21], vcc
	s_xor_b64 s[20:21], exec, s[20:21]
; %bb.5714:                             ;   in Loop: Header=BB6_4155 Depth=2
	v_cmp_lt_u64_e32 vcc, s[60:61], v[52:53]
	v_add_u32_e32 v7, 7, v8
	v_cndmask_b32_e32 v7, v2, v7, vcc
	v_cndmask_b32_e64 v2, 0, 1, vcc
	v_lshrrev_b64 v[16:17], v2, v[52:53]
; %bb.5715:                             ;   in Loop: Header=BB6_4155 Depth=2
	s_andn2_saveexec_b64 s[20:21], s[20:21]
; %bb.5716:                             ;   in Loop: Header=BB6_4155 Depth=2
	v_mov_b32_e32 v16, v52
	v_mov_b32_e32 v17, v53
	v_bfe_u32 v7, v52, 23, 1
; %bb.5717:                             ;   in Loop: Header=BB6_4155 Depth=2
	s_or_b64 exec, exec, s[20:21]
	v_lshrrev_b64 v[8:9], 20, v[16:17]
	v_cmp_gt_i32_e32 vcc, 16, v7
	v_cndmask_b32_e32 v17, 0, v9, vcc
	v_cndmask_b32_e32 v16, 7, v8, vcc
	v_cmp_ne_u64_e32 vcc, 0, v[16:17]
	v_cmp_ne_u32_e64 s[20:21], 0, v7
	s_or_b64 s[20:21], s[20:21], vcc
                                        ; implicit-def: $vgpr2
	s_and_saveexec_b64 s[94:95], s[20:21]
	s_xor_b64 s[20:21], exec, s[94:95]
; %bb.5718:                             ;   in Loop: Header=BB6_4155 Depth=2
	v_min_i32_e32 v2, 15, v7
	v_lshl_or_b32 v2, v2, 3, v5
	v_and_or_b32 v2, v16, 7, v2
                                        ; implicit-def: $vgpr5
; %bb.5719:                             ;   in Loop: Header=BB6_4155 Depth=2
	s_andn2_saveexec_b64 s[20:21], s[20:21]
; %bb.5720:                             ;   in Loop: Header=BB6_4155 Depth=2
	v_mov_b32_e32 v2, v5
; %bb.5721:                             ;   in Loop: Header=BB6_4155 Depth=2
	s_or_b64 exec, exec, s[20:21]
.LBB6_5722:                             ;   in Loop: Header=BB6_4155 Depth=2
	s_or_b64 exec, exec, s[92:93]
                                        ; implicit-def: $vgpr5
.LBB6_5723:                             ;   in Loop: Header=BB6_4155 Depth=2
	s_andn2_saveexec_b64 s[20:21], s[90:91]
; %bb.5724:                             ;   in Loop: Header=BB6_4155 Depth=2
	v_or_b32_e32 v2, 0x7e, v5
; %bb.5725:                             ;   in Loop: Header=BB6_4155 Depth=2
	s_or_b64 exec, exec, s[20:21]
                                        ; implicit-def: $vgpr7
.LBB6_5726:                             ;   in Loop: Header=BB6_4155 Depth=2
	s_andn2_saveexec_b64 s[20:21], s[88:89]
; %bb.5727:                             ;   in Loop: Header=BB6_4155 Depth=2
	v_or_b32_sdwa v2, v7, s51 dst_sel:DWORD dst_unused:UNUSED_PAD src0_sel:BYTE_3 src1_sel:DWORD
; %bb.5728:                             ;   in Loop: Header=BB6_4155 Depth=2
	s_or_b64 exec, exec, s[20:21]
	buffer_load_dword v5, off, s[0:3], s33 offset:132 ; 4-byte Folded Reload
	v_mov_b32_e32 v7, 0
	s_waitcnt vmcnt(0)
	v_and_b32_e32 v16, 0xff, v5
	v_cmp_ne_u16_e32 vcc, 0, v16
	v_mov_b32_e32 v5, 0
	s_and_saveexec_b64 s[20:21], vcc
	s_cbranch_execz .LBB6_5734
; %bb.5729:                             ;   in Loop: Header=BB6_4155 Depth=2
	v_cmp_ne_u16_e32 vcc, s53, v16
	v_bfrev_b32_e32 v7, 1
	s_and_saveexec_b64 s[88:89], vcc
	s_cbranch_execz .LBB6_5733
; %bb.5730:                             ;   in Loop: Header=BB6_4155 Depth=2
	buffer_load_dword v19, off, s[0:3], s33 offset:132 ; 4-byte Folded Reload
	v_mov_b32_e32 v7, 0x7f800001
	s_waitcnt vmcnt(0)
	v_and_b32_e32 v8, 0x7f, v19
	v_cmp_ne_u32_e32 vcc, s51, v8
	s_and_saveexec_b64 s[90:91], vcc
	s_cbranch_execz .LBB6_5732
; %bb.5731:                             ;   in Loop: Header=BB6_4155 Depth=2
	v_and_b32_e32 v9, 7, v16
	v_ffbh_u32_e32 v7, v9
	v_min_u32_e32 v18, 32, v7
	v_lshrrev_b32_e32 v17, 3, v8
	v_subrev_u32_e32 v7, 28, v18
	v_cmp_gt_u32_e32 vcc, 8, v8
	v_lshlrev_b64 v[7:8], v7, v[16:17]
	v_sub_u32_e32 v8, 29, v18
	v_and_b32_e32 v7, 7, v7
	v_cndmask_b32_e32 v8, v17, v8, vcc
	v_cndmask_b32_e32 v7, v9, v7, vcc
	v_lshlrev_b32_e32 v9, 24, v19
	v_bfrev_b32_e32 v16, 60
	v_lshlrev_b32_e32 v7, 20, v7
	v_and_b32_e32 v9, 0x80000000, v9
	v_lshl_add_u32 v8, v8, 23, v16
	v_or3_b32 v7, v9, v8, v7
.LBB6_5732:                             ;   in Loop: Header=BB6_4155 Depth=2
	s_or_b64 exec, exec, s[90:91]
.LBB6_5733:                             ;   in Loop: Header=BB6_4155 Depth=2
	s_or_b64 exec, exec, s[88:89]
.LBB6_5734:                             ;   in Loop: Header=BB6_4155 Depth=2
	s_or_b64 exec, exec, s[20:21]
	v_and_b32_e32 v16, 0xff, v61
	v_cmp_ne_u16_e32 vcc, 0, v16
	s_and_saveexec_b64 s[20:21], vcc
	s_cbranch_execz .LBB6_5740
; %bb.5735:                             ;   in Loop: Header=BB6_4155 Depth=2
	v_cmp_ne_u16_e32 vcc, s53, v16
	v_bfrev_b32_e32 v5, 1
	s_and_saveexec_b64 s[88:89], vcc
	s_cbranch_execz .LBB6_5739
; %bb.5736:                             ;   in Loop: Header=BB6_4155 Depth=2
	v_and_b32_e32 v8, 0x7f, v61
	v_cmp_ne_u32_e32 vcc, s51, v8
	v_mov_b32_e32 v5, 0x7f800001
	s_and_saveexec_b64 s[90:91], vcc
	s_cbranch_execz .LBB6_5738
; %bb.5737:                             ;   in Loop: Header=BB6_4155 Depth=2
	v_and_b32_e32 v5, 7, v16
	v_lshrrev_b32_e32 v17, 3, v8
	v_cmp_gt_u32_e32 vcc, 8, v8
	v_ffbh_u32_e32 v8, v5
	v_min_u32_e32 v18, 32, v8
	v_subrev_u32_e32 v8, 28, v18
	v_lshlrev_b64 v[8:9], v8, v[16:17]
	v_sub_u32_e32 v9, 29, v18
	v_and_b32_e32 v8, 7, v8
	v_cndmask_b32_e32 v9, v17, v9, vcc
	v_cndmask_b32_e32 v5, v5, v8, vcc
	v_lshlrev_b32_e32 v8, 24, v61
	v_bfrev_b32_e32 v16, 60
	v_lshlrev_b32_e32 v5, 20, v5
	v_and_b32_e32 v8, 0x80000000, v8
	v_lshl_add_u32 v9, v9, 23, v16
	v_or3_b32 v5, v8, v9, v5
.LBB6_5738:                             ;   in Loop: Header=BB6_4155 Depth=2
	s_or_b64 exec, exec, s[90:91]
.LBB6_5739:                             ;   in Loop: Header=BB6_4155 Depth=2
	s_or_b64 exec, exec, s[88:89]
.LBB6_5740:                             ;   in Loop: Header=BB6_4155 Depth=2
	s_or_b64 exec, exec, s[20:21]
	v_add_f32_e32 v8, v7, v5
	v_and_b32_e32 v52, 0x7f800000, v8
	v_cmp_ne_u64_e32 vcc, s[56:57], v[52:53]
                                        ; implicit-def: $vgpr5
	s_and_saveexec_b64 s[20:21], vcc
	s_xor_b64 s[88:89], exec, s[20:21]
	s_cbranch_execz .LBB6_5758
; %bb.5741:                             ;   in Loop: Header=BB6_4155 Depth=2
	v_and_b32_e32 v52, 0x7fffffff, v8
	v_cmp_gt_u64_e32 vcc, s[58:59], v[52:53]
	v_and_b32_sdwa v7, v8, s53 dst_sel:DWORD dst_unused:UNUSED_PAD src0_sel:BYTE_3 src1_sel:DWORD
                                        ; implicit-def: $vgpr5
	s_and_saveexec_b64 s[20:21], vcc
	s_xor_b64 s[90:91], exec, s[20:21]
	s_cbranch_execz .LBB6_5755
; %bb.5742:                             ;   in Loop: Header=BB6_4155 Depth=2
	v_cmp_ne_u32_e32 vcc, 0, v8
	v_mov_b32_e32 v5, 0
	s_and_saveexec_b64 s[92:93], vcc
	s_cbranch_execz .LBB6_5754
; %bb.5743:                             ;   in Loop: Header=BB6_4155 Depth=2
	v_bfe_u32 v5, v8, 23, 8
	v_and_b32_e32 v9, 0x7fffff, v8
	v_cmp_gt_u32_e64 s[20:21], s54, v5
	v_sub_u32_e32 v8, 0x79, v5
	v_cmp_eq_u32_e32 vcc, 0, v5
	v_cndmask_b32_e64 v8, 0, v8, s[20:21]
	v_mov_b32_e32 v17, 0x78
	v_or_b32_e32 v16, 0x800000, v9
	v_cndmask_b32_e32 v8, v8, v17, vcc
	v_cndmask_b32_e32 v52, v16, v9, vcc
	v_add_u32_e32 v9, 20, v8
	v_lshlrev_b64 v[16:17], v9, -1
	v_add_u32_e32 v9, 19, v8
	v_lshlrev_b64 v[18:19], v9, 1
	v_bfi_b32 v17, v17, 0, 0
	v_bfi_b32 v16, v16, 0, v52
	v_cmp_eq_u64_e64 s[20:21], v[16:17], v[18:19]
	v_lshrrev_b64 v[16:17], v8, v[52:53]
	v_mov_b32_e32 v18, v17
	v_mov_b32_e32 v17, v16
	s_and_saveexec_b64 s[94:95], s[20:21]
; %bb.5744:                             ;   in Loop: Header=BB6_4155 Depth=2
	v_bfe_u32 v9, v16, 20, 1
	v_add_co_u32_e64 v9, s[20:21], v16, v9
	v_add_co_u32_e64 v17, s[20:21], -1, v9
; %bb.5745:                             ;   in Loop: Header=BB6_4155 Depth=2
	s_or_b64 exec, exec, s[94:95]
	v_add_u32_e32 v5, 0xffffff81, v5
	v_mov_b32_e32 v9, 0xffffff82
	v_cndmask_b32_e32 v5, v5, v9, vcc
	v_lshrrev_b32_e32 v9, 23, v16
	v_add3_u32 v9, v8, v5, v9
	v_add_u32_e32 v5, 6, v9
	v_and_b32_e32 v8, 0xfffff, v17
	v_add_u32_e32 v52, v8, v16
	v_cmp_ne_u32_e32 vcc, 0, v5
                                        ; implicit-def: $vgpr16_vgpr17
                                        ; implicit-def: $vgpr8
	s_and_saveexec_b64 s[20:21], vcc
	s_xor_b64 s[20:21], exec, s[20:21]
; %bb.5746:                             ;   in Loop: Header=BB6_4155 Depth=2
	v_cmp_lt_u64_e32 vcc, s[60:61], v[52:53]
	v_add_u32_e32 v8, 7, v9
	v_cndmask_b32_e32 v8, v5, v8, vcc
	v_cndmask_b32_e64 v5, 0, 1, vcc
	v_lshrrev_b64 v[16:17], v5, v[52:53]
; %bb.5747:                             ;   in Loop: Header=BB6_4155 Depth=2
	s_andn2_saveexec_b64 s[20:21], s[20:21]
; %bb.5748:                             ;   in Loop: Header=BB6_4155 Depth=2
	v_mov_b32_e32 v16, v52
	v_mov_b32_e32 v17, v53
	v_bfe_u32 v8, v52, 23, 1
; %bb.5749:                             ;   in Loop: Header=BB6_4155 Depth=2
	s_or_b64 exec, exec, s[20:21]
	v_lshrrev_b64 v[16:17], 20, v[16:17]
	v_cmp_gt_i32_e32 vcc, 16, v8
	v_cndmask_b32_e32 v17, 0, v17, vcc
	v_cndmask_b32_e32 v16, 7, v16, vcc
	v_cmp_ne_u64_e32 vcc, 0, v[16:17]
	v_cmp_ne_u32_e64 s[20:21], 0, v8
	s_or_b64 s[20:21], s[20:21], vcc
                                        ; implicit-def: $vgpr5
	s_and_saveexec_b64 s[94:95], s[20:21]
	s_xor_b64 s[20:21], exec, s[94:95]
; %bb.5750:                             ;   in Loop: Header=BB6_4155 Depth=2
	v_min_i32_e32 v5, 15, v8
	v_lshl_or_b32 v5, v5, 3, v7
	v_and_or_b32 v5, v16, 7, v5
                                        ; implicit-def: $vgpr7
; %bb.5751:                             ;   in Loop: Header=BB6_4155 Depth=2
	s_andn2_saveexec_b64 s[20:21], s[20:21]
; %bb.5752:                             ;   in Loop: Header=BB6_4155 Depth=2
	v_mov_b32_e32 v5, v7
; %bb.5753:                             ;   in Loop: Header=BB6_4155 Depth=2
	s_or_b64 exec, exec, s[20:21]
.LBB6_5754:                             ;   in Loop: Header=BB6_4155 Depth=2
	s_or_b64 exec, exec, s[92:93]
                                        ; implicit-def: $vgpr7
.LBB6_5755:                             ;   in Loop: Header=BB6_4155 Depth=2
	s_andn2_saveexec_b64 s[20:21], s[90:91]
; %bb.5756:                             ;   in Loop: Header=BB6_4155 Depth=2
	v_or_b32_e32 v5, 0x7e, v7
; %bb.5757:                             ;   in Loop: Header=BB6_4155 Depth=2
	s_or_b64 exec, exec, s[20:21]
                                        ; implicit-def: $vgpr8
.LBB6_5758:                             ;   in Loop: Header=BB6_4155 Depth=2
	s_andn2_saveexec_b64 s[20:21], s[88:89]
; %bb.5759:                             ;   in Loop: Header=BB6_4155 Depth=2
	v_or_b32_sdwa v5, v8, s51 dst_sel:DWORD dst_unused:UNUSED_PAD src0_sel:BYTE_3 src1_sel:DWORD
; %bb.5760:                             ;   in Loop: Header=BB6_4155 Depth=2
	s_or_b64 exec, exec, s[20:21]
	buffer_load_dword v7, off, s[0:3], s33 offset:128 ; 4-byte Folded Reload
	v_mov_b32_e32 v8, 0
	s_waitcnt vmcnt(0)
	v_and_b32_e32 v16, 0xff, v7
	v_cmp_ne_u16_e32 vcc, 0, v16
	v_mov_b32_e32 v7, 0
	s_and_saveexec_b64 s[20:21], vcc
	s_cbranch_execz .LBB6_5766
; %bb.5761:                             ;   in Loop: Header=BB6_4155 Depth=2
	v_cmp_ne_u16_e32 vcc, s53, v16
	v_bfrev_b32_e32 v8, 1
	s_and_saveexec_b64 s[88:89], vcc
	s_cbranch_execz .LBB6_5765
; %bb.5762:                             ;   in Loop: Header=BB6_4155 Depth=2
	buffer_load_dword v20, off, s[0:3], s33 offset:128 ; 4-byte Folded Reload
	v_mov_b32_e32 v8, 0x7f800001
	s_waitcnt vmcnt(0)
	v_and_b32_e32 v9, 0x7f, v20
	v_cmp_ne_u32_e32 vcc, s51, v9
	s_and_saveexec_b64 s[90:91], vcc
	s_cbranch_execz .LBB6_5764
; %bb.5763:                             ;   in Loop: Header=BB6_4155 Depth=2
	v_and_b32_e32 v17, 7, v16
	v_ffbh_u32_e32 v8, v17
	v_min_u32_e32 v19, 32, v8
	v_subrev_u32_e32 v8, 28, v19
	v_lshrrev_b32_e32 v18, 3, v9
	v_cmp_gt_u32_e32 vcc, 8, v9
	v_lshlrev_b64 v[8:9], v8, v[16:17]
	v_sub_u32_e32 v9, 29, v19
	v_and_b32_e32 v8, 7, v8
	v_cndmask_b32_e32 v9, v18, v9, vcc
	v_cndmask_b32_e32 v8, v17, v8, vcc
	v_lshlrev_b32_e32 v16, 24, v20
	v_bfrev_b32_e32 v17, 60
	v_lshlrev_b32_e32 v8, 20, v8
	v_and_b32_e32 v16, 0x80000000, v16
	v_lshl_add_u32 v9, v9, 23, v17
	v_or3_b32 v8, v16, v9, v8
.LBB6_5764:                             ;   in Loop: Header=BB6_4155 Depth=2
	s_or_b64 exec, exec, s[90:91]
.LBB6_5765:                             ;   in Loop: Header=BB6_4155 Depth=2
	s_or_b64 exec, exec, s[88:89]
.LBB6_5766:                             ;   in Loop: Header=BB6_4155 Depth=2
	s_or_b64 exec, exec, s[20:21]
	v_and_b32_e32 v16, 0xff, v60
	v_cmp_ne_u16_e32 vcc, 0, v16
	s_and_saveexec_b64 s[20:21], vcc
	s_cbranch_execz .LBB6_5772
; %bb.5767:                             ;   in Loop: Header=BB6_4155 Depth=2
	v_cmp_ne_u16_e32 vcc, s53, v16
	v_bfrev_b32_e32 v7, 1
	s_and_saveexec_b64 s[88:89], vcc
	s_cbranch_execz .LBB6_5771
; %bb.5768:                             ;   in Loop: Header=BB6_4155 Depth=2
	v_and_b32_e32 v9, 0x7f, v60
	v_cmp_ne_u32_e32 vcc, s51, v9
	v_mov_b32_e32 v7, 0x7f800001
	s_and_saveexec_b64 s[90:91], vcc
	s_cbranch_execz .LBB6_5770
; %bb.5769:                             ;   in Loop: Header=BB6_4155 Depth=2
	v_and_b32_e32 v7, 7, v16
	v_lshrrev_b32_e32 v18, 3, v9
	v_cmp_gt_u32_e32 vcc, 8, v9
	v_ffbh_u32_e32 v9, v7
	v_min_u32_e32 v9, 32, v9
	v_subrev_u32_e32 v17, 28, v9
	v_lshlrev_b64 v[16:17], v17, v[16:17]
	v_sub_u32_e32 v9, 29, v9
	v_and_b32_e32 v16, 7, v16
	v_cndmask_b32_e32 v9, v18, v9, vcc
	v_cndmask_b32_e32 v7, v7, v16, vcc
	v_lshlrev_b32_e32 v16, 24, v60
	v_bfrev_b32_e32 v17, 60
	v_lshlrev_b32_e32 v7, 20, v7
	v_and_b32_e32 v16, 0x80000000, v16
	v_lshl_add_u32 v9, v9, 23, v17
	v_or3_b32 v7, v16, v9, v7
.LBB6_5770:                             ;   in Loop: Header=BB6_4155 Depth=2
	s_or_b64 exec, exec, s[90:91]
.LBB6_5771:                             ;   in Loop: Header=BB6_4155 Depth=2
	s_or_b64 exec, exec, s[88:89]
.LBB6_5772:                             ;   in Loop: Header=BB6_4155 Depth=2
	s_or_b64 exec, exec, s[20:21]
	v_add_f32_e32 v9, v8, v7
	v_and_b32_e32 v52, 0x7f800000, v9
	v_cmp_ne_u64_e32 vcc, s[56:57], v[52:53]
                                        ; implicit-def: $vgpr7
	s_and_saveexec_b64 s[20:21], vcc
	s_xor_b64 s[88:89], exec, s[20:21]
	s_cbranch_execz .LBB6_5790
; %bb.5773:                             ;   in Loop: Header=BB6_4155 Depth=2
	v_and_b32_e32 v52, 0x7fffffff, v9
	v_cmp_gt_u64_e32 vcc, s[58:59], v[52:53]
	v_and_b32_sdwa v8, v9, s53 dst_sel:DWORD dst_unused:UNUSED_PAD src0_sel:BYTE_3 src1_sel:DWORD
                                        ; implicit-def: $vgpr7
	s_and_saveexec_b64 s[20:21], vcc
	s_xor_b64 s[90:91], exec, s[20:21]
	s_cbranch_execz .LBB6_5787
; %bb.5774:                             ;   in Loop: Header=BB6_4155 Depth=2
	v_cmp_ne_u32_e32 vcc, 0, v9
	v_mov_b32_e32 v7, 0
	s_and_saveexec_b64 s[92:93], vcc
	s_cbranch_execz .LBB6_5786
; %bb.5775:                             ;   in Loop: Header=BB6_4155 Depth=2
	v_bfe_u32 v7, v9, 23, 8
	v_and_b32_e32 v16, 0x7fffff, v9
	v_cmp_gt_u32_e64 s[20:21], s54, v7
	v_sub_u32_e32 v9, 0x79, v7
	v_cmp_eq_u32_e32 vcc, 0, v7
	v_cndmask_b32_e64 v9, 0, v9, s[20:21]
	v_mov_b32_e32 v18, 0x78
	v_or_b32_e32 v17, 0x800000, v16
	v_cndmask_b32_e32 v9, v9, v18, vcc
	v_cndmask_b32_e32 v52, v17, v16, vcc
	v_add_u32_e32 v16, 20, v9
	v_lshlrev_b64 v[16:17], v16, -1
	v_add_u32_e32 v18, 19, v9
	v_lshlrev_b64 v[18:19], v18, 1
	v_bfi_b32 v17, v17, 0, 0
	v_bfi_b32 v16, v16, 0, v52
	v_cmp_eq_u64_e64 s[20:21], v[16:17], v[18:19]
	v_lshrrev_b64 v[16:17], v9, v[52:53]
	v_mov_b32_e32 v18, v17
	v_mov_b32_e32 v17, v16
	s_and_saveexec_b64 s[94:95], s[20:21]
; %bb.5776:                             ;   in Loop: Header=BB6_4155 Depth=2
	v_bfe_u32 v17, v16, 20, 1
	v_add_co_u32_e64 v17, s[20:21], v16, v17
	v_add_co_u32_e64 v17, s[20:21], -1, v17
; %bb.5777:                             ;   in Loop: Header=BB6_4155 Depth=2
	s_or_b64 exec, exec, s[94:95]
	v_add_u32_e32 v7, 0xffffff81, v7
	v_mov_b32_e32 v18, 0xffffff82
	v_cndmask_b32_e32 v7, v7, v18, vcc
	v_lshrrev_b32_e32 v18, 23, v16
	v_add3_u32 v18, v9, v7, v18
	v_add_u32_e32 v7, 6, v18
	v_and_b32_e32 v9, 0xfffff, v17
	v_add_u32_e32 v52, v9, v16
	v_cmp_ne_u32_e32 vcc, 0, v7
                                        ; implicit-def: $vgpr16_vgpr17
                                        ; implicit-def: $vgpr9
	s_and_saveexec_b64 s[20:21], vcc
	s_xor_b64 s[20:21], exec, s[20:21]
; %bb.5778:                             ;   in Loop: Header=BB6_4155 Depth=2
	v_cmp_lt_u64_e32 vcc, s[60:61], v[52:53]
	v_add_u32_e32 v9, 7, v18
	v_cndmask_b32_e32 v9, v7, v9, vcc
	v_cndmask_b32_e64 v7, 0, 1, vcc
	v_lshrrev_b64 v[16:17], v7, v[52:53]
; %bb.5779:                             ;   in Loop: Header=BB6_4155 Depth=2
	s_andn2_saveexec_b64 s[20:21], s[20:21]
; %bb.5780:                             ;   in Loop: Header=BB6_4155 Depth=2
	v_mov_b32_e32 v16, v52
	v_mov_b32_e32 v17, v53
	v_bfe_u32 v9, v52, 23, 1
; %bb.5781:                             ;   in Loop: Header=BB6_4155 Depth=2
	s_or_b64 exec, exec, s[20:21]
	v_lshrrev_b64 v[16:17], 20, v[16:17]
	v_cmp_gt_i32_e32 vcc, 16, v9
	v_cndmask_b32_e32 v17, 0, v17, vcc
	v_cndmask_b32_e32 v16, 7, v16, vcc
	v_cmp_ne_u64_e32 vcc, 0, v[16:17]
	v_cmp_ne_u32_e64 s[20:21], 0, v9
	s_or_b64 s[20:21], s[20:21], vcc
                                        ; implicit-def: $vgpr7
	s_and_saveexec_b64 s[94:95], s[20:21]
	s_xor_b64 s[20:21], exec, s[94:95]
; %bb.5782:                             ;   in Loop: Header=BB6_4155 Depth=2
	v_min_i32_e32 v7, 15, v9
	v_lshl_or_b32 v7, v7, 3, v8
	v_and_or_b32 v7, v16, 7, v7
                                        ; implicit-def: $vgpr8
; %bb.5783:                             ;   in Loop: Header=BB6_4155 Depth=2
	s_andn2_saveexec_b64 s[20:21], s[20:21]
; %bb.5784:                             ;   in Loop: Header=BB6_4155 Depth=2
	v_mov_b32_e32 v7, v8
; %bb.5785:                             ;   in Loop: Header=BB6_4155 Depth=2
	s_or_b64 exec, exec, s[20:21]
.LBB6_5786:                             ;   in Loop: Header=BB6_4155 Depth=2
	s_or_b64 exec, exec, s[92:93]
                                        ; implicit-def: $vgpr8
.LBB6_5787:                             ;   in Loop: Header=BB6_4155 Depth=2
	s_andn2_saveexec_b64 s[20:21], s[90:91]
; %bb.5788:                             ;   in Loop: Header=BB6_4155 Depth=2
	v_or_b32_e32 v7, 0x7e, v8
; %bb.5789:                             ;   in Loop: Header=BB6_4155 Depth=2
	s_or_b64 exec, exec, s[20:21]
                                        ; implicit-def: $vgpr9
.LBB6_5790:                             ;   in Loop: Header=BB6_4155 Depth=2
	s_andn2_saveexec_b64 s[20:21], s[88:89]
; %bb.5791:                             ;   in Loop: Header=BB6_4155 Depth=2
	v_or_b32_sdwa v7, v9, s51 dst_sel:DWORD dst_unused:UNUSED_PAD src0_sel:BYTE_3 src1_sel:DWORD
; %bb.5792:                             ;   in Loop: Header=BB6_4155 Depth=2
	s_or_b64 exec, exec, s[20:21]
	buffer_load_dword v8, off, s[0:3], s33 offset:124 ; 4-byte Folded Reload
	v_mov_b32_e32 v9, 0
	s_waitcnt vmcnt(0)
	v_and_b32_e32 v16, 0xff, v8
	v_cmp_ne_u16_e32 vcc, 0, v16
	v_mov_b32_e32 v8, 0
	s_and_saveexec_b64 s[20:21], vcc
	s_cbranch_execz .LBB6_5798
; %bb.5793:                             ;   in Loop: Header=BB6_4155 Depth=2
	v_cmp_ne_u16_e32 vcc, s53, v16
	v_bfrev_b32_e32 v9, 1
	s_and_saveexec_b64 s[88:89], vcc
	s_cbranch_execz .LBB6_5797
; %bb.5794:                             ;   in Loop: Header=BB6_4155 Depth=2
	buffer_load_dword v20, off, s[0:3], s33 offset:124 ; 4-byte Folded Reload
	v_mov_b32_e32 v9, 0x7f800001
	s_waitcnt vmcnt(0)
	v_and_b32_e32 v17, 0x7f, v20
	v_cmp_ne_u32_e32 vcc, s51, v17
	s_and_saveexec_b64 s[90:91], vcc
	s_cbranch_execz .LBB6_5796
; %bb.5795:                             ;   in Loop: Header=BB6_4155 Depth=2
	v_and_b32_e32 v9, 7, v16
	v_lshrrev_b32_e32 v18, 3, v17
	v_cmp_gt_u32_e32 vcc, 8, v17
	v_ffbh_u32_e32 v17, v9
	v_min_u32_e32 v19, 32, v17
	v_subrev_u32_e32 v17, 28, v19
	v_lshlrev_b64 v[16:17], v17, v[16:17]
	v_sub_u32_e32 v17, 29, v19
	v_and_b32_e32 v16, 7, v16
	v_cndmask_b32_e32 v17, v18, v17, vcc
	v_cndmask_b32_e32 v9, v9, v16, vcc
	v_lshlrev_b32_e32 v16, 24, v20
	v_bfrev_b32_e32 v18, 60
	v_lshlrev_b32_e32 v9, 20, v9
	v_and_b32_e32 v16, 0x80000000, v16
	v_lshl_add_u32 v17, v17, 23, v18
	v_or3_b32 v9, v16, v17, v9
.LBB6_5796:                             ;   in Loop: Header=BB6_4155 Depth=2
	s_or_b64 exec, exec, s[90:91]
.LBB6_5797:                             ;   in Loop: Header=BB6_4155 Depth=2
	s_or_b64 exec, exec, s[88:89]
.LBB6_5798:                             ;   in Loop: Header=BB6_4155 Depth=2
	s_or_b64 exec, exec, s[20:21]
	v_and_b32_e32 v16, 0xff, v59
	v_cmp_ne_u16_e32 vcc, 0, v16
	s_and_saveexec_b64 s[20:21], vcc
	s_cbranch_execz .LBB6_5804
; %bb.5799:                             ;   in Loop: Header=BB6_4155 Depth=2
	v_cmp_ne_u16_e32 vcc, s53, v16
	v_bfrev_b32_e32 v8, 1
	s_and_saveexec_b64 s[88:89], vcc
	s_cbranch_execz .LBB6_5803
; %bb.5800:                             ;   in Loop: Header=BB6_4155 Depth=2
	v_and_b32_e32 v17, 0x7f, v59
	v_cmp_ne_u32_e32 vcc, s51, v17
	v_mov_b32_e32 v8, 0x7f800001
	s_and_saveexec_b64 s[90:91], vcc
	s_cbranch_execz .LBB6_5802
; %bb.5801:                             ;   in Loop: Header=BB6_4155 Depth=2
	v_and_b32_e32 v8, 7, v16
	v_lshrrev_b32_e32 v18, 3, v17
	v_cmp_gt_u32_e32 vcc, 8, v17
	v_ffbh_u32_e32 v17, v8
	v_min_u32_e32 v19, 32, v17
	v_subrev_u32_e32 v17, 28, v19
	v_lshlrev_b64 v[16:17], v17, v[16:17]
	v_sub_u32_e32 v17, 29, v19
	v_and_b32_e32 v16, 7, v16
	v_cndmask_b32_e32 v17, v18, v17, vcc
	v_cndmask_b32_e32 v8, v8, v16, vcc
	v_lshlrev_b32_e32 v16, 24, v59
	v_bfrev_b32_e32 v18, 60
	v_lshlrev_b32_e32 v8, 20, v8
	v_and_b32_e32 v16, 0x80000000, v16
	v_lshl_add_u32 v17, v17, 23, v18
	v_or3_b32 v8, v16, v17, v8
.LBB6_5802:                             ;   in Loop: Header=BB6_4155 Depth=2
	s_or_b64 exec, exec, s[90:91]
.LBB6_5803:                             ;   in Loop: Header=BB6_4155 Depth=2
	s_or_b64 exec, exec, s[88:89]
.LBB6_5804:                             ;   in Loop: Header=BB6_4155 Depth=2
	s_or_b64 exec, exec, s[20:21]
	v_add_f32_e32 v16, v9, v8
	v_and_b32_e32 v52, 0x7f800000, v16
	v_cmp_ne_u64_e32 vcc, s[56:57], v[52:53]
                                        ; implicit-def: $vgpr8
	s_and_saveexec_b64 s[20:21], vcc
	s_xor_b64 s[88:89], exec, s[20:21]
	s_cbranch_execz .LBB6_5822
; %bb.5805:                             ;   in Loop: Header=BB6_4155 Depth=2
	v_and_b32_e32 v52, 0x7fffffff, v16
	v_cmp_gt_u64_e32 vcc, s[58:59], v[52:53]
	v_and_b32_sdwa v9, v16, s53 dst_sel:DWORD dst_unused:UNUSED_PAD src0_sel:BYTE_3 src1_sel:DWORD
                                        ; implicit-def: $vgpr8
	s_and_saveexec_b64 s[20:21], vcc
	s_xor_b64 s[90:91], exec, s[20:21]
	s_cbranch_execz .LBB6_5819
; %bb.5806:                             ;   in Loop: Header=BB6_4155 Depth=2
	v_cmp_ne_u32_e32 vcc, 0, v16
	v_mov_b32_e32 v8, 0
	s_and_saveexec_b64 s[92:93], vcc
	s_cbranch_execz .LBB6_5818
; %bb.5807:                             ;   in Loop: Header=BB6_4155 Depth=2
	v_bfe_u32 v8, v16, 23, 8
	v_and_b32_e32 v17, 0x7fffff, v16
	v_cmp_gt_u32_e64 s[20:21], s54, v8
	v_sub_u32_e32 v16, 0x79, v8
	v_cmp_eq_u32_e32 vcc, 0, v8
	v_cndmask_b32_e64 v16, 0, v16, s[20:21]
	v_mov_b32_e32 v19, 0x78
	v_cndmask_b32_e32 v19, v16, v19, vcc
	v_or_b32_e32 v18, 0x800000, v17
	v_add_u32_e32 v16, 20, v19
	v_cndmask_b32_e32 v52, v18, v17, vcc
	v_lshlrev_b64 v[16:17], v16, -1
	v_add_u32_e32 v18, 19, v19
	v_lshlrev_b64 v[20:21], v18, 1
	v_bfi_b32 v17, v17, 0, 0
	v_bfi_b32 v16, v16, 0, v52
	v_cmp_eq_u64_e64 s[20:21], v[16:17], v[20:21]
	v_lshrrev_b64 v[16:17], v19, v[52:53]
	v_mov_b32_e32 v18, v17
	v_mov_b32_e32 v17, v16
	s_and_saveexec_b64 s[94:95], s[20:21]
; %bb.5808:                             ;   in Loop: Header=BB6_4155 Depth=2
	v_bfe_u32 v17, v16, 20, 1
	v_add_co_u32_e64 v17, s[20:21], v16, v17
	v_add_co_u32_e64 v17, s[20:21], -1, v17
; %bb.5809:                             ;   in Loop: Header=BB6_4155 Depth=2
	s_or_b64 exec, exec, s[94:95]
	v_add_u32_e32 v8, 0xffffff81, v8
	v_mov_b32_e32 v18, 0xffffff82
	v_cndmask_b32_e32 v8, v8, v18, vcc
	v_lshrrev_b32_e32 v18, 23, v16
	v_add3_u32 v19, v19, v8, v18
	v_add_u32_e32 v8, 6, v19
	v_and_b32_e32 v17, 0xfffff, v17
	v_add_u32_e32 v52, v17, v16
	v_cmp_ne_u32_e32 vcc, 0, v8
                                        ; implicit-def: $vgpr16_vgpr17
                                        ; implicit-def: $vgpr18
	s_and_saveexec_b64 s[20:21], vcc
	s_xor_b64 s[20:21], exec, s[20:21]
; %bb.5810:                             ;   in Loop: Header=BB6_4155 Depth=2
	v_cmp_lt_u64_e32 vcc, s[60:61], v[52:53]
	v_add_u32_e32 v16, 7, v19
	v_cndmask_b32_e32 v18, v8, v16, vcc
	v_cndmask_b32_e64 v8, 0, 1, vcc
	v_lshrrev_b64 v[16:17], v8, v[52:53]
; %bb.5811:                             ;   in Loop: Header=BB6_4155 Depth=2
	s_andn2_saveexec_b64 s[20:21], s[20:21]
; %bb.5812:                             ;   in Loop: Header=BB6_4155 Depth=2
	v_mov_b32_e32 v16, v52
	v_mov_b32_e32 v17, v53
	v_bfe_u32 v18, v52, 23, 1
; %bb.5813:                             ;   in Loop: Header=BB6_4155 Depth=2
	s_or_b64 exec, exec, s[20:21]
	v_lshrrev_b64 v[16:17], 20, v[16:17]
	v_cmp_gt_i32_e32 vcc, 16, v18
	v_cndmask_b32_e32 v17, 0, v17, vcc
	v_cndmask_b32_e32 v16, 7, v16, vcc
	v_cmp_ne_u64_e32 vcc, 0, v[16:17]
	v_cmp_ne_u32_e64 s[20:21], 0, v18
	s_or_b64 s[20:21], s[20:21], vcc
                                        ; implicit-def: $vgpr8
	s_and_saveexec_b64 s[94:95], s[20:21]
	s_xor_b64 s[20:21], exec, s[94:95]
; %bb.5814:                             ;   in Loop: Header=BB6_4155 Depth=2
	v_min_i32_e32 v8, 15, v18
	v_lshl_or_b32 v8, v8, 3, v9
	v_and_or_b32 v8, v16, 7, v8
                                        ; implicit-def: $vgpr9
; %bb.5815:                             ;   in Loop: Header=BB6_4155 Depth=2
	s_andn2_saveexec_b64 s[20:21], s[20:21]
; %bb.5816:                             ;   in Loop: Header=BB6_4155 Depth=2
	v_mov_b32_e32 v8, v9
; %bb.5817:                             ;   in Loop: Header=BB6_4155 Depth=2
	s_or_b64 exec, exec, s[20:21]
.LBB6_5818:                             ;   in Loop: Header=BB6_4155 Depth=2
	s_or_b64 exec, exec, s[92:93]
                                        ; implicit-def: $vgpr9
.LBB6_5819:                             ;   in Loop: Header=BB6_4155 Depth=2
	s_andn2_saveexec_b64 s[20:21], s[90:91]
; %bb.5820:                             ;   in Loop: Header=BB6_4155 Depth=2
	v_or_b32_e32 v8, 0x7e, v9
; %bb.5821:                             ;   in Loop: Header=BB6_4155 Depth=2
	s_or_b64 exec, exec, s[20:21]
                                        ; implicit-def: $vgpr16
.LBB6_5822:                             ;   in Loop: Header=BB6_4155 Depth=2
	s_andn2_saveexec_b64 s[20:21], s[88:89]
; %bb.5823:                             ;   in Loop: Header=BB6_4155 Depth=2
	v_or_b32_sdwa v8, v16, s51 dst_sel:DWORD dst_unused:UNUSED_PAD src0_sel:BYTE_3 src1_sel:DWORD
; %bb.5824:                             ;   in Loop: Header=BB6_4155 Depth=2
	s_or_b64 exec, exec, s[20:21]
	buffer_load_dword v9, off, s[0:3], s33 offset:120 ; 4-byte Folded Reload
	v_mov_b32_e32 v17, 0
	s_waitcnt vmcnt(0)
	v_and_b32_e32 v16, 0xff, v9
	v_cmp_ne_u16_e32 vcc, 0, v16
	v_mov_b32_e32 v9, 0
	s_and_saveexec_b64 s[20:21], vcc
	s_cbranch_execz .LBB6_5830
; %bb.5825:                             ;   in Loop: Header=BB6_4155 Depth=2
	v_cmp_ne_u16_e32 vcc, s53, v16
	v_bfrev_b32_e32 v17, 1
	s_and_saveexec_b64 s[88:89], vcc
	s_cbranch_execz .LBB6_5829
; %bb.5826:                             ;   in Loop: Header=BB6_4155 Depth=2
	buffer_load_dword v21, off, s[0:3], s33 offset:120 ; 4-byte Folded Reload
	v_mov_b32_e32 v17, 0x7f800001
	s_waitcnt vmcnt(0)
	v_and_b32_e32 v18, 0x7f, v21
	v_cmp_ne_u32_e32 vcc, s51, v18
	s_and_saveexec_b64 s[90:91], vcc
	s_cbranch_execz .LBB6_5828
; %bb.5827:                             ;   in Loop: Header=BB6_4155 Depth=2
	v_and_b32_e32 v19, 7, v16
	v_ffbh_u32_e32 v17, v19
	v_lshrrev_b32_e32 v20, 3, v18
	v_cmp_gt_u32_e32 vcc, 8, v18
	v_min_u32_e32 v18, 32, v17
	v_subrev_u32_e32 v17, 28, v18
	v_lshlrev_b64 v[16:17], v17, v[16:17]
	v_sub_u32_e32 v17, 29, v18
	v_and_b32_e32 v16, 7, v16
	v_cndmask_b32_e32 v17, v20, v17, vcc
	v_cndmask_b32_e32 v16, v19, v16, vcc
	v_lshlrev_b32_e32 v18, 24, v21
	v_bfrev_b32_e32 v19, 60
	v_lshlrev_b32_e32 v16, 20, v16
	v_and_b32_e32 v18, 0x80000000, v18
	v_lshl_add_u32 v17, v17, 23, v19
	v_or3_b32 v17, v18, v17, v16
.LBB6_5828:                             ;   in Loop: Header=BB6_4155 Depth=2
	s_or_b64 exec, exec, s[90:91]
.LBB6_5829:                             ;   in Loop: Header=BB6_4155 Depth=2
	s_or_b64 exec, exec, s[88:89]
.LBB6_5830:                             ;   in Loop: Header=BB6_4155 Depth=2
	s_or_b64 exec, exec, s[20:21]
	v_and_b32_e32 v16, 0xff, v58
	v_cmp_ne_u16_e32 vcc, 0, v16
	s_and_saveexec_b64 s[20:21], vcc
	s_cbranch_execz .LBB6_5836
; %bb.5831:                             ;   in Loop: Header=BB6_4155 Depth=2
	v_cmp_ne_u16_e32 vcc, s53, v16
	v_bfrev_b32_e32 v9, 1
	s_and_saveexec_b64 s[88:89], vcc
	s_cbranch_execz .LBB6_5835
; %bb.5832:                             ;   in Loop: Header=BB6_4155 Depth=2
	v_and_b32_e32 v18, 0x7f, v58
	v_cmp_ne_u32_e32 vcc, s51, v18
	v_mov_b32_e32 v9, 0x7f800001
	s_and_saveexec_b64 s[90:91], vcc
	s_cbranch_execz .LBB6_5834
; %bb.5833:                             ;   in Loop: Header=BB6_4155 Depth=2
	v_and_b32_e32 v9, 7, v16
	v_lshrrev_b32_e32 v20, 3, v18
	v_cmp_gt_u32_e32 vcc, 8, v18
	v_ffbh_u32_e32 v18, v9
	v_min_u32_e32 v21, 32, v18
	v_subrev_u32_e32 v18, 28, v21
	v_lshlrev_b64 v[18:19], v18, v[16:17]
	v_sub_u32_e32 v16, 29, v21
	v_and_b32_e32 v18, 7, v18
	v_cndmask_b32_e32 v16, v20, v16, vcc
	v_cndmask_b32_e32 v9, v9, v18, vcc
	v_lshlrev_b32_e32 v18, 24, v58
	v_bfrev_b32_e32 v19, 60
	v_lshlrev_b32_e32 v9, 20, v9
	v_and_b32_e32 v18, 0x80000000, v18
	v_lshl_add_u32 v16, v16, 23, v19
	v_or3_b32 v9, v18, v16, v9
.LBB6_5834:                             ;   in Loop: Header=BB6_4155 Depth=2
	s_or_b64 exec, exec, s[90:91]
.LBB6_5835:                             ;   in Loop: Header=BB6_4155 Depth=2
	s_or_b64 exec, exec, s[88:89]
.LBB6_5836:                             ;   in Loop: Header=BB6_4155 Depth=2
	s_or_b64 exec, exec, s[20:21]
	v_add_f32_e32 v16, v17, v9
	v_and_b32_e32 v52, 0x7f800000, v16
	v_cmp_ne_u64_e32 vcc, s[56:57], v[52:53]
                                        ; implicit-def: $vgpr19
	s_and_saveexec_b64 s[20:21], vcc
	s_xor_b64 s[88:89], exec, s[20:21]
	s_cbranch_execz .LBB6_5854
; %bb.5837:                             ;   in Loop: Header=BB6_4155 Depth=2
	v_and_b32_e32 v52, 0x7fffffff, v16
	v_cmp_gt_u64_e32 vcc, s[58:59], v[52:53]
	v_and_b32_sdwa v9, v16, s53 dst_sel:DWORD dst_unused:UNUSED_PAD src0_sel:BYTE_3 src1_sel:DWORD
                                        ; implicit-def: $vgpr19
	s_and_saveexec_b64 s[20:21], vcc
	s_xor_b64 s[90:91], exec, s[20:21]
	s_cbranch_execz .LBB6_5851
; %bb.5838:                             ;   in Loop: Header=BB6_4155 Depth=2
	v_cmp_ne_u32_e32 vcc, 0, v16
	v_mov_b32_e32 v19, 0
	s_and_saveexec_b64 s[92:93], vcc
	s_cbranch_execz .LBB6_5850
; %bb.5839:                             ;   in Loop: Header=BB6_4155 Depth=2
	v_bfe_u32 v19, v16, 23, 8
	v_and_b32_e32 v17, 0x7fffff, v16
	v_cmp_gt_u32_e64 s[20:21], s54, v19
	v_sub_u32_e32 v16, 0x79, v19
	v_cmp_eq_u32_e32 vcc, 0, v19
	v_cndmask_b32_e64 v16, 0, v16, s[20:21]
	v_mov_b32_e32 v20, 0x78
	v_cndmask_b32_e32 v20, v16, v20, vcc
	v_or_b32_e32 v18, 0x800000, v17
	v_add_u32_e32 v16, 20, v20
	v_cndmask_b32_e32 v52, v18, v17, vcc
	v_lshlrev_b64 v[16:17], v16, -1
	v_add_u32_e32 v18, 19, v20
	v_lshlrev_b64 v[21:22], v18, 1
	v_bfi_b32 v17, v17, 0, 0
	v_bfi_b32 v16, v16, 0, v52
	v_cmp_eq_u64_e64 s[20:21], v[16:17], v[21:22]
	v_lshrrev_b64 v[16:17], v20, v[52:53]
	v_mov_b32_e32 v18, v17
	v_mov_b32_e32 v17, v16
	s_and_saveexec_b64 s[94:95], s[20:21]
; %bb.5840:                             ;   in Loop: Header=BB6_4155 Depth=2
	v_bfe_u32 v17, v16, 20, 1
	v_add_co_u32_e64 v17, s[20:21], v16, v17
	v_add_co_u32_e64 v17, s[20:21], -1, v17
; %bb.5841:                             ;   in Loop: Header=BB6_4155 Depth=2
	s_or_b64 exec, exec, s[94:95]
	v_add_u32_e32 v18, 0xffffff81, v19
	v_mov_b32_e32 v19, 0xffffff82
	v_cndmask_b32_e32 v18, v18, v19, vcc
	v_lshrrev_b32_e32 v19, 23, v16
	v_add3_u32 v20, v20, v18, v19
	v_add_u32_e32 v19, 6, v20
	v_and_b32_e32 v17, 0xfffff, v17
	v_add_u32_e32 v52, v17, v16
	v_cmp_ne_u32_e32 vcc, 0, v19
                                        ; implicit-def: $vgpr16_vgpr17
                                        ; implicit-def: $vgpr18
	s_and_saveexec_b64 s[20:21], vcc
	s_xor_b64 s[20:21], exec, s[20:21]
; %bb.5842:                             ;   in Loop: Header=BB6_4155 Depth=2
	v_cmp_lt_u64_e32 vcc, s[60:61], v[52:53]
	v_add_u32_e32 v16, 7, v20
	v_cndmask_b32_e32 v18, v19, v16, vcc
	v_cndmask_b32_e64 v16, 0, 1, vcc
	v_lshrrev_b64 v[16:17], v16, v[52:53]
; %bb.5843:                             ;   in Loop: Header=BB6_4155 Depth=2
	s_andn2_saveexec_b64 s[20:21], s[20:21]
; %bb.5844:                             ;   in Loop: Header=BB6_4155 Depth=2
	v_mov_b32_e32 v16, v52
	v_mov_b32_e32 v17, v53
	v_bfe_u32 v18, v52, 23, 1
; %bb.5845:                             ;   in Loop: Header=BB6_4155 Depth=2
	s_or_b64 exec, exec, s[20:21]
	v_lshrrev_b64 v[16:17], 20, v[16:17]
	v_cmp_gt_i32_e32 vcc, 16, v18
	v_cndmask_b32_e32 v17, 0, v17, vcc
	v_cndmask_b32_e32 v16, 7, v16, vcc
	v_cmp_ne_u64_e32 vcc, 0, v[16:17]
	v_cmp_ne_u32_e64 s[20:21], 0, v18
	s_or_b64 s[20:21], s[20:21], vcc
                                        ; implicit-def: $vgpr19
	s_and_saveexec_b64 s[94:95], s[20:21]
	s_xor_b64 s[20:21], exec, s[94:95]
; %bb.5846:                             ;   in Loop: Header=BB6_4155 Depth=2
	v_min_i32_e32 v17, 15, v18
	v_lshl_or_b32 v9, v17, 3, v9
	v_and_or_b32 v19, v16, 7, v9
                                        ; implicit-def: $vgpr9
; %bb.5847:                             ;   in Loop: Header=BB6_4155 Depth=2
	s_andn2_saveexec_b64 s[20:21], s[20:21]
; %bb.5848:                             ;   in Loop: Header=BB6_4155 Depth=2
	v_mov_b32_e32 v19, v9
; %bb.5849:                             ;   in Loop: Header=BB6_4155 Depth=2
	s_or_b64 exec, exec, s[20:21]
.LBB6_5850:                             ;   in Loop: Header=BB6_4155 Depth=2
	s_or_b64 exec, exec, s[92:93]
                                        ; implicit-def: $vgpr9
.LBB6_5851:                             ;   in Loop: Header=BB6_4155 Depth=2
	s_andn2_saveexec_b64 s[20:21], s[90:91]
; %bb.5852:                             ;   in Loop: Header=BB6_4155 Depth=2
	v_or_b32_e32 v19, 0x7e, v9
; %bb.5853:                             ;   in Loop: Header=BB6_4155 Depth=2
	s_or_b64 exec, exec, s[20:21]
                                        ; implicit-def: $vgpr16
.LBB6_5854:                             ;   in Loop: Header=BB6_4155 Depth=2
	s_andn2_saveexec_b64 s[20:21], s[88:89]
; %bb.5855:                             ;   in Loop: Header=BB6_4155 Depth=2
	v_or_b32_sdwa v19, v16, s51 dst_sel:DWORD dst_unused:UNUSED_PAD src0_sel:BYTE_3 src1_sel:DWORD
; %bb.5856:                             ;   in Loop: Header=BB6_4155 Depth=2
	s_or_b64 exec, exec, s[20:21]
	buffer_load_dword v9, off, s[0:3], s33 offset:116 ; 4-byte Folded Reload
	v_mov_b32_e32 v17, 0
	s_waitcnt vmcnt(0)
	v_and_b32_e32 v16, 0xff, v9
	v_cmp_ne_u16_e32 vcc, 0, v16
	v_mov_b32_e32 v9, 0
	s_and_saveexec_b64 s[20:21], vcc
	s_cbranch_execz .LBB6_5862
; %bb.5857:                             ;   in Loop: Header=BB6_4155 Depth=2
	v_cmp_ne_u16_e32 vcc, s53, v16
	v_bfrev_b32_e32 v17, 1
	s_and_saveexec_b64 s[88:89], vcc
	s_cbranch_execz .LBB6_5861
; %bb.5858:                             ;   in Loop: Header=BB6_4155 Depth=2
	buffer_load_dword v22, off, s[0:3], s33 offset:116 ; 4-byte Folded Reload
	v_mov_b32_e32 v17, 0x7f800001
	s_waitcnt vmcnt(0)
	v_and_b32_e32 v18, 0x7f, v22
	v_cmp_ne_u32_e32 vcc, s51, v18
	s_and_saveexec_b64 s[90:91], vcc
	s_cbranch_execz .LBB6_5860
; %bb.5859:                             ;   in Loop: Header=BB6_4155 Depth=2
	v_and_b32_e32 v20, 7, v16
	v_ffbh_u32_e32 v17, v20
	v_lshrrev_b32_e32 v21, 3, v18
	v_cmp_gt_u32_e32 vcc, 8, v18
	v_min_u32_e32 v18, 32, v17
	v_subrev_u32_e32 v17, 28, v18
	v_lshlrev_b64 v[16:17], v17, v[16:17]
	v_sub_u32_e32 v17, 29, v18
	v_and_b32_e32 v16, 7, v16
	v_cndmask_b32_e32 v17, v21, v17, vcc
	v_cndmask_b32_e32 v16, v20, v16, vcc
	v_lshlrev_b32_e32 v18, 24, v22
	v_bfrev_b32_e32 v20, 60
	v_lshlrev_b32_e32 v16, 20, v16
	v_and_b32_e32 v18, 0x80000000, v18
	v_lshl_add_u32 v17, v17, 23, v20
	v_or3_b32 v17, v18, v17, v16
.LBB6_5860:                             ;   in Loop: Header=BB6_4155 Depth=2
	s_or_b64 exec, exec, s[90:91]
.LBB6_5861:                             ;   in Loop: Header=BB6_4155 Depth=2
	s_or_b64 exec, exec, s[88:89]
.LBB6_5862:                             ;   in Loop: Header=BB6_4155 Depth=2
	s_or_b64 exec, exec, s[20:21]
	v_and_b32_e32 v16, 0xff, v47
	v_cmp_ne_u16_e32 vcc, 0, v16
	s_and_saveexec_b64 s[20:21], vcc
	s_cbranch_execz .LBB6_5868
; %bb.5863:                             ;   in Loop: Header=BB6_4155 Depth=2
	v_cmp_ne_u16_e32 vcc, s53, v16
	v_bfrev_b32_e32 v9, 1
	s_and_saveexec_b64 s[88:89], vcc
	s_cbranch_execz .LBB6_5867
; %bb.5864:                             ;   in Loop: Header=BB6_4155 Depth=2
	v_and_b32_e32 v18, 0x7f, v47
	v_cmp_ne_u32_e32 vcc, s51, v18
	v_mov_b32_e32 v9, 0x7f800001
	s_and_saveexec_b64 s[90:91], vcc
	s_cbranch_execz .LBB6_5866
; %bb.5865:                             ;   in Loop: Header=BB6_4155 Depth=2
	v_and_b32_e32 v9, 7, v16
	v_lshrrev_b32_e32 v22, 3, v18
	v_cmp_gt_u32_e32 vcc, 8, v18
	v_ffbh_u32_e32 v18, v9
	v_min_u32_e32 v18, 32, v18
	v_subrev_u32_e32 v20, 28, v18
	v_lshlrev_b64 v[20:21], v20, v[16:17]
	v_sub_u32_e32 v16, 29, v18
	v_and_b32_e32 v18, 7, v20
	v_cndmask_b32_e32 v16, v22, v16, vcc
	v_cndmask_b32_e32 v9, v9, v18, vcc
	v_lshlrev_b32_e32 v18, 24, v47
	v_bfrev_b32_e32 v20, 60
	v_lshlrev_b32_e32 v9, 20, v9
	v_and_b32_e32 v18, 0x80000000, v18
	v_lshl_add_u32 v16, v16, 23, v20
	v_or3_b32 v9, v18, v16, v9
.LBB6_5866:                             ;   in Loop: Header=BB6_4155 Depth=2
	s_or_b64 exec, exec, s[90:91]
.LBB6_5867:                             ;   in Loop: Header=BB6_4155 Depth=2
	s_or_b64 exec, exec, s[88:89]
.LBB6_5868:                             ;   in Loop: Header=BB6_4155 Depth=2
	s_or_b64 exec, exec, s[20:21]
	v_add_f32_e32 v16, v17, v9
	v_and_b32_e32 v52, 0x7f800000, v16
	v_cmp_ne_u64_e32 vcc, s[56:57], v[52:53]
                                        ; implicit-def: $vgpr20
	s_and_saveexec_b64 s[20:21], vcc
	s_xor_b64 s[88:89], exec, s[20:21]
	s_cbranch_execz .LBB6_5886
; %bb.5869:                             ;   in Loop: Header=BB6_4155 Depth=2
	v_and_b32_e32 v52, 0x7fffffff, v16
	v_cmp_gt_u64_e32 vcc, s[58:59], v[52:53]
	v_and_b32_sdwa v9, v16, s53 dst_sel:DWORD dst_unused:UNUSED_PAD src0_sel:BYTE_3 src1_sel:DWORD
                                        ; implicit-def: $vgpr20
	s_and_saveexec_b64 s[20:21], vcc
	s_xor_b64 s[90:91], exec, s[20:21]
	s_cbranch_execz .LBB6_5883
; %bb.5870:                             ;   in Loop: Header=BB6_4155 Depth=2
	v_cmp_ne_u32_e32 vcc, 0, v16
	v_mov_b32_e32 v20, 0
	s_and_saveexec_b64 s[92:93], vcc
	s_cbranch_execz .LBB6_5882
; %bb.5871:                             ;   in Loop: Header=BB6_4155 Depth=2
	v_bfe_u32 v20, v16, 23, 8
	v_and_b32_e32 v17, 0x7fffff, v16
	v_cmp_gt_u32_e64 s[20:21], s54, v20
	v_sub_u32_e32 v16, 0x79, v20
	v_cmp_eq_u32_e32 vcc, 0, v20
	v_cndmask_b32_e64 v16, 0, v16, s[20:21]
	v_mov_b32_e32 v21, 0x78
	v_cndmask_b32_e32 v21, v16, v21, vcc
	v_or_b32_e32 v18, 0x800000, v17
	v_add_u32_e32 v16, 20, v21
	v_cndmask_b32_e32 v52, v18, v17, vcc
	v_lshlrev_b64 v[16:17], v16, -1
	v_add_u32_e32 v18, 19, v21
	v_lshlrev_b64 v[22:23], v18, 1
	v_bfi_b32 v17, v17, 0, 0
	v_bfi_b32 v16, v16, 0, v52
	v_cmp_eq_u64_e64 s[20:21], v[16:17], v[22:23]
	v_lshrrev_b64 v[16:17], v21, v[52:53]
	v_mov_b32_e32 v18, v17
	v_mov_b32_e32 v17, v16
	s_and_saveexec_b64 s[94:95], s[20:21]
; %bb.5872:                             ;   in Loop: Header=BB6_4155 Depth=2
	v_bfe_u32 v17, v16, 20, 1
	v_add_co_u32_e64 v17, s[20:21], v16, v17
	v_add_co_u32_e64 v17, s[20:21], -1, v17
; %bb.5873:                             ;   in Loop: Header=BB6_4155 Depth=2
	s_or_b64 exec, exec, s[94:95]
	v_add_u32_e32 v18, 0xffffff81, v20
	v_mov_b32_e32 v20, 0xffffff82
	v_cndmask_b32_e32 v18, v18, v20, vcc
	v_lshrrev_b32_e32 v20, 23, v16
	v_add3_u32 v21, v21, v18, v20
	v_add_u32_e32 v20, 6, v21
	v_and_b32_e32 v17, 0xfffff, v17
	v_add_u32_e32 v52, v17, v16
	v_cmp_ne_u32_e32 vcc, 0, v20
                                        ; implicit-def: $vgpr16_vgpr17
                                        ; implicit-def: $vgpr18
	s_and_saveexec_b64 s[20:21], vcc
	s_xor_b64 s[20:21], exec, s[20:21]
; %bb.5874:                             ;   in Loop: Header=BB6_4155 Depth=2
	v_cmp_lt_u64_e32 vcc, s[60:61], v[52:53]
	v_add_u32_e32 v16, 7, v21
	v_cndmask_b32_e32 v18, v20, v16, vcc
	v_cndmask_b32_e64 v16, 0, 1, vcc
	v_lshrrev_b64 v[16:17], v16, v[52:53]
; %bb.5875:                             ;   in Loop: Header=BB6_4155 Depth=2
	s_andn2_saveexec_b64 s[20:21], s[20:21]
; %bb.5876:                             ;   in Loop: Header=BB6_4155 Depth=2
	v_mov_b32_e32 v16, v52
	v_mov_b32_e32 v17, v53
	v_bfe_u32 v18, v52, 23, 1
; %bb.5877:                             ;   in Loop: Header=BB6_4155 Depth=2
	s_or_b64 exec, exec, s[20:21]
	v_lshrrev_b64 v[16:17], 20, v[16:17]
	v_cmp_gt_i32_e32 vcc, 16, v18
	v_cndmask_b32_e32 v17, 0, v17, vcc
	v_cndmask_b32_e32 v16, 7, v16, vcc
	v_cmp_ne_u64_e32 vcc, 0, v[16:17]
	v_cmp_ne_u32_e64 s[20:21], 0, v18
	s_or_b64 s[20:21], s[20:21], vcc
                                        ; implicit-def: $vgpr20
	s_and_saveexec_b64 s[94:95], s[20:21]
	s_xor_b64 s[20:21], exec, s[94:95]
; %bb.5878:                             ;   in Loop: Header=BB6_4155 Depth=2
	v_min_i32_e32 v17, 15, v18
	v_lshl_or_b32 v9, v17, 3, v9
	v_and_or_b32 v20, v16, 7, v9
                                        ; implicit-def: $vgpr9
; %bb.5879:                             ;   in Loop: Header=BB6_4155 Depth=2
	s_andn2_saveexec_b64 s[20:21], s[20:21]
; %bb.5880:                             ;   in Loop: Header=BB6_4155 Depth=2
	v_mov_b32_e32 v20, v9
; %bb.5881:                             ;   in Loop: Header=BB6_4155 Depth=2
	s_or_b64 exec, exec, s[20:21]
.LBB6_5882:                             ;   in Loop: Header=BB6_4155 Depth=2
	s_or_b64 exec, exec, s[92:93]
                                        ; implicit-def: $vgpr9
.LBB6_5883:                             ;   in Loop: Header=BB6_4155 Depth=2
	s_andn2_saveexec_b64 s[20:21], s[90:91]
; %bb.5884:                             ;   in Loop: Header=BB6_4155 Depth=2
	v_or_b32_e32 v20, 0x7e, v9
; %bb.5885:                             ;   in Loop: Header=BB6_4155 Depth=2
	s_or_b64 exec, exec, s[20:21]
                                        ; implicit-def: $vgpr16
.LBB6_5886:                             ;   in Loop: Header=BB6_4155 Depth=2
	s_andn2_saveexec_b64 s[20:21], s[88:89]
; %bb.5887:                             ;   in Loop: Header=BB6_4155 Depth=2
	v_or_b32_sdwa v20, v16, s51 dst_sel:DWORD dst_unused:UNUSED_PAD src0_sel:BYTE_3 src1_sel:DWORD
; %bb.5888:                             ;   in Loop: Header=BB6_4155 Depth=2
	s_or_b64 exec, exec, s[20:21]
	buffer_load_dword v9, off, s[0:3], s33 offset:112 ; 4-byte Folded Reload
	v_mov_b32_e32 v17, 0
	s_waitcnt vmcnt(0)
	v_and_b32_e32 v16, 0xff, v9
	v_cmp_ne_u16_e32 vcc, 0, v16
	v_mov_b32_e32 v9, 0
	s_and_saveexec_b64 s[20:21], vcc
	s_cbranch_execz .LBB6_5894
; %bb.5889:                             ;   in Loop: Header=BB6_4155 Depth=2
	v_cmp_ne_u16_e32 vcc, s53, v16
	v_bfrev_b32_e32 v17, 1
	s_and_saveexec_b64 s[88:89], vcc
	s_cbranch_execz .LBB6_5893
; %bb.5890:                             ;   in Loop: Header=BB6_4155 Depth=2
	buffer_load_dword v23, off, s[0:3], s33 offset:112 ; 4-byte Folded Reload
	v_mov_b32_e32 v17, 0x7f800001
	s_waitcnt vmcnt(0)
	v_and_b32_e32 v18, 0x7f, v23
	v_cmp_ne_u32_e32 vcc, s51, v18
	s_and_saveexec_b64 s[90:91], vcc
	s_cbranch_execz .LBB6_5892
; %bb.5891:                             ;   in Loop: Header=BB6_4155 Depth=2
	v_and_b32_e32 v21, 7, v16
	v_ffbh_u32_e32 v17, v21
	v_lshrrev_b32_e32 v22, 3, v18
	v_cmp_gt_u32_e32 vcc, 8, v18
	v_min_u32_e32 v18, 32, v17
	v_subrev_u32_e32 v17, 28, v18
	v_lshlrev_b64 v[16:17], v17, v[16:17]
	v_sub_u32_e32 v17, 29, v18
	v_and_b32_e32 v16, 7, v16
	v_cndmask_b32_e32 v17, v22, v17, vcc
	v_cndmask_b32_e32 v16, v21, v16, vcc
	v_lshlrev_b32_e32 v18, 24, v23
	v_bfrev_b32_e32 v21, 60
	v_lshlrev_b32_e32 v16, 20, v16
	v_and_b32_e32 v18, 0x80000000, v18
	v_lshl_add_u32 v17, v17, 23, v21
	v_or3_b32 v17, v18, v17, v16
.LBB6_5892:                             ;   in Loop: Header=BB6_4155 Depth=2
	s_or_b64 exec, exec, s[90:91]
.LBB6_5893:                             ;   in Loop: Header=BB6_4155 Depth=2
	s_or_b64 exec, exec, s[88:89]
.LBB6_5894:                             ;   in Loop: Header=BB6_4155 Depth=2
	s_or_b64 exec, exec, s[20:21]
	buffer_load_dword v16, off, s[0:3], s33 offset:168 ; 4-byte Folded Reload
	s_waitcnt vmcnt(0)
	v_and_b32_e32 v16, 0xff, v16
	v_cmp_ne_u16_e32 vcc, 0, v16
	s_and_saveexec_b64 s[20:21], vcc
	s_cbranch_execz .LBB6_5900
; %bb.5895:                             ;   in Loop: Header=BB6_4155 Depth=2
	v_cmp_ne_u16_e32 vcc, s53, v16
	v_bfrev_b32_e32 v9, 1
	s_and_saveexec_b64 s[88:89], vcc
	s_cbranch_execz .LBB6_5899
; %bb.5896:                             ;   in Loop: Header=BB6_4155 Depth=2
	buffer_load_dword v24, off, s[0:3], s33 offset:168 ; 4-byte Folded Reload
	v_mov_b32_e32 v9, 0x7f800001
	s_waitcnt vmcnt(0)
	v_and_b32_e32 v18, 0x7f, v24
	v_cmp_ne_u32_e32 vcc, s51, v18
	s_and_saveexec_b64 s[90:91], vcc
	s_cbranch_execz .LBB6_5898
; %bb.5897:                             ;   in Loop: Header=BB6_4155 Depth=2
	v_and_b32_e32 v9, 7, v16
	v_lshrrev_b32_e32 v23, 3, v18
	v_cmp_gt_u32_e32 vcc, 8, v18
	v_ffbh_u32_e32 v18, v9
	v_min_u32_e32 v18, 32, v18
	v_subrev_u32_e32 v21, 28, v18
	v_lshlrev_b64 v[21:22], v21, v[16:17]
	v_sub_u32_e32 v16, 29, v18
	v_and_b32_e32 v18, 7, v21
	v_cndmask_b32_e32 v16, v23, v16, vcc
	v_cndmask_b32_e32 v9, v9, v18, vcc
	v_lshlrev_b32_e32 v18, 24, v24
	v_bfrev_b32_e32 v21, 60
	v_lshlrev_b32_e32 v9, 20, v9
	v_and_b32_e32 v18, 0x80000000, v18
	v_lshl_add_u32 v16, v16, 23, v21
	v_or3_b32 v9, v18, v16, v9
.LBB6_5898:                             ;   in Loop: Header=BB6_4155 Depth=2
	s_or_b64 exec, exec, s[90:91]
.LBB6_5899:                             ;   in Loop: Header=BB6_4155 Depth=2
	s_or_b64 exec, exec, s[88:89]
.LBB6_5900:                             ;   in Loop: Header=BB6_4155 Depth=2
	s_or_b64 exec, exec, s[20:21]
	v_add_f32_e32 v16, v17, v9
	v_and_b32_e32 v52, 0x7f800000, v16
	v_cmp_ne_u64_e32 vcc, s[56:57], v[52:53]
                                        ; implicit-def: $vgpr21
	s_and_saveexec_b64 s[20:21], vcc
	s_xor_b64 s[88:89], exec, s[20:21]
	s_cbranch_execz .LBB6_5918
; %bb.5901:                             ;   in Loop: Header=BB6_4155 Depth=2
	v_and_b32_e32 v52, 0x7fffffff, v16
	v_cmp_gt_u64_e32 vcc, s[58:59], v[52:53]
	v_and_b32_sdwa v9, v16, s53 dst_sel:DWORD dst_unused:UNUSED_PAD src0_sel:BYTE_3 src1_sel:DWORD
                                        ; implicit-def: $vgpr21
	s_and_saveexec_b64 s[20:21], vcc
	s_xor_b64 s[90:91], exec, s[20:21]
	s_cbranch_execz .LBB6_5915
; %bb.5902:                             ;   in Loop: Header=BB6_4155 Depth=2
	v_cmp_ne_u32_e32 vcc, 0, v16
	v_mov_b32_e32 v21, 0
	s_and_saveexec_b64 s[92:93], vcc
	s_cbranch_execz .LBB6_5914
; %bb.5903:                             ;   in Loop: Header=BB6_4155 Depth=2
	v_bfe_u32 v21, v16, 23, 8
	v_and_b32_e32 v17, 0x7fffff, v16
	v_cmp_gt_u32_e64 s[20:21], s54, v21
	v_sub_u32_e32 v16, 0x79, v21
	v_cmp_eq_u32_e32 vcc, 0, v21
	v_cndmask_b32_e64 v16, 0, v16, s[20:21]
	v_mov_b32_e32 v22, 0x78
	v_cndmask_b32_e32 v22, v16, v22, vcc
	v_or_b32_e32 v18, 0x800000, v17
	v_add_u32_e32 v16, 20, v22
	v_cndmask_b32_e32 v52, v18, v17, vcc
	v_lshlrev_b64 v[16:17], v16, -1
	v_add_u32_e32 v18, 19, v22
	v_lshlrev_b64 v[23:24], v18, 1
	v_bfi_b32 v17, v17, 0, 0
	v_bfi_b32 v16, v16, 0, v52
	v_cmp_eq_u64_e64 s[20:21], v[16:17], v[23:24]
	v_lshrrev_b64 v[16:17], v22, v[52:53]
	v_mov_b32_e32 v18, v17
	v_mov_b32_e32 v17, v16
	s_and_saveexec_b64 s[94:95], s[20:21]
; %bb.5904:                             ;   in Loop: Header=BB6_4155 Depth=2
	v_bfe_u32 v17, v16, 20, 1
	v_add_co_u32_e64 v17, s[20:21], v16, v17
	v_add_co_u32_e64 v17, s[20:21], -1, v17
; %bb.5905:                             ;   in Loop: Header=BB6_4155 Depth=2
	s_or_b64 exec, exec, s[94:95]
	v_add_u32_e32 v18, 0xffffff81, v21
	v_mov_b32_e32 v21, 0xffffff82
	v_cndmask_b32_e32 v18, v18, v21, vcc
	v_lshrrev_b32_e32 v21, 23, v16
	v_add3_u32 v22, v22, v18, v21
	v_add_u32_e32 v21, 6, v22
	v_and_b32_e32 v17, 0xfffff, v17
	v_add_u32_e32 v52, v17, v16
	v_cmp_ne_u32_e32 vcc, 0, v21
                                        ; implicit-def: $vgpr16_vgpr17
                                        ; implicit-def: $vgpr18
	s_and_saveexec_b64 s[20:21], vcc
	s_xor_b64 s[20:21], exec, s[20:21]
; %bb.5906:                             ;   in Loop: Header=BB6_4155 Depth=2
	v_cmp_lt_u64_e32 vcc, s[60:61], v[52:53]
	v_add_u32_e32 v16, 7, v22
	v_cndmask_b32_e32 v18, v21, v16, vcc
	v_cndmask_b32_e64 v16, 0, 1, vcc
	v_lshrrev_b64 v[16:17], v16, v[52:53]
; %bb.5907:                             ;   in Loop: Header=BB6_4155 Depth=2
	s_andn2_saveexec_b64 s[20:21], s[20:21]
; %bb.5908:                             ;   in Loop: Header=BB6_4155 Depth=2
	v_mov_b32_e32 v16, v52
	v_mov_b32_e32 v17, v53
	v_bfe_u32 v18, v52, 23, 1
; %bb.5909:                             ;   in Loop: Header=BB6_4155 Depth=2
	s_or_b64 exec, exec, s[20:21]
	v_lshrrev_b64 v[16:17], 20, v[16:17]
	v_cmp_gt_i32_e32 vcc, 16, v18
	v_cndmask_b32_e32 v17, 0, v17, vcc
	v_cndmask_b32_e32 v16, 7, v16, vcc
	v_cmp_ne_u64_e32 vcc, 0, v[16:17]
	v_cmp_ne_u32_e64 s[20:21], 0, v18
	s_or_b64 s[20:21], s[20:21], vcc
                                        ; implicit-def: $vgpr21
	s_and_saveexec_b64 s[94:95], s[20:21]
	s_xor_b64 s[20:21], exec, s[94:95]
; %bb.5910:                             ;   in Loop: Header=BB6_4155 Depth=2
	v_min_i32_e32 v17, 15, v18
	v_lshl_or_b32 v9, v17, 3, v9
	v_and_or_b32 v21, v16, 7, v9
                                        ; implicit-def: $vgpr9
; %bb.5911:                             ;   in Loop: Header=BB6_4155 Depth=2
	s_andn2_saveexec_b64 s[20:21], s[20:21]
; %bb.5912:                             ;   in Loop: Header=BB6_4155 Depth=2
	v_mov_b32_e32 v21, v9
; %bb.5913:                             ;   in Loop: Header=BB6_4155 Depth=2
	s_or_b64 exec, exec, s[20:21]
.LBB6_5914:                             ;   in Loop: Header=BB6_4155 Depth=2
	s_or_b64 exec, exec, s[92:93]
                                        ; implicit-def: $vgpr9
.LBB6_5915:                             ;   in Loop: Header=BB6_4155 Depth=2
	s_andn2_saveexec_b64 s[20:21], s[90:91]
; %bb.5916:                             ;   in Loop: Header=BB6_4155 Depth=2
	v_or_b32_e32 v21, 0x7e, v9
; %bb.5917:                             ;   in Loop: Header=BB6_4155 Depth=2
	s_or_b64 exec, exec, s[20:21]
                                        ; implicit-def: $vgpr16
.LBB6_5918:                             ;   in Loop: Header=BB6_4155 Depth=2
	s_andn2_saveexec_b64 s[20:21], s[88:89]
; %bb.5919:                             ;   in Loop: Header=BB6_4155 Depth=2
	v_or_b32_sdwa v21, v16, s51 dst_sel:DWORD dst_unused:UNUSED_PAD src0_sel:BYTE_3 src1_sel:DWORD
; %bb.5920:                             ;   in Loop: Header=BB6_4155 Depth=2
	s_or_b64 exec, exec, s[20:21]
	buffer_load_dword v9, off, s[0:3], s33 offset:108 ; 4-byte Folded Reload
	v_mov_b32_e32 v17, 0
	s_waitcnt vmcnt(0)
	v_and_b32_e32 v16, 0xff, v9
	v_cmp_ne_u16_e32 vcc, 0, v16
	v_mov_b32_e32 v9, 0
	s_and_saveexec_b64 s[20:21], vcc
	s_cbranch_execz .LBB6_5926
; %bb.5921:                             ;   in Loop: Header=BB6_4155 Depth=2
	v_cmp_ne_u16_e32 vcc, s53, v16
	v_bfrev_b32_e32 v17, 1
	s_and_saveexec_b64 s[88:89], vcc
	s_cbranch_execz .LBB6_5925
; %bb.5922:                             ;   in Loop: Header=BB6_4155 Depth=2
	buffer_load_dword v24, off, s[0:3], s33 offset:108 ; 4-byte Folded Reload
	v_mov_b32_e32 v17, 0x7f800001
	s_waitcnt vmcnt(0)
	v_and_b32_e32 v18, 0x7f, v24
	v_cmp_ne_u32_e32 vcc, s51, v18
	s_and_saveexec_b64 s[90:91], vcc
	s_cbranch_execz .LBB6_5924
; %bb.5923:                             ;   in Loop: Header=BB6_4155 Depth=2
	v_and_b32_e32 v22, 7, v16
	v_ffbh_u32_e32 v17, v22
	v_lshrrev_b32_e32 v23, 3, v18
	v_cmp_gt_u32_e32 vcc, 8, v18
	v_min_u32_e32 v18, 32, v17
	v_subrev_u32_e32 v17, 28, v18
	v_lshlrev_b64 v[16:17], v17, v[16:17]
	v_sub_u32_e32 v17, 29, v18
	v_and_b32_e32 v16, 7, v16
	v_cndmask_b32_e32 v17, v23, v17, vcc
	v_cndmask_b32_e32 v16, v22, v16, vcc
	v_lshlrev_b32_e32 v18, 24, v24
	v_bfrev_b32_e32 v22, 60
	v_lshlrev_b32_e32 v16, 20, v16
	v_and_b32_e32 v18, 0x80000000, v18
	v_lshl_add_u32 v17, v17, 23, v22
	v_or3_b32 v17, v18, v17, v16
.LBB6_5924:                             ;   in Loop: Header=BB6_4155 Depth=2
	s_or_b64 exec, exec, s[90:91]
.LBB6_5925:                             ;   in Loop: Header=BB6_4155 Depth=2
	s_or_b64 exec, exec, s[88:89]
.LBB6_5926:                             ;   in Loop: Header=BB6_4155 Depth=2
	s_or_b64 exec, exec, s[20:21]
	buffer_load_dword v16, off, s[0:3], s33 offset:164 ; 4-byte Folded Reload
	s_waitcnt vmcnt(0)
	v_and_b32_e32 v16, 0xff, v16
	v_cmp_ne_u16_e32 vcc, 0, v16
	s_and_saveexec_b64 s[20:21], vcc
	s_cbranch_execz .LBB6_5932
; %bb.5927:                             ;   in Loop: Header=BB6_4155 Depth=2
	v_cmp_ne_u16_e32 vcc, s53, v16
	v_bfrev_b32_e32 v9, 1
	s_and_saveexec_b64 s[88:89], vcc
	s_cbranch_execz .LBB6_5931
; %bb.5928:                             ;   in Loop: Header=BB6_4155 Depth=2
	buffer_load_dword v25, off, s[0:3], s33 offset:164 ; 4-byte Folded Reload
	v_mov_b32_e32 v9, 0x7f800001
	s_waitcnt vmcnt(0)
	v_and_b32_e32 v18, 0x7f, v25
	v_cmp_ne_u32_e32 vcc, s51, v18
	s_and_saveexec_b64 s[90:91], vcc
	s_cbranch_execz .LBB6_5930
; %bb.5929:                             ;   in Loop: Header=BB6_4155 Depth=2
	v_and_b32_e32 v9, 7, v16
	v_lshrrev_b32_e32 v24, 3, v18
	v_cmp_gt_u32_e32 vcc, 8, v18
	v_ffbh_u32_e32 v18, v9
	v_min_u32_e32 v18, 32, v18
	v_subrev_u32_e32 v22, 28, v18
	v_lshlrev_b64 v[22:23], v22, v[16:17]
	v_sub_u32_e32 v16, 29, v18
	v_and_b32_e32 v18, 7, v22
	v_cndmask_b32_e32 v16, v24, v16, vcc
	v_cndmask_b32_e32 v9, v9, v18, vcc
	v_lshlrev_b32_e32 v18, 24, v25
	v_bfrev_b32_e32 v22, 60
	v_lshlrev_b32_e32 v9, 20, v9
	v_and_b32_e32 v18, 0x80000000, v18
	v_lshl_add_u32 v16, v16, 23, v22
	v_or3_b32 v9, v18, v16, v9
.LBB6_5930:                             ;   in Loop: Header=BB6_4155 Depth=2
	s_or_b64 exec, exec, s[90:91]
.LBB6_5931:                             ;   in Loop: Header=BB6_4155 Depth=2
	s_or_b64 exec, exec, s[88:89]
.LBB6_5932:                             ;   in Loop: Header=BB6_4155 Depth=2
	s_or_b64 exec, exec, s[20:21]
	v_add_f32_e32 v16, v17, v9
	v_and_b32_e32 v52, 0x7f800000, v16
	v_cmp_ne_u64_e32 vcc, s[56:57], v[52:53]
                                        ; implicit-def: $vgpr22
	s_and_saveexec_b64 s[20:21], vcc
	s_xor_b64 s[88:89], exec, s[20:21]
	s_cbranch_execz .LBB6_5950
; %bb.5933:                             ;   in Loop: Header=BB6_4155 Depth=2
	v_and_b32_e32 v52, 0x7fffffff, v16
	v_cmp_gt_u64_e32 vcc, s[58:59], v[52:53]
	v_and_b32_sdwa v9, v16, s53 dst_sel:DWORD dst_unused:UNUSED_PAD src0_sel:BYTE_3 src1_sel:DWORD
                                        ; implicit-def: $vgpr22
	s_and_saveexec_b64 s[20:21], vcc
	s_xor_b64 s[90:91], exec, s[20:21]
	s_cbranch_execz .LBB6_5947
; %bb.5934:                             ;   in Loop: Header=BB6_4155 Depth=2
	v_cmp_ne_u32_e32 vcc, 0, v16
	v_mov_b32_e32 v22, 0
	s_and_saveexec_b64 s[92:93], vcc
	s_cbranch_execz .LBB6_5946
; %bb.5935:                             ;   in Loop: Header=BB6_4155 Depth=2
	v_bfe_u32 v22, v16, 23, 8
	v_and_b32_e32 v17, 0x7fffff, v16
	v_cmp_gt_u32_e64 s[20:21], s54, v22
	v_sub_u32_e32 v16, 0x79, v22
	v_cmp_eq_u32_e32 vcc, 0, v22
	v_cndmask_b32_e64 v16, 0, v16, s[20:21]
	v_mov_b32_e32 v23, 0x78
	v_cndmask_b32_e32 v23, v16, v23, vcc
	v_or_b32_e32 v18, 0x800000, v17
	v_add_u32_e32 v16, 20, v23
	v_cndmask_b32_e32 v52, v18, v17, vcc
	v_lshlrev_b64 v[16:17], v16, -1
	v_add_u32_e32 v18, 19, v23
	v_lshlrev_b64 v[24:25], v18, 1
	v_bfi_b32 v17, v17, 0, 0
	v_bfi_b32 v16, v16, 0, v52
	v_cmp_eq_u64_e64 s[20:21], v[16:17], v[24:25]
	v_lshrrev_b64 v[16:17], v23, v[52:53]
	v_mov_b32_e32 v18, v17
	v_mov_b32_e32 v17, v16
	s_and_saveexec_b64 s[94:95], s[20:21]
; %bb.5936:                             ;   in Loop: Header=BB6_4155 Depth=2
	v_bfe_u32 v17, v16, 20, 1
	v_add_co_u32_e64 v17, s[20:21], v16, v17
	v_add_co_u32_e64 v17, s[20:21], -1, v17
; %bb.5937:                             ;   in Loop: Header=BB6_4155 Depth=2
	s_or_b64 exec, exec, s[94:95]
	v_add_u32_e32 v18, 0xffffff81, v22
	v_mov_b32_e32 v22, 0xffffff82
	v_cndmask_b32_e32 v18, v18, v22, vcc
	v_lshrrev_b32_e32 v22, 23, v16
	v_add3_u32 v23, v23, v18, v22
	v_add_u32_e32 v22, 6, v23
	v_and_b32_e32 v17, 0xfffff, v17
	v_add_u32_e32 v52, v17, v16
	v_cmp_ne_u32_e32 vcc, 0, v22
                                        ; implicit-def: $vgpr16_vgpr17
                                        ; implicit-def: $vgpr18
	s_and_saveexec_b64 s[20:21], vcc
	s_xor_b64 s[20:21], exec, s[20:21]
; %bb.5938:                             ;   in Loop: Header=BB6_4155 Depth=2
	v_cmp_lt_u64_e32 vcc, s[60:61], v[52:53]
	v_add_u32_e32 v16, 7, v23
	v_cndmask_b32_e32 v18, v22, v16, vcc
	v_cndmask_b32_e64 v16, 0, 1, vcc
	v_lshrrev_b64 v[16:17], v16, v[52:53]
; %bb.5939:                             ;   in Loop: Header=BB6_4155 Depth=2
	s_andn2_saveexec_b64 s[20:21], s[20:21]
; %bb.5940:                             ;   in Loop: Header=BB6_4155 Depth=2
	v_mov_b32_e32 v16, v52
	v_mov_b32_e32 v17, v53
	v_bfe_u32 v18, v52, 23, 1
; %bb.5941:                             ;   in Loop: Header=BB6_4155 Depth=2
	s_or_b64 exec, exec, s[20:21]
	v_lshrrev_b64 v[16:17], 20, v[16:17]
	v_cmp_gt_i32_e32 vcc, 16, v18
	v_cndmask_b32_e32 v17, 0, v17, vcc
	v_cndmask_b32_e32 v16, 7, v16, vcc
	v_cmp_ne_u64_e32 vcc, 0, v[16:17]
	v_cmp_ne_u32_e64 s[20:21], 0, v18
	s_or_b64 s[20:21], s[20:21], vcc
                                        ; implicit-def: $vgpr22
	s_and_saveexec_b64 s[94:95], s[20:21]
	s_xor_b64 s[20:21], exec, s[94:95]
; %bb.5942:                             ;   in Loop: Header=BB6_4155 Depth=2
	v_min_i32_e32 v17, 15, v18
	v_lshl_or_b32 v9, v17, 3, v9
	v_and_or_b32 v22, v16, 7, v9
                                        ; implicit-def: $vgpr9
; %bb.5943:                             ;   in Loop: Header=BB6_4155 Depth=2
	s_andn2_saveexec_b64 s[20:21], s[20:21]
; %bb.5944:                             ;   in Loop: Header=BB6_4155 Depth=2
	v_mov_b32_e32 v22, v9
; %bb.5945:                             ;   in Loop: Header=BB6_4155 Depth=2
	s_or_b64 exec, exec, s[20:21]
.LBB6_5946:                             ;   in Loop: Header=BB6_4155 Depth=2
	s_or_b64 exec, exec, s[92:93]
                                        ; implicit-def: $vgpr9
.LBB6_5947:                             ;   in Loop: Header=BB6_4155 Depth=2
	s_andn2_saveexec_b64 s[20:21], s[90:91]
; %bb.5948:                             ;   in Loop: Header=BB6_4155 Depth=2
	v_or_b32_e32 v22, 0x7e, v9
; %bb.5949:                             ;   in Loop: Header=BB6_4155 Depth=2
	s_or_b64 exec, exec, s[20:21]
                                        ; implicit-def: $vgpr16
.LBB6_5950:                             ;   in Loop: Header=BB6_4155 Depth=2
	s_andn2_saveexec_b64 s[20:21], s[88:89]
; %bb.5951:                             ;   in Loop: Header=BB6_4155 Depth=2
	v_or_b32_sdwa v22, v16, s51 dst_sel:DWORD dst_unused:UNUSED_PAD src0_sel:BYTE_3 src1_sel:DWORD
; %bb.5952:                             ;   in Loop: Header=BB6_4155 Depth=2
	s_or_b64 exec, exec, s[20:21]
	buffer_load_dword v9, off, s[0:3], s33 offset:104 ; 4-byte Folded Reload
	v_mov_b32_e32 v17, 0
	s_waitcnt vmcnt(0)
	v_and_b32_e32 v16, 0xff, v9
	v_cmp_ne_u16_e32 vcc, 0, v16
	v_mov_b32_e32 v9, 0
	s_and_saveexec_b64 s[20:21], vcc
	s_cbranch_execz .LBB6_5958
; %bb.5953:                             ;   in Loop: Header=BB6_4155 Depth=2
	v_cmp_ne_u16_e32 vcc, s53, v16
	v_bfrev_b32_e32 v17, 1
	s_and_saveexec_b64 s[88:89], vcc
	s_cbranch_execz .LBB6_5957
; %bb.5954:                             ;   in Loop: Header=BB6_4155 Depth=2
	buffer_load_dword v25, off, s[0:3], s33 offset:104 ; 4-byte Folded Reload
	v_mov_b32_e32 v17, 0x7f800001
	s_waitcnt vmcnt(0)
	v_and_b32_e32 v18, 0x7f, v25
	v_cmp_ne_u32_e32 vcc, s51, v18
	s_and_saveexec_b64 s[90:91], vcc
	s_cbranch_execz .LBB6_5956
; %bb.5955:                             ;   in Loop: Header=BB6_4155 Depth=2
	v_and_b32_e32 v23, 7, v16
	v_ffbh_u32_e32 v17, v23
	v_lshrrev_b32_e32 v24, 3, v18
	v_cmp_gt_u32_e32 vcc, 8, v18
	v_min_u32_e32 v18, 32, v17
	v_subrev_u32_e32 v17, 28, v18
	v_lshlrev_b64 v[16:17], v17, v[16:17]
	v_sub_u32_e32 v17, 29, v18
	v_and_b32_e32 v16, 7, v16
	v_cndmask_b32_e32 v17, v24, v17, vcc
	v_cndmask_b32_e32 v16, v23, v16, vcc
	v_lshlrev_b32_e32 v18, 24, v25
	v_bfrev_b32_e32 v23, 60
	v_lshlrev_b32_e32 v16, 20, v16
	v_and_b32_e32 v18, 0x80000000, v18
	v_lshl_add_u32 v17, v17, 23, v23
	v_or3_b32 v17, v18, v17, v16
.LBB6_5956:                             ;   in Loop: Header=BB6_4155 Depth=2
	s_or_b64 exec, exec, s[90:91]
.LBB6_5957:                             ;   in Loop: Header=BB6_4155 Depth=2
	s_or_b64 exec, exec, s[88:89]
.LBB6_5958:                             ;   in Loop: Header=BB6_4155 Depth=2
	s_or_b64 exec, exec, s[20:21]
	buffer_load_dword v16, off, s[0:3], s33 offset:160 ; 4-byte Folded Reload
	s_waitcnt vmcnt(0)
	v_and_b32_e32 v16, 0xff, v16
	v_cmp_ne_u16_e32 vcc, 0, v16
	s_and_saveexec_b64 s[20:21], vcc
	s_cbranch_execz .LBB6_5964
; %bb.5959:                             ;   in Loop: Header=BB6_4155 Depth=2
	v_cmp_ne_u16_e32 vcc, s53, v16
	v_bfrev_b32_e32 v9, 1
	s_and_saveexec_b64 s[88:89], vcc
	s_cbranch_execz .LBB6_5963
; %bb.5960:                             ;   in Loop: Header=BB6_4155 Depth=2
	buffer_load_dword v26, off, s[0:3], s33 offset:160 ; 4-byte Folded Reload
	v_mov_b32_e32 v9, 0x7f800001
	s_waitcnt vmcnt(0)
	v_and_b32_e32 v18, 0x7f, v26
	v_cmp_ne_u32_e32 vcc, s51, v18
	s_and_saveexec_b64 s[90:91], vcc
	s_cbranch_execz .LBB6_5962
; %bb.5961:                             ;   in Loop: Header=BB6_4155 Depth=2
	v_and_b32_e32 v9, 7, v16
	v_lshrrev_b32_e32 v25, 3, v18
	v_cmp_gt_u32_e32 vcc, 8, v18
	v_ffbh_u32_e32 v18, v9
	v_min_u32_e32 v18, 32, v18
	v_subrev_u32_e32 v23, 28, v18
	v_lshlrev_b64 v[23:24], v23, v[16:17]
	v_sub_u32_e32 v16, 29, v18
	v_and_b32_e32 v18, 7, v23
	v_cndmask_b32_e32 v16, v25, v16, vcc
	v_cndmask_b32_e32 v9, v9, v18, vcc
	v_lshlrev_b32_e32 v18, 24, v26
	v_bfrev_b32_e32 v23, 60
	v_lshlrev_b32_e32 v9, 20, v9
	v_and_b32_e32 v18, 0x80000000, v18
	v_lshl_add_u32 v16, v16, 23, v23
	v_or3_b32 v9, v18, v16, v9
.LBB6_5962:                             ;   in Loop: Header=BB6_4155 Depth=2
	s_or_b64 exec, exec, s[90:91]
.LBB6_5963:                             ;   in Loop: Header=BB6_4155 Depth=2
	s_or_b64 exec, exec, s[88:89]
.LBB6_5964:                             ;   in Loop: Header=BB6_4155 Depth=2
	s_or_b64 exec, exec, s[20:21]
	v_add_f32_e32 v16, v17, v9
	v_and_b32_e32 v52, 0x7f800000, v16
	v_cmp_ne_u64_e32 vcc, s[56:57], v[52:53]
                                        ; implicit-def: $vgpr23
	s_and_saveexec_b64 s[20:21], vcc
	s_xor_b64 s[88:89], exec, s[20:21]
	s_cbranch_execz .LBB6_5982
; %bb.5965:                             ;   in Loop: Header=BB6_4155 Depth=2
	v_and_b32_e32 v52, 0x7fffffff, v16
	v_cmp_gt_u64_e32 vcc, s[58:59], v[52:53]
	v_and_b32_sdwa v9, v16, s53 dst_sel:DWORD dst_unused:UNUSED_PAD src0_sel:BYTE_3 src1_sel:DWORD
                                        ; implicit-def: $vgpr23
	s_and_saveexec_b64 s[20:21], vcc
	s_xor_b64 s[90:91], exec, s[20:21]
	s_cbranch_execz .LBB6_5979
; %bb.5966:                             ;   in Loop: Header=BB6_4155 Depth=2
	v_cmp_ne_u32_e32 vcc, 0, v16
	v_mov_b32_e32 v23, 0
	s_and_saveexec_b64 s[92:93], vcc
	s_cbranch_execz .LBB6_5978
; %bb.5967:                             ;   in Loop: Header=BB6_4155 Depth=2
	v_bfe_u32 v23, v16, 23, 8
	v_and_b32_e32 v17, 0x7fffff, v16
	v_cmp_gt_u32_e64 s[20:21], s54, v23
	v_sub_u32_e32 v16, 0x79, v23
	v_cmp_eq_u32_e32 vcc, 0, v23
	v_cndmask_b32_e64 v16, 0, v16, s[20:21]
	v_mov_b32_e32 v24, 0x78
	v_cndmask_b32_e32 v24, v16, v24, vcc
	v_or_b32_e32 v18, 0x800000, v17
	v_add_u32_e32 v16, 20, v24
	v_cndmask_b32_e32 v52, v18, v17, vcc
	v_lshlrev_b64 v[16:17], v16, -1
	v_add_u32_e32 v18, 19, v24
	v_lshlrev_b64 v[29:30], v18, 1
	v_bfi_b32 v17, v17, 0, 0
	v_bfi_b32 v16, v16, 0, v52
	v_cmp_eq_u64_e64 s[20:21], v[16:17], v[29:30]
	v_lshrrev_b64 v[16:17], v24, v[52:53]
	v_mov_b32_e32 v18, v17
	v_mov_b32_e32 v17, v16
	s_and_saveexec_b64 s[94:95], s[20:21]
; %bb.5968:                             ;   in Loop: Header=BB6_4155 Depth=2
	v_bfe_u32 v17, v16, 20, 1
	v_add_co_u32_e64 v17, s[20:21], v16, v17
	v_add_co_u32_e64 v17, s[20:21], -1, v17
; %bb.5969:                             ;   in Loop: Header=BB6_4155 Depth=2
	s_or_b64 exec, exec, s[94:95]
	v_add_u32_e32 v18, 0xffffff81, v23
	v_mov_b32_e32 v23, 0xffffff82
	v_cndmask_b32_e32 v18, v18, v23, vcc
	v_lshrrev_b32_e32 v23, 23, v16
	v_add3_u32 v24, v24, v18, v23
	v_add_u32_e32 v23, 6, v24
	v_and_b32_e32 v17, 0xfffff, v17
	v_add_u32_e32 v52, v17, v16
	v_cmp_ne_u32_e32 vcc, 0, v23
                                        ; implicit-def: $vgpr16_vgpr17
                                        ; implicit-def: $vgpr18
	s_and_saveexec_b64 s[20:21], vcc
	s_xor_b64 s[20:21], exec, s[20:21]
; %bb.5970:                             ;   in Loop: Header=BB6_4155 Depth=2
	v_cmp_lt_u64_e32 vcc, s[60:61], v[52:53]
	v_add_u32_e32 v16, 7, v24
	v_cndmask_b32_e32 v18, v23, v16, vcc
	v_cndmask_b32_e64 v16, 0, 1, vcc
	v_lshrrev_b64 v[16:17], v16, v[52:53]
; %bb.5971:                             ;   in Loop: Header=BB6_4155 Depth=2
	s_andn2_saveexec_b64 s[20:21], s[20:21]
; %bb.5972:                             ;   in Loop: Header=BB6_4155 Depth=2
	v_mov_b32_e32 v16, v52
	v_mov_b32_e32 v17, v53
	v_bfe_u32 v18, v52, 23, 1
; %bb.5973:                             ;   in Loop: Header=BB6_4155 Depth=2
	s_or_b64 exec, exec, s[20:21]
	v_lshrrev_b64 v[16:17], 20, v[16:17]
	v_cmp_gt_i32_e32 vcc, 16, v18
	v_cndmask_b32_e32 v17, 0, v17, vcc
	v_cndmask_b32_e32 v16, 7, v16, vcc
	v_cmp_ne_u64_e32 vcc, 0, v[16:17]
	v_cmp_ne_u32_e64 s[20:21], 0, v18
	s_or_b64 s[20:21], s[20:21], vcc
                                        ; implicit-def: $vgpr23
	s_and_saveexec_b64 s[94:95], s[20:21]
	s_xor_b64 s[20:21], exec, s[94:95]
; %bb.5974:                             ;   in Loop: Header=BB6_4155 Depth=2
	v_min_i32_e32 v17, 15, v18
	v_lshl_or_b32 v9, v17, 3, v9
	v_and_or_b32 v23, v16, 7, v9
                                        ; implicit-def: $vgpr9
; %bb.5975:                             ;   in Loop: Header=BB6_4155 Depth=2
	s_andn2_saveexec_b64 s[20:21], s[20:21]
; %bb.5976:                             ;   in Loop: Header=BB6_4155 Depth=2
	v_mov_b32_e32 v23, v9
; %bb.5977:                             ;   in Loop: Header=BB6_4155 Depth=2
	s_or_b64 exec, exec, s[20:21]
.LBB6_5978:                             ;   in Loop: Header=BB6_4155 Depth=2
	s_or_b64 exec, exec, s[92:93]
                                        ; implicit-def: $vgpr9
.LBB6_5979:                             ;   in Loop: Header=BB6_4155 Depth=2
	s_andn2_saveexec_b64 s[20:21], s[90:91]
; %bb.5980:                             ;   in Loop: Header=BB6_4155 Depth=2
	v_or_b32_e32 v23, 0x7e, v9
; %bb.5981:                             ;   in Loop: Header=BB6_4155 Depth=2
	s_or_b64 exec, exec, s[20:21]
                                        ; implicit-def: $vgpr16
.LBB6_5982:                             ;   in Loop: Header=BB6_4155 Depth=2
	s_andn2_saveexec_b64 s[20:21], s[88:89]
; %bb.5983:                             ;   in Loop: Header=BB6_4155 Depth=2
	v_or_b32_sdwa v23, v16, s51 dst_sel:DWORD dst_unused:UNUSED_PAD src0_sel:BYTE_3 src1_sel:DWORD
; %bb.5984:                             ;   in Loop: Header=BB6_4155 Depth=2
	s_or_b64 exec, exec, s[20:21]
	v_and_b32_e32 v16, 0xff, v33
	v_cmp_ne_u16_e32 vcc, 0, v16
	v_mov_b32_e32 v9, 0
	v_mov_b32_e32 v17, 0
	s_and_saveexec_b64 s[20:21], vcc
	s_cbranch_execz .LBB6_5990
; %bb.5985:                             ;   in Loop: Header=BB6_4155 Depth=2
	v_cmp_ne_u16_e32 vcc, s53, v16
	v_bfrev_b32_e32 v17, 1
	s_and_saveexec_b64 s[88:89], vcc
	s_cbranch_execz .LBB6_5989
; %bb.5986:                             ;   in Loop: Header=BB6_4155 Depth=2
	v_and_b32_e32 v18, 0x7f, v33
	v_cmp_ne_u32_e32 vcc, s51, v18
	v_mov_b32_e32 v17, 0x7f800001
	s_and_saveexec_b64 s[90:91], vcc
	s_cbranch_execz .LBB6_5988
; %bb.5987:                             ;   in Loop: Header=BB6_4155 Depth=2
	v_and_b32_e32 v24, 7, v16
	v_ffbh_u32_e32 v17, v24
	v_lshrrev_b32_e32 v25, 3, v18
	v_cmp_gt_u32_e32 vcc, 8, v18
	v_min_u32_e32 v18, 32, v17
	v_subrev_u32_e32 v17, 28, v18
	v_lshlrev_b64 v[16:17], v17, v[16:17]
	v_sub_u32_e32 v17, 29, v18
	v_and_b32_e32 v16, 7, v16
	v_cndmask_b32_e32 v17, v25, v17, vcc
	v_cndmask_b32_e32 v16, v24, v16, vcc
	v_lshlrev_b32_e32 v18, 24, v33
	v_bfrev_b32_e32 v24, 60
	v_lshlrev_b32_e32 v16, 20, v16
	v_and_b32_e32 v18, 0x80000000, v18
	v_lshl_add_u32 v17, v17, 23, v24
	v_or3_b32 v17, v18, v17, v16
.LBB6_5988:                             ;   in Loop: Header=BB6_4155 Depth=2
	s_or_b64 exec, exec, s[90:91]
.LBB6_5989:                             ;   in Loop: Header=BB6_4155 Depth=2
	s_or_b64 exec, exec, s[88:89]
.LBB6_5990:                             ;   in Loop: Header=BB6_4155 Depth=2
	s_or_b64 exec, exec, s[20:21]
	v_and_b32_e32 v16, 0xff, v32
	v_cmp_ne_u16_e32 vcc, 0, v16
	s_and_saveexec_b64 s[20:21], vcc
	s_cbranch_execz .LBB6_5996
; %bb.5991:                             ;   in Loop: Header=BB6_4155 Depth=2
	v_cmp_ne_u16_e32 vcc, s53, v16
	v_bfrev_b32_e32 v9, 1
	s_and_saveexec_b64 s[88:89], vcc
	s_cbranch_execz .LBB6_5995
; %bb.5992:                             ;   in Loop: Header=BB6_4155 Depth=2
	v_and_b32_e32 v18, 0x7f, v32
	v_cmp_ne_u32_e32 vcc, s51, v18
	v_mov_b32_e32 v9, 0x7f800001
	s_and_saveexec_b64 s[90:91], vcc
	s_cbranch_execz .LBB6_5994
; %bb.5993:                             ;   in Loop: Header=BB6_4155 Depth=2
	v_and_b32_e32 v9, 7, v16
	v_lshrrev_b32_e32 v29, 3, v18
	v_cmp_gt_u32_e32 vcc, 8, v18
	v_ffbh_u32_e32 v18, v9
	v_min_u32_e32 v18, 32, v18
	v_subrev_u32_e32 v24, 28, v18
	v_lshlrev_b64 v[24:25], v24, v[16:17]
	v_sub_u32_e32 v16, 29, v18
	v_and_b32_e32 v18, 7, v24
	v_cndmask_b32_e32 v16, v29, v16, vcc
	v_cndmask_b32_e32 v9, v9, v18, vcc
	v_lshlrev_b32_e32 v18, 24, v32
	v_bfrev_b32_e32 v24, 60
	v_lshlrev_b32_e32 v9, 20, v9
	v_and_b32_e32 v18, 0x80000000, v18
	v_lshl_add_u32 v16, v16, 23, v24
	v_or3_b32 v9, v18, v16, v9
.LBB6_5994:                             ;   in Loop: Header=BB6_4155 Depth=2
	s_or_b64 exec, exec, s[90:91]
.LBB6_5995:                             ;   in Loop: Header=BB6_4155 Depth=2
	s_or_b64 exec, exec, s[88:89]
.LBB6_5996:                             ;   in Loop: Header=BB6_4155 Depth=2
	s_or_b64 exec, exec, s[20:21]
	v_add_f32_e32 v16, v17, v9
	v_and_b32_e32 v52, 0x7f800000, v16
	v_cmp_ne_u64_e32 vcc, s[56:57], v[52:53]
                                        ; implicit-def: $vgpr17
	s_and_saveexec_b64 s[20:21], vcc
	s_xor_b64 s[88:89], exec, s[20:21]
	s_cbranch_execz .LBB6_6014
; %bb.5997:                             ;   in Loop: Header=BB6_4155 Depth=2
	v_and_b32_e32 v52, 0x7fffffff, v16
	v_cmp_gt_u64_e32 vcc, s[58:59], v[52:53]
	v_and_b32_sdwa v9, v16, s53 dst_sel:DWORD dst_unused:UNUSED_PAD src0_sel:BYTE_3 src1_sel:DWORD
                                        ; implicit-def: $vgpr17
	s_and_saveexec_b64 s[20:21], vcc
	s_xor_b64 s[90:91], exec, s[20:21]
	s_cbranch_execz .LBB6_6011
; %bb.5998:                             ;   in Loop: Header=BB6_4155 Depth=2
	v_cmp_ne_u32_e32 vcc, 0, v16
	v_mov_b32_e32 v17, 0
	s_and_saveexec_b64 s[92:93], vcc
	s_cbranch_execz .LBB6_6010
; %bb.5999:                             ;   in Loop: Header=BB6_4155 Depth=2
	v_bfe_u32 v24, v16, 23, 8
	v_and_b32_e32 v17, 0x7fffff, v16
	v_cmp_gt_u32_e64 s[20:21], s54, v24
	v_sub_u32_e32 v16, 0x79, v24
	v_cmp_eq_u32_e32 vcc, 0, v24
	v_cndmask_b32_e64 v16, 0, v16, s[20:21]
	v_mov_b32_e32 v25, 0x78
	v_cndmask_b32_e32 v25, v16, v25, vcc
	v_or_b32_e32 v18, 0x800000, v17
	v_add_u32_e32 v16, 20, v25
	v_cndmask_b32_e32 v52, v18, v17, vcc
	v_lshlrev_b64 v[16:17], v16, -1
	v_add_u32_e32 v18, 19, v25
	v_lshlrev_b64 v[29:30], v18, 1
	v_bfi_b32 v17, v17, 0, 0
	v_bfi_b32 v16, v16, 0, v52
	v_cmp_eq_u64_e64 s[20:21], v[16:17], v[29:30]
	v_lshrrev_b64 v[16:17], v25, v[52:53]
	v_mov_b32_e32 v18, v17
	v_mov_b32_e32 v17, v16
	s_and_saveexec_b64 s[94:95], s[20:21]
; %bb.6000:                             ;   in Loop: Header=BB6_4155 Depth=2
	v_bfe_u32 v17, v16, 20, 1
	v_add_co_u32_e64 v17, s[20:21], v16, v17
	v_add_co_u32_e64 v17, s[20:21], -1, v17
; %bb.6001:                             ;   in Loop: Header=BB6_4155 Depth=2
	s_or_b64 exec, exec, s[94:95]
	v_add_u32_e32 v18, 0xffffff81, v24
	v_mov_b32_e32 v24, 0xffffff82
	v_cndmask_b32_e32 v18, v18, v24, vcc
	v_lshrrev_b32_e32 v24, 23, v16
	v_add3_u32 v25, v25, v18, v24
	v_add_u32_e32 v24, 6, v25
	v_and_b32_e32 v17, 0xfffff, v17
	v_add_u32_e32 v52, v17, v16
	v_cmp_ne_u32_e32 vcc, 0, v24
                                        ; implicit-def: $vgpr16_vgpr17
                                        ; implicit-def: $vgpr18
	s_and_saveexec_b64 s[20:21], vcc
	s_xor_b64 s[20:21], exec, s[20:21]
; %bb.6002:                             ;   in Loop: Header=BB6_4155 Depth=2
	v_cmp_lt_u64_e32 vcc, s[60:61], v[52:53]
	v_add_u32_e32 v16, 7, v25
	v_cndmask_b32_e32 v18, v24, v16, vcc
	v_cndmask_b32_e64 v16, 0, 1, vcc
	v_lshrrev_b64 v[16:17], v16, v[52:53]
; %bb.6003:                             ;   in Loop: Header=BB6_4155 Depth=2
	s_andn2_saveexec_b64 s[20:21], s[20:21]
; %bb.6004:                             ;   in Loop: Header=BB6_4155 Depth=2
	v_mov_b32_e32 v16, v52
	v_mov_b32_e32 v17, v53
	v_bfe_u32 v18, v52, 23, 1
; %bb.6005:                             ;   in Loop: Header=BB6_4155 Depth=2
	s_or_b64 exec, exec, s[20:21]
	v_lshrrev_b64 v[16:17], 20, v[16:17]
	v_cmp_gt_i32_e32 vcc, 16, v18
	v_cndmask_b32_e32 v17, 0, v17, vcc
	v_cndmask_b32_e32 v16, 7, v16, vcc
	v_cmp_ne_u64_e32 vcc, 0, v[16:17]
	v_cmp_ne_u32_e64 s[20:21], 0, v18
	s_or_b64 s[20:21], s[20:21], vcc
                                        ; implicit-def: $vgpr17
	s_and_saveexec_b64 s[94:95], s[20:21]
	s_xor_b64 s[20:21], exec, s[94:95]
; %bb.6006:                             ;   in Loop: Header=BB6_4155 Depth=2
	v_min_i32_e32 v17, 15, v18
	v_lshl_or_b32 v9, v17, 3, v9
	v_and_or_b32 v17, v16, 7, v9
                                        ; implicit-def: $vgpr9
; %bb.6007:                             ;   in Loop: Header=BB6_4155 Depth=2
	s_andn2_saveexec_b64 s[20:21], s[20:21]
; %bb.6008:                             ;   in Loop: Header=BB6_4155 Depth=2
	v_mov_b32_e32 v17, v9
; %bb.6009:                             ;   in Loop: Header=BB6_4155 Depth=2
	s_or_b64 exec, exec, s[20:21]
.LBB6_6010:                             ;   in Loop: Header=BB6_4155 Depth=2
	s_or_b64 exec, exec, s[92:93]
                                        ; implicit-def: $vgpr9
.LBB6_6011:                             ;   in Loop: Header=BB6_4155 Depth=2
	s_andn2_saveexec_b64 s[20:21], s[90:91]
; %bb.6012:                             ;   in Loop: Header=BB6_4155 Depth=2
	v_or_b32_e32 v17, 0x7e, v9
; %bb.6013:                             ;   in Loop: Header=BB6_4155 Depth=2
	s_or_b64 exec, exec, s[20:21]
                                        ; implicit-def: $vgpr16
.LBB6_6014:                             ;   in Loop: Header=BB6_4155 Depth=2
	s_andn2_saveexec_b64 s[20:21], s[88:89]
	s_cbranch_execz .LBB6_4154
; %bb.6015:                             ;   in Loop: Header=BB6_4155 Depth=2
	v_or_b32_sdwa v17, v16, s51 dst_sel:DWORD dst_unused:UNUSED_PAD src0_sel:BYTE_3 src1_sel:DWORD
	s_branch .LBB6_4154
.LBB6_6016:                             ;   in Loop: Header=BB6_49 Depth=1
	s_or_b64 exec, exec, s[78:79]
	buffer_load_dword v7, off, s[0:3], s33 offset:180 ; 4-byte Folded Reload
	buffer_load_dword v3, off, s[0:3], s33 offset:184 ; 4-byte Folded Reload
	;; [unrolled: 1-line block ×4, first 2 shown]
.LBB6_6017:                             ;   in Loop: Header=BB6_49 Depth=1
	s_or_b64 exec, exec, s[76:77]
	s_waitcnt vmcnt(0)
	v_and_b32_e32 v1, 0xfffff800, v3
	v_cmp_ne_u32_e32 vcc, v3, v1
	s_and_b64 exec, exec, vcc
	s_cbranch_execz .LBB6_6084
; %bb.6018:                             ;   in Loop: Header=BB6_49 Depth=1
	v_lshlrev_b32_e32 v0, 6, v2
	v_sub_u32_e32 v0, v4, v0
	v_lshlrev_b32_e32 v2, 6, v6
	v_sub_u32_e32 v2, v0, v2
	v_and_b32_e32 v0, 0x7ff, v3
	v_sub_u32_e32 v0, v0, v2
	v_cmp_lt_i32_e32 vcc, 0, v0
	s_and_b64 exec, exec, vcc
	s_cbranch_execz .LBB6_6084
; %bb.6019:                             ;   in Loop: Header=BB6_49 Depth=1
	s_trap 2
	ds_read_b128 v[3:6], v0
	v_add3_u32 v7, v1, v7, v2
	ds_read_b64 v[1:2], v0
	v_ashrrev_i32_e32 v8, 31, v7
	s_mov_b64 s[76:77], 0
	s_waitcnt lgkmcnt(0)
	v_add_co_u32_e32 v10, vcc, v3, v7
	v_addc_co_u32_e32 v11, vcc, v4, v8, vcc
	v_add_co_u32_e32 v12, vcc, v5, v7
	v_addc_co_u32_e32 v13, vcc, v6, v8, vcc
	v_add_co_u32_e32 v14, vcc, v1, v7
	v_addc_co_u32_e32 v15, vcc, v2, v8, vcc
	s_branch .LBB6_6021
.LBB6_6020:                             ;   in Loop: Header=BB6_6021 Depth=2
	s_or_b64 exec, exec, s[20:21]
	buffer_load_dword v1, off, s[0:3], s33 offset:340 ; 4-byte Folded Reload
	s_waitcnt vmcnt(0)
	v_add_co_u32_e32 v10, vcc, v10, v1
	v_addc_co_u32_e32 v11, vcc, 0, v11, vcc
	v_add_co_u32_e32 v12, vcc, v12, v1
	v_addc_co_u32_e32 v13, vcc, 0, v13, vcc
	v_sub_u32_e32 v0, v0, v1
	v_cmp_gt_i32_e32 vcc, 1, v0
	flat_store_byte v[14:15], v2 glc slc
	s_or_b64 s[76:77], vcc, s[76:77]
	v_add_co_u32_e32 v14, vcc, v14, v1
	v_addc_co_u32_e32 v15, vcc, 0, v15, vcc
	s_andn2_b64 exec, exec, s[76:77]
	s_cbranch_execz .LBB6_6084
.LBB6_6021:                             ;   Parent Loop BB6_49 Depth=1
                                        ; =>  This Inner Loop Header: Depth=2
	s_trap 2
	ds_read_b64 v[16:17], v0
	s_waitcnt lgkmcnt(0)
	v_cmp_eq_u32_sdwa s[78:79], v16, v53 src0_sel:BYTE_0 src1_sel:DWORD
	v_readfirstlane_b32 s20, v16
	s_and_b64 vcc, exec, s[78:79]
	v_readfirstlane_b32 s21, v17
	s_cbranch_vccnz .LBB6_6025
; %bb.6022:                             ;   in Loop: Header=BB6_6021 Depth=2
	v_cmp_eq_u32_sdwa s[78:79], v16, s53 src0_sel:BYTE_0 src1_sel:DWORD
	s_and_b64 vcc, exec, s[78:79]
	s_brev_b32 s90, 1
	s_cbranch_vccnz .LBB6_6026
; %bb.6023:                             ;   in Loop: Header=BB6_6021 Depth=2
	s_and_b32 s78, s20, 0x7f
	s_cmpk_eq_i32 s78, 0x7f
	s_mov_b32 s90, 0x7f800001
	s_cbranch_scc1 .LBB6_6026
; %bb.6024:                             ;   in Loop: Header=BB6_6021 Depth=2
	s_and_b32 s79, s20, 7
	s_flbit_i32_b32 s79, s79
	s_min_u32 s79, s79, 32
	s_lshr_b32 s88, s78, 3
	s_sub_i32 s89, s79, 28
	s_sub_i32 s79, 29, s79
	s_cmp_lt_u32 s78, 8
	s_cselect_b32 s78, s89, 0
	s_cselect_b32 s88, s79, s88
	s_lshl_b64 s[78:79], s[20:21], s78
	s_lshl_b32 s21, s78, 20
	s_lshl_b32 s20, s20, 24
	;; [unrolled: 1-line block ×3, first 2 shown]
	s_and_b32 s20, s20, 0x80000000
	s_add_i32 s78, s78, 0x3c000000
	s_and_b32 s21, s21, 0x700000
	s_or_b32 s20, s20, s78
	s_or_b32 s90, s20, s21
	s_branch .LBB6_6026
.LBB6_6025:                             ;   in Loop: Header=BB6_6021 Depth=2
	s_mov_b32 s90, 0
.LBB6_6026:                             ;   in Loop: Header=BB6_6021 Depth=2
	flat_load_ubyte v1, v[10:11] glc slc
	v_mov_b32_e32 v2, 0
	s_waitcnt vmcnt(0) lgkmcnt(0)
	v_cmp_ne_u16_e32 vcc, 0, v1
	s_and_saveexec_b64 s[20:21], vcc
	s_cbranch_execz .LBB6_6032
; %bb.6027:                             ;   in Loop: Header=BB6_6021 Depth=2
	v_cmp_ne_u16_e32 vcc, s53, v1
	v_bfrev_b32_e32 v2, 1
	s_and_saveexec_b64 s[78:79], vcc
	s_cbranch_execz .LBB6_6031
; %bb.6028:                             ;   in Loop: Header=BB6_6021 Depth=2
	v_and_b32_e32 v16, 0xffff, v1
	v_and_b32_e32 v3, 0x7f, v16
	v_cmp_ne_u32_e32 vcc, s51, v3
	v_mov_b32_e32 v2, 0x7f800001
	s_and_saveexec_b64 s[88:89], vcc
	s_cbranch_execz .LBB6_6030
; %bb.6029:                             ;   in Loop: Header=BB6_6021 Depth=2
	v_and_b32_e32 v4, 7, v16
	v_ffbh_u32_e32 v2, v4
	v_min_u32_e32 v6, 32, v2
	v_subrev_u32_e32 v2, 28, v6
	v_lshrrev_b32_e32 v5, 3, v3
	v_cmp_gt_u32_e32 vcc, 8, v3
	v_lshlrev_b64 v[2:3], v2, v[16:17]
	v_sub_u32_e32 v3, 29, v6
	v_and_b32_e32 v2, 7, v2
	v_cndmask_b32_e32 v3, v5, v3, vcc
	v_cndmask_b32_e32 v2, v4, v2, vcc
	v_lshlrev_b32_e32 v1, 24, v1
	v_bfrev_b32_e32 v4, 60
	v_lshlrev_b32_e32 v2, 20, v2
	v_and_b32_e32 v1, 0x80000000, v1
	v_lshl_add_u32 v3, v3, 23, v4
	v_or3_b32 v2, v1, v3, v2
.LBB6_6030:                             ;   in Loop: Header=BB6_6021 Depth=2
	s_or_b64 exec, exec, s[88:89]
.LBB6_6031:                             ;   in Loop: Header=BB6_6021 Depth=2
	s_or_b64 exec, exec, s[78:79]
.LBB6_6032:                             ;   in Loop: Header=BB6_6021 Depth=2
	s_or_b64 exec, exec, s[20:21]
	v_mul_f32_e32 v3, s90, v2
	v_and_b32_e32 v52, 0x7f800000, v3
	v_cmp_ne_u64_e32 vcc, s[56:57], v[52:53]
                                        ; implicit-def: $vgpr2
	s_and_saveexec_b64 s[20:21], vcc
	s_xor_b64 s[78:79], exec, s[20:21]
	s_cbranch_execz .LBB6_6050
; %bb.6033:                             ;   in Loop: Header=BB6_6021 Depth=2
	v_and_b32_e32 v52, 0x7fffffff, v3
	v_cmp_gt_u64_e32 vcc, s[58:59], v[52:53]
	v_and_b32_sdwa v1, v3, s53 dst_sel:DWORD dst_unused:UNUSED_PAD src0_sel:BYTE_3 src1_sel:DWORD
                                        ; implicit-def: $vgpr2
	s_and_saveexec_b64 s[20:21], vcc
	s_xor_b64 s[88:89], exec, s[20:21]
	s_cbranch_execz .LBB6_6047
; %bb.6034:                             ;   in Loop: Header=BB6_6021 Depth=2
	v_cmp_ne_u32_e32 vcc, 0, v3
	v_mov_b32_e32 v2, 0
	s_and_saveexec_b64 s[90:91], vcc
	s_cbranch_execz .LBB6_6046
; %bb.6035:                             ;   in Loop: Header=BB6_6021 Depth=2
	v_bfe_u32 v2, v3, 23, 8
	v_and_b32_e32 v4, 0x7fffff, v3
	v_cmp_gt_u32_e64 s[20:21], s54, v2
	v_sub_u32_e32 v3, 0x79, v2
	v_cmp_eq_u32_e32 vcc, 0, v2
	v_cndmask_b32_e64 v3, 0, v3, s[20:21]
	v_mov_b32_e32 v6, 0x78
	v_or_b32_e32 v5, 0x800000, v4
	v_cndmask_b32_e32 v3, v3, v6, vcc
	v_cndmask_b32_e32 v52, v5, v4, vcc
	v_add_u32_e32 v4, 20, v3
	v_lshlrev_b64 v[4:5], v4, -1
	v_add_u32_e32 v6, 19, v3
	v_lshlrev_b64 v[6:7], v6, 1
	v_lshrrev_b64 v[16:17], v3, v[52:53]
	v_bfi_b32 v5, v5, 0, 0
	v_bfi_b32 v4, v4, 0, v52
	v_cmp_eq_u64_e64 s[20:21], v[4:5], v[6:7]
	v_mov_b32_e32 v18, v17
	v_mov_b32_e32 v17, v16
	s_and_saveexec_b64 s[92:93], s[20:21]
; %bb.6036:                             ;   in Loop: Header=BB6_6021 Depth=2
	v_bfe_u32 v4, v16, 20, 1
	v_add_co_u32_e64 v4, s[20:21], v16, v4
	v_add_co_u32_e64 v17, s[20:21], -1, v4
; %bb.6037:                             ;   in Loop: Header=BB6_6021 Depth=2
	s_or_b64 exec, exec, s[92:93]
	v_add_u32_e32 v2, 0xffffff81, v2
	v_mov_b32_e32 v4, 0xffffff82
	v_cndmask_b32_e32 v2, v2, v4, vcc
	v_lshrrev_b32_e32 v4, 23, v16
	v_add3_u32 v4, v3, v2, v4
	v_add_u32_e32 v2, 6, v4
	v_and_b32_e32 v3, 0xfffff, v17
	v_add_u32_e32 v52, v3, v16
	v_cmp_ne_u32_e32 vcc, 0, v2
                                        ; implicit-def: $vgpr16_vgpr17
                                        ; implicit-def: $vgpr3
	s_and_saveexec_b64 s[20:21], vcc
	s_xor_b64 s[20:21], exec, s[20:21]
; %bb.6038:                             ;   in Loop: Header=BB6_6021 Depth=2
	v_cmp_lt_u64_e32 vcc, s[60:61], v[52:53]
	v_add_u32_e32 v3, 7, v4
	v_cndmask_b32_e32 v3, v2, v3, vcc
	v_cndmask_b32_e64 v2, 0, 1, vcc
	v_lshrrev_b64 v[16:17], v2, v[52:53]
; %bb.6039:                             ;   in Loop: Header=BB6_6021 Depth=2
	s_andn2_saveexec_b64 s[20:21], s[20:21]
; %bb.6040:                             ;   in Loop: Header=BB6_6021 Depth=2
	v_mov_b32_e32 v16, v52
	v_mov_b32_e32 v17, v53
	v_bfe_u32 v3, v52, 23, 1
; %bb.6041:                             ;   in Loop: Header=BB6_6021 Depth=2
	s_or_b64 exec, exec, s[20:21]
	v_lshrrev_b64 v[4:5], 20, v[16:17]
	v_cmp_gt_i32_e32 vcc, 16, v3
	v_cndmask_b32_e32 v17, 0, v5, vcc
	v_cndmask_b32_e32 v16, 7, v4, vcc
	v_cmp_ne_u64_e32 vcc, 0, v[16:17]
	v_cmp_ne_u32_e64 s[20:21], 0, v3
	s_or_b64 s[20:21], s[20:21], vcc
                                        ; implicit-def: $vgpr2
	s_and_saveexec_b64 s[92:93], s[20:21]
	s_xor_b64 s[20:21], exec, s[92:93]
; %bb.6042:                             ;   in Loop: Header=BB6_6021 Depth=2
	v_min_i32_e32 v2, 15, v3
	v_lshl_or_b32 v1, v2, 3, v1
	v_and_or_b32 v2, v16, 7, v1
                                        ; implicit-def: $vgpr1
; %bb.6043:                             ;   in Loop: Header=BB6_6021 Depth=2
	s_andn2_saveexec_b64 s[20:21], s[20:21]
; %bb.6044:                             ;   in Loop: Header=BB6_6021 Depth=2
	v_mov_b32_e32 v2, v1
; %bb.6045:                             ;   in Loop: Header=BB6_6021 Depth=2
	s_or_b64 exec, exec, s[20:21]
.LBB6_6046:                             ;   in Loop: Header=BB6_6021 Depth=2
	s_or_b64 exec, exec, s[90:91]
                                        ; implicit-def: $vgpr1
.LBB6_6047:                             ;   in Loop: Header=BB6_6021 Depth=2
	s_andn2_saveexec_b64 s[20:21], s[88:89]
; %bb.6048:                             ;   in Loop: Header=BB6_6021 Depth=2
	v_or_b32_e32 v2, 0x7e, v1
; %bb.6049:                             ;   in Loop: Header=BB6_6021 Depth=2
	s_or_b64 exec, exec, s[20:21]
                                        ; implicit-def: $vgpr3
.LBB6_6050:                             ;   in Loop: Header=BB6_6021 Depth=2
	s_andn2_saveexec_b64 s[20:21], s[78:79]
; %bb.6051:                             ;   in Loop: Header=BB6_6021 Depth=2
	v_or_b32_sdwa v2, v3, s51 dst_sel:DWORD dst_unused:UNUSED_PAD src0_sel:BYTE_3 src1_sel:DWORD
; %bb.6052:                             ;   in Loop: Header=BB6_6021 Depth=2
	s_or_b64 exec, exec, s[20:21]
	flat_load_ubyte v3, v[12:13] glc slc
	v_and_b32_e32 v16, 0xff, v2
	v_cmp_ne_u16_e32 vcc, 0, v16
	v_mov_b32_e32 v1, 0
	v_mov_b32_e32 v4, 0
	s_and_saveexec_b64 s[20:21], vcc
	s_cbranch_execz .LBB6_6058
; %bb.6053:                             ;   in Loop: Header=BB6_6021 Depth=2
	v_cmp_ne_u16_e32 vcc, s53, v16
	v_bfrev_b32_e32 v4, 1
	s_and_saveexec_b64 s[78:79], vcc
	s_cbranch_execz .LBB6_6057
; %bb.6054:                             ;   in Loop: Header=BB6_6021 Depth=2
	v_and_b32_e32 v5, 0x7f, v2
	v_cmp_ne_u32_e32 vcc, s51, v5
	v_mov_b32_e32 v4, 0x7f800001
	s_and_saveexec_b64 s[88:89], vcc
	s_cbranch_execz .LBB6_6056
; %bb.6055:                             ;   in Loop: Header=BB6_6021 Depth=2
	v_and_b32_e32 v6, 7, v16
	v_ffbh_u32_e32 v4, v6
	v_min_u32_e32 v8, 32, v4
	v_subrev_u32_e32 v4, 28, v8
	v_lshrrev_b32_e32 v7, 3, v5
	v_cmp_gt_u32_e32 vcc, 8, v5
	v_lshlrev_b64 v[4:5], v4, v[16:17]
	v_sub_u32_e32 v5, 29, v8
	v_and_b32_e32 v4, 7, v4
	v_cndmask_b32_e32 v5, v7, v5, vcc
	v_cndmask_b32_e32 v4, v6, v4, vcc
	v_lshlrev_b32_e32 v2, 24, v2
	v_bfrev_b32_e32 v6, 60
	v_lshlrev_b32_e32 v4, 20, v4
	v_and_b32_e32 v2, 0x80000000, v2
	v_lshl_add_u32 v5, v5, 23, v6
	v_or3_b32 v4, v2, v5, v4
.LBB6_6056:                             ;   in Loop: Header=BB6_6021 Depth=2
	s_or_b64 exec, exec, s[88:89]
.LBB6_6057:                             ;   in Loop: Header=BB6_6021 Depth=2
	s_or_b64 exec, exec, s[78:79]
.LBB6_6058:                             ;   in Loop: Header=BB6_6021 Depth=2
	s_or_b64 exec, exec, s[20:21]
	s_waitcnt vmcnt(0) lgkmcnt(0)
	v_and_b32_e32 v16, 0xff, v3
	v_cmp_ne_u16_e32 vcc, 0, v16
	s_and_saveexec_b64 s[20:21], vcc
	s_cbranch_execz .LBB6_6064
; %bb.6059:                             ;   in Loop: Header=BB6_6021 Depth=2
	v_cmp_ne_u16_e32 vcc, s53, v16
	v_bfrev_b32_e32 v1, 1
	s_and_saveexec_b64 s[78:79], vcc
	s_cbranch_execz .LBB6_6063
; %bb.6060:                             ;   in Loop: Header=BB6_6021 Depth=2
	v_and_b32_e32 v2, 0x7f, v3
	v_cmp_ne_u32_e32 vcc, s51, v2
	v_mov_b32_e32 v1, 0x7f800001
	s_and_saveexec_b64 s[88:89], vcc
	s_cbranch_execz .LBB6_6062
; %bb.6061:                             ;   in Loop: Header=BB6_6021 Depth=2
	v_and_b32_e32 v5, 7, v16
	v_lshlrev_b32_e32 v1, 24, v3
	v_and_b32_e32 v3, 0x80000000, v1
	v_ffbh_u32_e32 v1, v5
	v_min_u32_e32 v7, 32, v1
	v_subrev_u32_e32 v1, 28, v7
	v_lshrrev_b32_e32 v6, 3, v2
	v_cmp_gt_u32_e32 vcc, 8, v2
	v_lshlrev_b64 v[1:2], v1, v[16:17]
	v_sub_u32_e32 v2, 29, v7
	v_and_b32_e32 v1, 7, v1
	v_cndmask_b32_e32 v2, v6, v2, vcc
	v_cndmask_b32_e32 v1, v5, v1, vcc
	v_bfrev_b32_e32 v5, 60
	v_lshlrev_b32_e32 v1, 20, v1
	v_lshl_add_u32 v2, v2, 23, v5
	v_or3_b32 v1, v3, v2, v1
.LBB6_6062:                             ;   in Loop: Header=BB6_6021 Depth=2
	s_or_b64 exec, exec, s[88:89]
.LBB6_6063:                             ;   in Loop: Header=BB6_6021 Depth=2
	s_or_b64 exec, exec, s[78:79]
.LBB6_6064:                             ;   in Loop: Header=BB6_6021 Depth=2
	s_or_b64 exec, exec, s[20:21]
	v_add_f32_e32 v3, v4, v1
	v_and_b32_e32 v52, 0x7f800000, v3
	v_cmp_ne_u64_e32 vcc, s[56:57], v[52:53]
                                        ; implicit-def: $vgpr2
	s_and_saveexec_b64 s[20:21], vcc
	s_xor_b64 s[78:79], exec, s[20:21]
	s_cbranch_execz .LBB6_6082
; %bb.6065:                             ;   in Loop: Header=BB6_6021 Depth=2
	v_and_b32_e32 v52, 0x7fffffff, v3
	v_cmp_gt_u64_e32 vcc, s[58:59], v[52:53]
	v_and_b32_sdwa v1, v3, s53 dst_sel:DWORD dst_unused:UNUSED_PAD src0_sel:BYTE_3 src1_sel:DWORD
                                        ; implicit-def: $vgpr2
	s_and_saveexec_b64 s[20:21], vcc
	s_xor_b64 s[88:89], exec, s[20:21]
	s_cbranch_execz .LBB6_6079
; %bb.6066:                             ;   in Loop: Header=BB6_6021 Depth=2
	v_cmp_ne_u32_e32 vcc, 0, v3
	v_mov_b32_e32 v2, 0
	s_and_saveexec_b64 s[90:91], vcc
	s_cbranch_execz .LBB6_6078
; %bb.6067:                             ;   in Loop: Header=BB6_6021 Depth=2
	v_bfe_u32 v2, v3, 23, 8
	v_and_b32_e32 v4, 0x7fffff, v3
	v_cmp_gt_u32_e64 s[20:21], s54, v2
	v_sub_u32_e32 v3, 0x79, v2
	v_cmp_eq_u32_e32 vcc, 0, v2
	v_cndmask_b32_e64 v3, 0, v3, s[20:21]
	v_mov_b32_e32 v6, 0x78
	v_or_b32_e32 v5, 0x800000, v4
	v_cndmask_b32_e32 v3, v3, v6, vcc
	v_cndmask_b32_e32 v52, v5, v4, vcc
	v_add_u32_e32 v4, 20, v3
	v_lshlrev_b64 v[4:5], v4, -1
	v_add_u32_e32 v6, 19, v3
	v_lshlrev_b64 v[6:7], v6, 1
	v_lshrrev_b64 v[16:17], v3, v[52:53]
	v_bfi_b32 v5, v5, 0, 0
	v_bfi_b32 v4, v4, 0, v52
	v_cmp_eq_u64_e64 s[20:21], v[4:5], v[6:7]
	v_mov_b32_e32 v18, v17
	v_mov_b32_e32 v17, v16
	s_and_saveexec_b64 s[92:93], s[20:21]
; %bb.6068:                             ;   in Loop: Header=BB6_6021 Depth=2
	v_bfe_u32 v4, v16, 20, 1
	v_add_co_u32_e64 v4, s[20:21], v16, v4
	v_add_co_u32_e64 v17, s[20:21], -1, v4
; %bb.6069:                             ;   in Loop: Header=BB6_6021 Depth=2
	s_or_b64 exec, exec, s[92:93]
	v_add_u32_e32 v2, 0xffffff81, v2
	v_mov_b32_e32 v4, 0xffffff82
	v_cndmask_b32_e32 v2, v2, v4, vcc
	v_lshrrev_b32_e32 v4, 23, v16
	v_add3_u32 v4, v3, v2, v4
	v_add_u32_e32 v2, 6, v4
	v_and_b32_e32 v3, 0xfffff, v17
	v_add_u32_e32 v52, v3, v16
	v_cmp_ne_u32_e32 vcc, 0, v2
                                        ; implicit-def: $vgpr16_vgpr17
                                        ; implicit-def: $vgpr3
	s_and_saveexec_b64 s[20:21], vcc
	s_xor_b64 s[20:21], exec, s[20:21]
; %bb.6070:                             ;   in Loop: Header=BB6_6021 Depth=2
	v_cmp_lt_u64_e32 vcc, s[60:61], v[52:53]
	v_add_u32_e32 v3, 7, v4
	v_cndmask_b32_e32 v3, v2, v3, vcc
	v_cndmask_b32_e64 v2, 0, 1, vcc
	v_lshrrev_b64 v[16:17], v2, v[52:53]
; %bb.6071:                             ;   in Loop: Header=BB6_6021 Depth=2
	s_andn2_saveexec_b64 s[20:21], s[20:21]
; %bb.6072:                             ;   in Loop: Header=BB6_6021 Depth=2
	v_mov_b32_e32 v16, v52
	v_mov_b32_e32 v17, v53
	v_bfe_u32 v3, v52, 23, 1
; %bb.6073:                             ;   in Loop: Header=BB6_6021 Depth=2
	s_or_b64 exec, exec, s[20:21]
	v_lshrrev_b64 v[4:5], 20, v[16:17]
	v_cmp_gt_i32_e32 vcc, 16, v3
	v_cndmask_b32_e32 v17, 0, v5, vcc
	v_cndmask_b32_e32 v16, 7, v4, vcc
	v_cmp_ne_u64_e32 vcc, 0, v[16:17]
	v_cmp_ne_u32_e64 s[20:21], 0, v3
	s_or_b64 s[20:21], s[20:21], vcc
                                        ; implicit-def: $vgpr2
	s_and_saveexec_b64 s[92:93], s[20:21]
	s_xor_b64 s[20:21], exec, s[92:93]
; %bb.6074:                             ;   in Loop: Header=BB6_6021 Depth=2
	v_min_i32_e32 v2, 15, v3
	v_lshl_or_b32 v1, v2, 3, v1
	v_and_or_b32 v2, v16, 7, v1
                                        ; implicit-def: $vgpr1
; %bb.6075:                             ;   in Loop: Header=BB6_6021 Depth=2
	s_andn2_saveexec_b64 s[20:21], s[20:21]
; %bb.6076:                             ;   in Loop: Header=BB6_6021 Depth=2
	v_mov_b32_e32 v2, v1
; %bb.6077:                             ;   in Loop: Header=BB6_6021 Depth=2
	s_or_b64 exec, exec, s[20:21]
.LBB6_6078:                             ;   in Loop: Header=BB6_6021 Depth=2
	s_or_b64 exec, exec, s[90:91]
                                        ; implicit-def: $vgpr1
.LBB6_6079:                             ;   in Loop: Header=BB6_6021 Depth=2
	s_andn2_saveexec_b64 s[20:21], s[88:89]
; %bb.6080:                             ;   in Loop: Header=BB6_6021 Depth=2
	v_or_b32_e32 v2, 0x7e, v1
; %bb.6081:                             ;   in Loop: Header=BB6_6021 Depth=2
	s_or_b64 exec, exec, s[20:21]
                                        ; implicit-def: $vgpr3
.LBB6_6082:                             ;   in Loop: Header=BB6_6021 Depth=2
	s_andn2_saveexec_b64 s[20:21], s[78:79]
	s_cbranch_execz .LBB6_6020
; %bb.6083:                             ;   in Loop: Header=BB6_6021 Depth=2
	v_or_b32_sdwa v2, v3, s51 dst_sel:DWORD dst_unused:UNUSED_PAD src0_sel:BYTE_3 src1_sel:DWORD
	s_branch .LBB6_6020
.LBB6_6084:                             ;   in Loop: Header=BB6_49 Depth=1
	s_or_b64 exec, exec, s[22:23]
	buffer_load_dword v0, off, s[0:3], s33 offset:352 ; 4-byte Folded Reload
	buffer_load_dword v6, off, s[0:3], s33 offset:360 ; 4-byte Folded Reload
	;; [unrolled: 1-line block ×3, first 2 shown]
	s_waitcnt vmcnt(0)
	v_cmp_ne_u32_e64 s[20:21], 0, v0
	s_and_saveexec_b64 s[22:23], s[10:11]
	s_cbranch_execz .LBB6_6103
.LBB6_6085:                             ;   in Loop: Header=BB6_49 Depth=1
	s_and_saveexec_b64 s[76:77], s[42:43]
	s_xor_b64 s[76:77], exec, s[76:77]
	s_cbranch_execz .LBB6_6100
; %bb.6086:                             ;   in Loop: Header=BB6_49 Depth=1
	s_and_saveexec_b64 s[78:79], s[12:13]
	s_cbranch_execz .LBB6_6099
; %bb.6087:                             ;   in Loop: Header=BB6_49 Depth=1
	s_mov_b64 s[90:91], exec
	v_mbcnt_lo_u32_b32 v0, s90, 0
	v_mbcnt_hi_u32_b32 v0, s91, v0
	v_cmp_eq_u32_e32 vcc, 0, v0
	s_waitcnt vmcnt(0) lgkmcnt(0)
	buffer_wbinvl1_vol
	s_and_saveexec_b64 s[88:89], vcc
	s_cbranch_execz .LBB6_6089
; %bb.6088:                             ;   in Loop: Header=BB6_49 Depth=1
	s_bcnt1_i32_b64 s90, s[90:91]
	v_mov_b32_e32 v0, s90
	v_mov_b32_e32 v1, v53
	ds_add_u64 v0, v[0:1]
	s_trap 2
.LBB6_6089:                             ;   in Loop: Header=BB6_49 Depth=1
	s_or_b64 exec, exec, s[88:89]
	s_trap 2
	ds_read_b64 v[0:1], v0
	s_waitcnt lgkmcnt(0)
	buffer_load_dword v2, off, s[0:3], s33 offset:96 ; 4-byte Folded Reload
	buffer_load_dword v3, off, s[0:3], s33 offset:100 ; 4-byte Folded Reload
	;; [unrolled: 1-line block ×3, first 2 shown]
	s_waitcnt vmcnt(0)
	v_add_co_u32_e32 v2, vcc, v2, v4
	v_addc_co_u32_e32 v3, vcc, 0, v3, vcc
	buffer_store_dword v2, off, s[0:3], s33 offset:96 ; 4-byte Folded Spill
	s_nop 0
	buffer_store_dword v3, off, s[0:3], s33 offset:100 ; 4-byte Folded Spill
	v_cmp_lt_u64_e32 vcc, v[0:1], v[2:3]
	s_and_saveexec_b64 s[88:89], vcc
	s_cbranch_execz .LBB6_6098
; %bb.6090:                             ;   in Loop: Header=BB6_49 Depth=1
	s_mov_b32 s36, 0
	s_mov_b64 s[90:91], 0
                                        ; implicit-def: $sgpr92_sgpr93
                                        ; implicit-def: $sgpr94_sgpr95
	s_branch .LBB6_6092
.LBB6_6091:                             ;   in Loop: Header=BB6_6092 Depth=2
	s_or_b64 exec, exec, s[34:35]
	s_and_b64 vcc, exec, vcc
	s_or_b64 s[90:91], vcc, s[90:91]
	s_andn2_b64 s[92:93], s[92:93], exec
	s_and_b64 vcc, s[94:95], exec
	s_or_b64 s[92:93], s[92:93], vcc
	s_andn2_b64 exec, exec, s[90:91]
	s_cbranch_execz .LBB6_6096
.LBB6_6092:                             ;   Parent Loop BB6_49 Depth=1
                                        ; =>  This Inner Loop Header: Depth=2
	s_add_i32 s36, s36, 1
	s_cmpk_lg_i32 s36, 0x2710
	s_cselect_b64 s[30:31], -1, 0
	s_and_b64 vcc, exec, s[30:31]
	s_cbranch_vccz .LBB6_6094
; %bb.6093:                             ;   in Loop: Header=BB6_6092 Depth=2
	s_mov_b64 vcc, -1
	s_or_b64 s[94:95], s[94:95], exec
	s_and_saveexec_b64 s[34:35], s[30:31]
	s_cbranch_execz .LBB6_6091
	s_branch .LBB6_6095
.LBB6_6094:                             ;   in Loop: Header=BB6_6092 Depth=2
	s_trap 2
	ds_read_b64 v[0:1], v0
	s_andn2_b64 s[30:31], s[30:31], exec
	s_mov_b32 s36, 0
	s_waitcnt vmcnt(0) lgkmcnt(0)
	flat_load_dword v0, v[0:1] glc
	s_waitcnt vmcnt(0) lgkmcnt(0)
	buffer_wbinvl1_vol
	v_cmp_eq_u32_e32 vcc, 0, v0
	s_and_b64 vcc, vcc, exec
	s_or_b64 s[30:31], s[30:31], vcc
	s_mov_b64 vcc, -1
	s_or_b64 s[94:95], s[94:95], exec
	s_and_saveexec_b64 s[34:35], s[30:31]
	s_cbranch_execz .LBB6_6091
.LBB6_6095:                             ;   in Loop: Header=BB6_6092 Depth=2
	s_sleep 1
	s_trap 2
	ds_read_b64 v[0:1], v0
	s_waitcnt lgkmcnt(0)
	buffer_load_dword v2, off, s[0:3], s33 offset:96 ; 4-byte Folded Reload
	buffer_load_dword v3, off, s[0:3], s33 offset:100 ; 4-byte Folded Reload
	s_andn2_b64 s[94:95], s[94:95], exec
	s_waitcnt vmcnt(0)
	v_cmp_ge_u64_e32 vcc, v[0:1], v[2:3]
	s_orn2_b64 vcc, vcc, exec
	s_branch .LBB6_6091
.LBB6_6096:                             ;   in Loop: Header=BB6_49 Depth=1
	s_or_b64 exec, exec, s[90:91]
	s_and_saveexec_b64 s[90:91], s[92:93]
	s_xor_b64 s[90:91], exec, s[90:91]
	s_cbranch_execz .LBB6_6098
; %bb.6097:                             ;   in Loop: Header=BB6_49 Depth=1
	v_mov_b32_e32 v0, 1
	ds_write_b32 v0, v0
	s_trap 2
.LBB6_6098:                             ;   in Loop: Header=BB6_49 Depth=1
	s_or_b64 exec, exec, s[88:89]
	;;#ASMSTART
	s_wakeup
	;;#ASMEND
.LBB6_6099:                             ;   in Loop: Header=BB6_49 Depth=1
	s_or_b64 exec, exec, s[78:79]
.LBB6_6100:                             ;   in Loop: Header=BB6_49 Depth=1
	s_andn2_saveexec_b64 s[76:77], s[76:77]
	s_cbranch_execz .LBB6_6102
; %bb.6101:                             ;   in Loop: Header=BB6_49 Depth=1
	s_waitcnt vmcnt(0) lgkmcnt(0)
	buffer_wbinvl1_vol
	s_barrier
.LBB6_6102:                             ;   in Loop: Header=BB6_49 Depth=1
	s_or_b64 exec, exec, s[76:77]
.LBB6_6103:                             ;   in Loop: Header=BB6_49 Depth=1
	s_or_b64 exec, exec, s[22:23]
	buffer_load_dword v0, off, s[0:3], s33 offset:76 ; 4-byte Folded Reload
	s_waitcnt vmcnt(0)
	v_and_b32_e32 v0, 16, v0
	v_cmp_ne_u32_e32 vcc, 0, v0
	s_and_b64 s[22:23], vcc, s[20:21]
	s_and_saveexec_b64 s[20:21], s[22:23]
	s_cbranch_execz .LBB6_6105
; %bb.6104:                             ;   in Loop: Header=BB6_49 Depth=1
	s_waitcnt lgkmcnt(0)
	buffer_wbinvl1_vol
.LBB6_6105:                             ;   in Loop: Header=BB6_49 Depth=1
	s_or_b64 exec, exec, s[20:21]
	v_cmp_ne_u32_e32 vcc, 0, v0
	s_xor_b64 s[20:21], s[18:19], -1
	s_and_b64 s[22:23], vcc, s[20:21]
	s_and_saveexec_b64 s[20:21], s[22:23]
	s_cbranch_execz .LBB6_6107
; %bb.6106:                             ;   in Loop: Header=BB6_49 Depth=1
	buffer_load_dword v0, off, s[0:3], s33 offset:592 ; 4-byte Folded Reload
	buffer_load_dword v1, off, s[0:3], s33 offset:596 ; 4-byte Folded Reload
	v_mov_b32_e32 v2, 1
	s_waitcnt vmcnt(0)
	flat_store_dword v[0:1], v2
.LBB6_6107:                             ;   in Loop: Header=BB6_49 Depth=1
	s_or_b64 exec, exec, s[20:21]
	buffer_load_dword v0, off, s[0:3], s33 offset:76 ; 4-byte Folded Reload
	s_waitcnt vmcnt(0)
	v_and_b32_e32 v0, 48, v0
	v_cmp_ne_u32_e32 vcc, 0, v0
	s_and_saveexec_b64 s[20:21], vcc
	s_cbranch_execz .LBB6_6109
; %bb.6108:                             ;   in Loop: Header=BB6_49 Depth=1
	buffer_load_dword v0, off, s[0:3], s33 offset:80 ; 4-byte Folded Reload
	buffer_load_dword v1, off, s[0:3], s33 offset:84 ; 4-byte Folded Reload
	buffer_load_dword v2, off, s[0:3], s33 offset:88 ; 4-byte Folded Reload
	buffer_load_dword v3, off, s[0:3], s33 offset:92 ; 4-byte Folded Reload
	s_waitcnt vmcnt(0)
	v_add_co_u32_e32 v2, vcc, 1, v2
	v_addc_co_u32_e32 v3, vcc, 0, v3, vcc
	buffer_store_dword v0, off, s[0:3], s33 offset:80 ; 4-byte Folded Spill
	s_nop 0
	buffer_store_dword v1, off, s[0:3], s33 offset:84 ; 4-byte Folded Spill
	buffer_store_dword v2, off, s[0:3], s33 offset:88 ; 4-byte Folded Spill
	;; [unrolled: 1-line block ×3, first 2 shown]
	buffer_load_dword v0, off, s[0:3], s33 offset:68 ; 4-byte Folded Reload
	s_nop 0
	buffer_load_dword v1, off, s[0:3], s33 offset:72 ; 4-byte Folded Reload
	s_waitcnt vmcnt(0)
	flat_store_dwordx2 v[0:1], v[2:3]
.LBB6_6109:                             ;   in Loop: Header=BB6_49 Depth=1
	s_or_b64 exec, exec, s[20:21]
	buffer_load_dword v0, off, s[0:3], s33 offset:172 ; 4-byte Folded Reload
	buffer_load_dword v1, off, s[0:3], s33 offset:176 ; 4-byte Folded Reload
.LBB6_6110:                             ;   in Loop: Header=BB6_49 Depth=1
	s_or_b64 exec, exec, s[74:75]
	s_and_saveexec_b64 s[22:23], s[72:73]
	s_cbranch_execnz .LBB6_6111
; %bb.16562:                            ;   in Loop: Header=BB6_49 Depth=1
	s_getpc_b64 s[66:67]
.Lpost_getpc17:
	s_add_u32 s66, s66, (.LBB6_48-.Lpost_getpc17)&4294967295
	s_addc_u32 s67, s67, (.LBB6_48-.Lpost_getpc17)>>32
	s_setpc_b64 s[66:67]
.LBB6_6111:                             ;   in Loop: Header=BB6_49 Depth=1
	buffer_load_dword v1, off, s[0:3], s33 offset:324 ; 4-byte Folded Reload
	buffer_load_dword v2, off, s[0:3], s33 offset:328 ; 4-byte Folded Reload
	s_waitcnt vmcnt(0)
	v_sub_u32_e32 v0, v1, v0
	buffer_load_dword v1, off, s[0:3], s33 offset:172 ; 4-byte Folded Reload
	buffer_load_dword v2, off, s[0:3], s33 offset:176 ; 4-byte Folded Reload
	s_waitcnt vmcnt(0)
	v_min_i32_e32 v10, v1, v0
	buffer_load_dword v0, off, s[0:3], s33 offset:76 ; 4-byte Folded Reload
	s_waitcnt vmcnt(0)
	v_and_b32_e32 v0, 12, v0
	v_cmp_ne_u32_e32 vcc, 0, v0
	s_and_saveexec_b64 s[72:73], vcc
	s_cbranch_execz .LBB6_6137
; %bb.6112:                             ;   in Loop: Header=BB6_49 Depth=1
	buffer_load_dword v0, off, s[0:3], s33 offset:76 ; 4-byte Folded Reload
	buffer_load_dword v1, off, s[0:3], s33 offset:60 ; 4-byte Folded Reload
	;; [unrolled: 1-line block ×3, first 2 shown]
	v_mov_b32_e32 v17, v7
	v_mov_b32_e32 v16, v6
	buffer_load_dword v3, off, s[0:3], s33 offset:80 ; 4-byte Folded Reload
	buffer_load_dword v4, off, s[0:3], s33 offset:84 ; 4-byte Folded Reload
	;; [unrolled: 1-line block ×4, first 2 shown]
	s_waitcnt vmcnt(0)
	v_and_b32_e32 v0, 8, v0
	v_add_co_u32_e32 v1, vcc, v1, v0
	v_addc_co_u32_e32 v2, vcc, 0, v2, vcc
	v_add_co_u32_e32 v12, vcc, 1, v5
	v_addc_co_u32_e32 v13, vcc, 0, v6, vcc
	v_cmp_lt_u64_e32 vcc, v[1:2], v[12:13]
	s_and_saveexec_b64 s[74:75], vcc
	s_cbranch_execz .LBB6_6124
; %bb.6113:                             ;   in Loop: Header=BB6_49 Depth=1
	buffer_load_dword v1, off, s[0:3], s33 offset:76 ; 4-byte Folded Reload
	s_mov_b32 s38, 0
	s_mov_b64 s[76:77], 0
                                        ; implicit-def: $sgpr78_sgpr79
                                        ; implicit-def: $sgpr88_sgpr89
                                        ; implicit-def: $sgpr90_sgpr91
	s_waitcnt vmcnt(0)
	v_and_b32_e32 v1, 64, v1
	v_cmp_eq_u32_e32 vcc, 0, v1
	s_branch .LBB6_6116
.LBB6_6114:                             ;   in Loop: Header=BB6_6116 Depth=2
	s_or_b64 exec, exec, s[36:37]
	s_andn2_b64 s[20:21], s[90:91], exec
	s_and_b64 s[90:91], s[30:31], exec
	s_or_b64 s[90:91], s[20:21], s[90:91]
	s_andn2_b64 s[20:21], s[88:89], exec
	s_and_b64 s[88:89], s[94:95], exec
	s_or_b64 s[88:89], s[20:21], s[88:89]
.LBB6_6115:                             ;   in Loop: Header=BB6_6116 Depth=2
	s_or_b64 exec, exec, s[92:93]
	s_and_b64 s[20:21], exec, s[88:89]
	s_or_b64 s[76:77], s[20:21], s[76:77]
	s_andn2_b64 s[20:21], s[78:79], exec
	s_and_b64 s[78:79], s[90:91], exec
	s_or_b64 s[78:79], s[20:21], s[78:79]
	s_andn2_b64 exec, exec, s[76:77]
	s_cbranch_execz .LBB6_6121
.LBB6_6116:                             ;   Parent Loop BB6_49 Depth=1
                                        ; =>  This Inner Loop Header: Depth=2
	s_sleep 1
	buffer_load_dword v1, off, s[0:3], s33 offset:68 ; 4-byte Folded Reload
	buffer_load_dword v2, off, s[0:3], s33 offset:72 ; 4-byte Folded Reload
	s_or_b64 s[90:91], s[90:91], exec
	s_or_b64 s[88:89], s[88:89], exec
	s_waitcnt vmcnt(0)
	flat_load_dwordx2 v[1:2], v[1:2] glc
	s_waitcnt vmcnt(0) lgkmcnt(0)
	buffer_store_dword v1, off, s[0:3], s33 offset:60 ; 4-byte Folded Spill
	s_nop 0
	buffer_store_dword v2, off, s[0:3], s33 offset:64 ; 4-byte Folded Spill
                                        ; implicit-def: $vgpr1
	s_and_saveexec_b64 s[92:93], vcc
	s_cbranch_execz .LBB6_6115
; %bb.6117:                             ;   in Loop: Header=BB6_6116 Depth=2
	s_cmpk_lt_i32 s38, 0x270f
	s_cselect_b64 s[34:35], -1, 0
	s_cmpk_gt_i32 s38, 0x270e
	s_mov_b64 s[94:95], -1
	s_cbranch_scc0 .LBB6_6119
; %bb.6118:                             ;   in Loop: Header=BB6_6116 Depth=2
	s_trap 2
	ds_read_b64 v[1:2], v0
	s_andn2_b64 s[34:35], s[34:35], exec
	s_mov_b32 s38, 0
	s_mov_b64 s[30:31], 0
	s_waitcnt vmcnt(0) lgkmcnt(0)
	flat_load_dword v1, v[1:2] glc
	s_waitcnt vmcnt(0) lgkmcnt(0)
	buffer_wbinvl1_vol
	v_cmp_eq_u32_e64 s[20:21], 0, v1
	s_and_b64 s[20:21], s[20:21], exec
	s_or_b64 s[34:35], s[34:35], s[20:21]
	s_and_saveexec_b64 s[36:37], s[34:35]
	s_cbranch_execz .LBB6_6114
	s_branch .LBB6_6120
.LBB6_6119:                             ;   in Loop: Header=BB6_6116 Depth=2
	s_add_i32 s38, s38, 1
	s_mov_b64 s[30:31], -1
                                        ; implicit-def: $vgpr1
	s_and_saveexec_b64 s[36:37], s[34:35]
	s_cbranch_execz .LBB6_6114
.LBB6_6120:                             ;   in Loop: Header=BB6_6116 Depth=2
	buffer_load_dword v2, off, s[0:3], s33 offset:60 ; 4-byte Folded Reload
	buffer_load_dword v3, off, s[0:3], s33 offset:64 ; 4-byte Folded Reload
	s_or_b64 s[30:31], s[30:31], exec
	s_waitcnt vmcnt(1)
	v_add_co_u32_e64 v2, s[20:21], v2, v0
	s_waitcnt vmcnt(0)
	v_addc_co_u32_e64 v3, s[20:21], 0, v3, s[20:21]
	v_cmp_ge_u64_e64 s[20:21], v[2:3], v[12:13]
	s_orn2_b64 s[94:95], s[20:21], exec
	s_branch .LBB6_6114
.LBB6_6121:                             ;   in Loop: Header=BB6_49 Depth=1
	s_or_b64 exec, exec, s[76:77]
	s_xor_b64 s[20:21], s[78:79], -1
	s_and_saveexec_b64 s[76:77], s[20:21]
	s_xor_b64 s[20:21], exec, s[76:77]
	s_cbranch_execz .LBB6_6123
; %bb.6122:                             ;   in Loop: Header=BB6_49 Depth=1
	ds_write_b32 v0, v1
	s_trap 2
	buffer_load_dword v1, off, s[0:3], s33 offset:76 ; 4-byte Folded Reload
	s_waitcnt vmcnt(0)
	v_or_b32_e32 v1, 64, v1
	buffer_store_dword v1, off, s[0:3], s33 offset:76 ; 4-byte Folded Spill
.LBB6_6123:                             ;   in Loop: Header=BB6_49 Depth=1
	s_or_b64 exec, exec, s[20:21]
.LBB6_6124:                             ;   in Loop: Header=BB6_49 Depth=1
	s_or_b64 exec, exec, s[74:75]
	;;#ASMSTART
	s_wakeup
	;;#ASMEND
	buffer_load_dword v1, off, s[0:3], s33 offset:76 ; 4-byte Folded Reload
	s_waitcnt vmcnt(0)
	v_and_b32_e32 v1, 0x108, v1
	v_cmp_ne_u32_e32 vcc, s50, v1
	buffer_load_dword v1, off, s[0:3], s33 offset:80 ; 4-byte Folded Reload
	buffer_load_dword v2, off, s[0:3], s33 offset:84 ; 4-byte Folded Reload
	;; [unrolled: 1-line block ×4, first 2 shown]
	s_waitcnt vmcnt(0)
	v_and_b32_e32 v1, 7, v3
	s_mov_b64 s[20:21], exec
	s_and_b64 s[74:75], s[20:21], vcc
	v_mov_b32_e32 v6, v16
	s_xor_b64 s[20:21], s[74:75], s[20:21]
	v_mov_b32_e32 v7, v17
                                        ; implicit-def: $vgpr2
	s_mov_b64 exec, s[74:75]
; %bb.6125:                             ;   in Loop: Header=BB6_49 Depth=1
	v_mov_b32_e32 v2, v53
; %bb.6126:                             ;   in Loop: Header=BB6_49 Depth=1
	s_andn2_saveexec_b64 s[20:21], s[20:21]
	s_cbranch_execz .LBB6_6128
; %bb.6127:                             ;   in Loop: Header=BB6_49 Depth=1
	buffer_load_dword v2, off, s[0:3], s33 offset:80 ; 4-byte Folded Reload
	buffer_load_dword v3, off, s[0:3], s33 offset:84 ; 4-byte Folded Reload
	;; [unrolled: 1-line block ×4, first 2 shown]
	v_ashrrev_i32_e32 v11, 31, v10
	s_waitcnt vmcnt(0)
	v_mad_u64_u32 v[3:4], s[74:75], v1, 24, v[2:3]
	v_mov_b32_e32 v2, v53
	flat_store_dwordx2 v[3:4], v[10:11] offset:8
.LBB6_6128:                             ;   in Loop: Header=BB6_49 Depth=1
	s_or_b64 exec, exec, s[20:21]
	buffer_load_dword v3, off, s[0:3], s33 offset:76 ; 4-byte Folded Reload
	s_mov_b64 s[20:21], -1
                                        ; implicit-def: $vgpr8_vgpr9
	s_waitcnt vmcnt(0)
	v_and_b32_e32 v3, 0x100, v3
	v_cmp_ne_u32_e32 vcc, 0, v3
	s_and_saveexec_b64 s[74:75], vcc
	s_cbranch_execz .LBB6_6132
; %bb.6129:                             ;   in Loop: Header=BB6_49 Depth=1
	buffer_load_dword v3, off, s[0:3], s33 offset:80 ; 4-byte Folded Reload
	buffer_load_dword v4, off, s[0:3], s33 offset:84 ; 4-byte Folded Reload
	;; [unrolled: 1-line block ×4, first 2 shown]
                                        ; implicit-def: $vgpr8_vgpr9
	s_waitcnt vmcnt(0)
	v_mad_u64_u32 v[14:15], s[20:21], v1, 24, v[3:4]
	v_mov_b32_e32 v3, v15
	v_mad_u64_u32 v[3:4], s[20:21], v2, 24, v[3:4]
	v_mov_b32_e32 v15, v3
	flat_load_dword v3, v[14:15]
	s_waitcnt vmcnt(0) lgkmcnt(0)
	v_cmp_ne_u32_e32 vcc, 1, v3
	v_cmp_eq_u32_e64 s[20:21], 1, v3
	s_and_saveexec_b64 s[76:77], s[20:21]
	s_cbranch_execz .LBB6_6131
; %bb.6130:                             ;   in Loop: Header=BB6_49 Depth=1
	flat_load_dword v8, v[14:15] offset:4 glc
	s_waitcnt vmcnt(0) lgkmcnt(0)
	v_ashrrev_i32_e32 v9, 31, v8
.LBB6_6131:                             ;   in Loop: Header=BB6_49 Depth=1
	s_or_b64 exec, exec, s[76:77]
	v_mov_b32_e32 v6, v16
	s_orn2_b64 s[20:21], vcc, exec
	v_mov_b32_e32 v7, v17
.LBB6_6132:                             ;   in Loop: Header=BB6_49 Depth=1
	s_or_b64 exec, exec, s[74:75]
	s_and_saveexec_b64 s[74:75], s[20:21]
	s_cbranch_execz .LBB6_6134
; %bb.6133:                             ;   in Loop: Header=BB6_49 Depth=1
	buffer_load_dword v4, off, s[0:3], s33 offset:588 ; 4-byte Folded Reload
	buffer_load_dword v3, off, s[0:3], s33 offset:368 ; 4-byte Folded Reload
	s_waitcnt vmcnt(0)
	v_mul_lo_u32 v2, v2, v4
	v_mul_lo_u32 v3, v1, v3
	v_mad_u64_u32 v[8:9], s[20:21], v1, v4, 0
	v_add3_u32 v9, v9, v3, v2
.LBB6_6134:                             ;   in Loop: Header=BB6_49 Depth=1
	s_or_b64 exec, exec, s[74:75]
	v_cmp_eq_u32_e32 vcc, 0, v0
	v_mov_b32_e32 v0, 0xc8
	v_mov_b32_e32 v1, 0x90
	v_cndmask_b32_e32 v2, v0, v1, vcc
	buffer_load_dword v0, off, s[0:3], s33 offset:524 ; 4-byte Folded Reload
	buffer_load_dword v1, off, s[0:3], s33 offset:528 ; 4-byte Folded Reload
	s_waitcnt vmcnt(0)
	v_add_co_u32_e32 v0, vcc, v0, v8
	v_addc_co_u32_e32 v1, vcc, v1, v9, vcc
	v_add_u32_e32 v2, v0, v2
	ds_write_b64 v2, v[0:1] offset:584
	buffer_load_dword v0, off, s[0:3], s33 offset:76 ; 4-byte Folded Reload
	s_waitcnt vmcnt(0)
	v_and_b32_e32 v0, 0x2000, v0
	v_cmp_ne_u32_e32 vcc, 0, v0
	s_and_saveexec_b64 s[20:21], vcc
	s_cbranch_execz .LBB6_6136
; %bb.6135:                             ;   in Loop: Header=BB6_49 Depth=1
	ds_read_b64 v[0:1], v0 offset:872
	s_waitcnt lgkmcnt(0)
	v_add_co_u32_e32 v0, vcc, 1, v0
	v_addc_co_u32_e32 v1, vcc, 0, v1, vcc
	ds_write_b64 v0, v[0:1] offset:872
.LBB6_6136:                             ;   in Loop: Header=BB6_49 Depth=1
	s_or_b64 exec, exec, s[20:21]
	buffer_load_dword v0, off, s[0:3], s33 offset:80 ; 4-byte Folded Reload
	buffer_load_dword v1, off, s[0:3], s33 offset:84 ; 4-byte Folded Reload
	buffer_load_dword v2, off, s[0:3], s33 offset:88 ; 4-byte Folded Reload
	buffer_load_dword v3, off, s[0:3], s33 offset:92 ; 4-byte Folded Reload
	s_waitcnt vmcnt(0)
	v_mov_b32_e32 v2, v12
	v_mov_b32_e32 v3, v13
	buffer_store_dword v0, off, s[0:3], s33 offset:80 ; 4-byte Folded Spill
	s_nop 0
	buffer_store_dword v1, off, s[0:3], s33 offset:84 ; 4-byte Folded Spill
	buffer_store_dword v2, off, s[0:3], s33 offset:88 ; 4-byte Folded Spill
	;; [unrolled: 1-line block ×3, first 2 shown]
.LBB6_6137:                             ;   in Loop: Header=BB6_49 Depth=1
	s_or_b64 exec, exec, s[72:73]
	s_and_saveexec_b64 s[20:21], s[10:11]
	s_cbranch_execz .LBB6_6156
; %bb.6138:                             ;   in Loop: Header=BB6_49 Depth=1
	s_and_saveexec_b64 s[72:73], s[42:43]
	s_xor_b64 s[72:73], exec, s[72:73]
	s_cbranch_execz .LBB6_6153
; %bb.6139:                             ;   in Loop: Header=BB6_49 Depth=1
	s_and_saveexec_b64 s[74:75], s[12:13]
	s_cbranch_execz .LBB6_6152
; %bb.6140:                             ;   in Loop: Header=BB6_49 Depth=1
	s_mov_b64 s[78:79], exec
	v_mbcnt_lo_u32_b32 v0, s78, 0
	v_mbcnt_hi_u32_b32 v0, s79, v0
	v_cmp_eq_u32_e32 vcc, 0, v0
	s_waitcnt vmcnt(0) lgkmcnt(0)
	buffer_wbinvl1_vol
	s_and_saveexec_b64 s[76:77], vcc
	s_cbranch_execz .LBB6_6142
; %bb.6141:                             ;   in Loop: Header=BB6_49 Depth=1
	s_bcnt1_i32_b64 s78, s[78:79]
	v_mov_b32_e32 v0, s78
	v_mov_b32_e32 v1, v53
	ds_add_u64 v0, v[0:1]
	s_trap 2
.LBB6_6142:                             ;   in Loop: Header=BB6_49 Depth=1
	s_or_b64 exec, exec, s[76:77]
	s_trap 2
	ds_read_b64 v[0:1], v0
	s_waitcnt lgkmcnt(0)
	buffer_load_dword v2, off, s[0:3], s33 offset:96 ; 4-byte Folded Reload
	buffer_load_dword v3, off, s[0:3], s33 offset:100 ; 4-byte Folded Reload
	;; [unrolled: 1-line block ×3, first 2 shown]
	s_waitcnt vmcnt(0)
	v_add_co_u32_e32 v2, vcc, v2, v4
	v_addc_co_u32_e32 v3, vcc, 0, v3, vcc
	buffer_store_dword v2, off, s[0:3], s33 offset:96 ; 4-byte Folded Spill
	s_nop 0
	buffer_store_dword v3, off, s[0:3], s33 offset:100 ; 4-byte Folded Spill
	v_cmp_lt_u64_e32 vcc, v[0:1], v[2:3]
	s_and_saveexec_b64 s[76:77], vcc
	s_cbranch_execz .LBB6_6151
; %bb.6143:                             ;   in Loop: Header=BB6_49 Depth=1
	s_mov_b32 s30, 0
	s_mov_b64 s[78:79], 0
                                        ; implicit-def: $sgpr88_sgpr89
                                        ; implicit-def: $sgpr90_sgpr91
	s_branch .LBB6_6145
.LBB6_6144:                             ;   in Loop: Header=BB6_6145 Depth=2
	s_or_b64 exec, exec, s[94:95]
	s_and_b64 s[92:93], exec, vcc
	s_or_b64 s[78:79], s[92:93], s[78:79]
	s_andn2_b64 s[88:89], s[88:89], exec
	s_and_b64 s[92:93], s[90:91], exec
	s_or_b64 s[88:89], s[88:89], s[92:93]
	s_andn2_b64 exec, exec, s[78:79]
	s_cbranch_execz .LBB6_6149
.LBB6_6145:                             ;   Parent Loop BB6_49 Depth=1
                                        ; =>  This Inner Loop Header: Depth=2
	s_add_i32 s30, s30, 1
	s_cmpk_lg_i32 s30, 0x2710
	s_cselect_b64 s[92:93], -1, 0
	s_and_b64 vcc, exec, s[92:93]
	s_cbranch_vccz .LBB6_6147
; %bb.6146:                             ;   in Loop: Header=BB6_6145 Depth=2
	s_mov_b64 vcc, -1
	s_or_b64 s[90:91], s[90:91], exec
	s_and_saveexec_b64 s[94:95], s[92:93]
	s_cbranch_execz .LBB6_6144
	s_branch .LBB6_6148
.LBB6_6147:                             ;   in Loop: Header=BB6_6145 Depth=2
	s_trap 2
	ds_read_b64 v[0:1], v0
	s_andn2_b64 s[92:93], s[92:93], exec
	s_mov_b32 s30, 0
	s_waitcnt vmcnt(0) lgkmcnt(0)
	flat_load_dword v0, v[0:1] glc
	s_waitcnt vmcnt(0) lgkmcnt(0)
	buffer_wbinvl1_vol
	v_cmp_eq_u32_e32 vcc, 0, v0
	s_and_b64 s[94:95], vcc, exec
	s_or_b64 s[92:93], s[92:93], s[94:95]
	s_mov_b64 vcc, -1
	s_or_b64 s[90:91], s[90:91], exec
	s_and_saveexec_b64 s[94:95], s[92:93]
	s_cbranch_execz .LBB6_6144
.LBB6_6148:                             ;   in Loop: Header=BB6_6145 Depth=2
	s_sleep 1
	s_trap 2
	ds_read_b64 v[0:1], v0
	s_waitcnt lgkmcnt(0)
	buffer_load_dword v2, off, s[0:3], s33 offset:96 ; 4-byte Folded Reload
	buffer_load_dword v3, off, s[0:3], s33 offset:100 ; 4-byte Folded Reload
	s_andn2_b64 s[90:91], s[90:91], exec
	s_waitcnt vmcnt(0)
	v_cmp_ge_u64_e32 vcc, v[0:1], v[2:3]
	s_orn2_b64 vcc, vcc, exec
	s_branch .LBB6_6144
.LBB6_6149:                             ;   in Loop: Header=BB6_49 Depth=1
	s_or_b64 exec, exec, s[78:79]
	s_and_saveexec_b64 s[78:79], s[88:89]
	s_xor_b64 s[78:79], exec, s[78:79]
	s_cbranch_execz .LBB6_6151
; %bb.6150:                             ;   in Loop: Header=BB6_49 Depth=1
	v_mov_b32_e32 v0, 1
	ds_write_b32 v0, v0
	s_trap 2
.LBB6_6151:                             ;   in Loop: Header=BB6_49 Depth=1
	s_or_b64 exec, exec, s[76:77]
	;;#ASMSTART
	s_wakeup
	;;#ASMEND
.LBB6_6152:                             ;   in Loop: Header=BB6_49 Depth=1
	s_or_b64 exec, exec, s[74:75]
.LBB6_6153:                             ;   in Loop: Header=BB6_49 Depth=1
	s_andn2_saveexec_b64 s[72:73], s[72:73]
	s_cbranch_execz .LBB6_6155
; %bb.6154:                             ;   in Loop: Header=BB6_49 Depth=1
	s_waitcnt vmcnt(0) lgkmcnt(0)
	buffer_wbinvl1_vol
	s_barrier
.LBB6_6155:                             ;   in Loop: Header=BB6_49 Depth=1
	s_or_b64 exec, exec, s[72:73]
.LBB6_6156:                             ;   in Loop: Header=BB6_49 Depth=1
	s_or_b64 exec, exec, s[20:21]
	s_trap 2
	ds_read_b32 v1, v0
	buffer_load_dword v0, off, s[0:3], s33 offset:76 ; 4-byte Folded Reload
	v_cmp_lt_i32_e32 vcc, 0, v10
	s_waitcnt lgkmcnt(0)
	v_readfirstlane_b32 s20, v1
	s_cmp_eq_u32 s20, 0
	s_cselect_b64 s[20:21], -1, 0
	s_and_b64 s[20:21], vcc, s[20:21]
	s_waitcnt vmcnt(0)
	v_and_b32_e32 v0, 16, v0
	v_cmp_ne_u32_e32 vcc, 0, v0
	s_and_b64 s[72:73], vcc, s[20:21]
	s_and_saveexec_b64 s[20:21], s[72:73]
	s_cbranch_execz .LBB6_6158
; %bb.6157:                             ;   in Loop: Header=BB6_49 Depth=1
	buffer_wbinvl1_vol
.LBB6_6158:                             ;   in Loop: Header=BB6_49 Depth=1
	s_or_b64 exec, exec, s[20:21]
	v_cmp_ne_u32_e32 vcc, 0, v0
	s_xor_b64 s[20:21], s[18:19], -1
	s_and_b64 s[72:73], vcc, s[20:21]
	s_and_saveexec_b64 s[20:21], s[72:73]
	s_cbranch_execz .LBB6_6160
; %bb.6159:                             ;   in Loop: Header=BB6_49 Depth=1
	buffer_load_dword v0, off, s[0:3], s33 offset:592 ; 4-byte Folded Reload
	buffer_load_dword v1, off, s[0:3], s33 offset:596 ; 4-byte Folded Reload
	v_mov_b32_e32 v2, 1
	s_waitcnt vmcnt(0)
	flat_store_dword v[0:1], v2
.LBB6_6160:                             ;   in Loop: Header=BB6_49 Depth=1
	s_or_b64 exec, exec, s[20:21]
	buffer_load_dword v0, off, s[0:3], s33 offset:76 ; 4-byte Folded Reload
	s_waitcnt vmcnt(0)
	v_and_b32_e32 v0, 48, v0
	v_cmp_ne_u32_e32 vcc, 0, v0
	s_and_saveexec_b64 s[20:21], vcc
	s_cbranch_execnz .LBB6_6161
; %bb.16564:                            ;   in Loop: Header=BB6_49 Depth=1
	s_getpc_b64 s[66:67]
.Lpost_getpc18:
	s_add_u32 s66, s66, (.LBB6_47-.Lpost_getpc18)&4294967295
	s_addc_u32 s67, s67, (.LBB6_47-.Lpost_getpc18)>>32
	s_setpc_b64 s[66:67]
.LBB6_6161:                             ;   in Loop: Header=BB6_49 Depth=1
	buffer_load_dword v0, off, s[0:3], s33 offset:80 ; 4-byte Folded Reload
	buffer_load_dword v1, off, s[0:3], s33 offset:84 ; 4-byte Folded Reload
	;; [unrolled: 1-line block ×4, first 2 shown]
	s_waitcnt vmcnt(0)
	v_add_co_u32_e32 v2, vcc, 1, v2
	v_addc_co_u32_e32 v3, vcc, 0, v3, vcc
	buffer_store_dword v0, off, s[0:3], s33 offset:80 ; 4-byte Folded Spill
	s_nop 0
	buffer_store_dword v1, off, s[0:3], s33 offset:84 ; 4-byte Folded Spill
	buffer_store_dword v2, off, s[0:3], s33 offset:88 ; 4-byte Folded Spill
	buffer_store_dword v3, off, s[0:3], s33 offset:92 ; 4-byte Folded Spill
	buffer_load_dword v0, off, s[0:3], s33 offset:68 ; 4-byte Folded Reload
	s_nop 0
	buffer_load_dword v1, off, s[0:3], s33 offset:72 ; 4-byte Folded Reload
	s_waitcnt vmcnt(0)
	flat_store_dwordx2 v[0:1], v[2:3]
; %bb.16540:                            ;   in Loop: Header=BB6_49 Depth=1
	s_getpc_b64 s[66:67]
.Lpost_getpc6:
	s_add_u32 s66, s66, (.LBB6_47-.Lpost_getpc6)&4294967295
	s_addc_u32 s67, s67, (.LBB6_47-.Lpost_getpc6)>>32
	s_setpc_b64 s[66:67]
.LBB6_6162:
	s_or_b64 exec, exec, s[44:45]
	buffer_load_dword v6, off, s[0:3], s33 offset:80 ; 4-byte Folded Reload
	buffer_load_dword v7, off, s[0:3], s33 offset:84 ; 4-byte Folded Reload
	;; [unrolled: 1-line block ×4, first 2 shown]
.LBB6_6163:
	s_or_b64 exec, exec, s[40:41]
                                        ; implicit-def: $vgpr0_vgpr1
                                        ; kill: killed $vgpr0_vgpr1
                                        ; implicit-def: $vgpr24_vgpr25
                                        ; implicit-def: $vgpr0
                                        ; kill: killed $vgpr0
                                        ; implicit-def: $vgpr0_vgpr1
                                        ; kill: killed $vgpr0_vgpr1
                                        ; implicit-def: $vgpr0_vgpr1
                                        ; kill: killed $vgpr0_vgpr1
	;; [unrolled: 2-line block ×3, first 2 shown]
                                        ; implicit-def: $vgpr0
                                        ; implicit-def: $vgpr1
                                        ; kill: killed $vgpr0
                                        ; implicit-def: $vgpr0
	buffer_store_dword v1, off, s[0:3], s33 offset:492 ; 4-byte Folded Spill
	s_nop 0
	buffer_store_dword v2, off, s[0:3], s33 offset:496 ; 4-byte Folded Spill
.LBB6_6164:
	s_andn2_saveexec_b64 s[22:23], s[28:29]
	s_cbranch_execnz .LBB6_6165
; %bb.16566:
	s_getpc_b64 s[66:67]
.Lpost_getpc19:
	s_add_u32 s66, s66, (.LBB6_12272-.Lpost_getpc19)&4294967295
	s_addc_u32 s67, s67, (.LBB6_12272-.Lpost_getpc19)>>32
	s_setpc_b64 s[66:67]
.LBB6_6165:
	v_mov_b32_e32 v1, 0
	v_cmp_ne_u64_e32 vcc, 0, v[24:25]
	v_mov_b32_e32 v2, 0
	buffer_store_dword v1, off, s[0:3], s33 offset:96 ; 4-byte Folded Spill
	s_nop 0
	buffer_store_dword v2, off, s[0:3], s33 offset:100 ; 4-byte Folded Spill
	s_and_saveexec_b64 s[28:29], vcc
	s_cbranch_execnz .LBB6_6166
; %bb.16568:
	s_getpc_b64 s[66:67]
.Lpost_getpc20:
	s_add_u32 s66, s66, (.LBB6_12271-.Lpost_getpc20)&4294967295
	s_addc_u32 s67, s67, (.LBB6_12271-.Lpost_getpc20)>>32
	s_setpc_b64 s[66:67]
.LBB6_6166:
	s_waitcnt vmcnt(0)
	buffer_store_dword v6, off, s[0:3], s33 offset:80 ; 4-byte Folded Spill
	s_nop 0
	buffer_store_dword v7, off, s[0:3], s33 offset:84 ; 4-byte Folded Spill
	s_waitcnt lgkmcnt(0)
	buffer_store_dword v8, off, s[0:3], s33 offset:88 ; 4-byte Folded Spill
	buffer_store_dword v9, off, s[0:3], s33 offset:92 ; 4-byte Folded Spill
	buffer_load_dword v2, off, s[0:3], s33 offset:556 ; 4-byte Folded Reload
	buffer_load_dword v3, off, s[0:3], s33 offset:532 ; 4-byte Folded Reload
	s_trap 2
	buffer_load_dword v1, off, s[0:3], s33 offset:612 ; 4-byte Folded Reload
	s_ashr_i32 s6, s48, 31
	s_lshr_b32 s6, s6, 24
	s_add_i32 s6, s48, s6
	s_ashr_i32 s38, s6, 8
	v_mov_b32_e32 v6, 0
	s_mov_b32 s60, -1
	v_mov_b32_e32 v51, 0
	s_mov_b64 s[42:43], 0
	v_mov_b32_e32 v7, 0
	s_movk_i32 s39, 0x7f
	s_movk_i32 s49, 0xff
	s_movk_i32 s50, 0x80
	s_mov_b64 s[46:47], 0x7f800000
	s_mov_b64 s[56:57], 0x43e00001
	s_movk_i32 s51, 0x7a
	s_mov_b64 s[58:59], 0xffffff
	s_mov_b32 s61, 0xffffff
	s_movk_i32 s52, 0xffc0
	s_mov_b32 s53, 0x3ffffc00
	v_bfrev_b32_e32 v62, 60
	s_waitcnt vmcnt(2)
	v_cmp_eq_u32_e32 vcc, 64, v2
	s_waitcnt vmcnt(1)
	v_and_b32_e32 v4, 63, v3
	v_cmp_le_u32_e64 s[14:15], v4, v0
	s_waitcnt vmcnt(0)
	v_cmp_ne_u32_sdwa s[40:41], v2, v1 src0_sel:DWORD src1_sel:WORD_0
	buffer_load_dword v1, off, s[0:3], s33 offset:608 ; 4-byte Folded Reload
	v_lshrrev_b32_e32 v0, 6, v3
	buffer_store_dword v0, off, s[0:3], s33 offset:360 ; 4-byte Folded Spill
	v_lshlrev_b32_e32 v0, 12, v0
	v_lshl_or_b32 v0, v4, 4, v0
	buffer_store_dword v0, off, s[0:3], s33 offset:392 ; 4-byte Folded Spill
	buffer_store_dword v4, off, s[0:3], s33 offset:384 ; 4-byte Folded Spill
	v_cmp_ge_u32_e64 s[6:7], v3, v2
	v_cmp_eq_u32_e64 s[16:17], 0, v4
	v_cmp_ne_u32_e64 s[10:11], 64, v2
	s_xor_b64 s[44:45], vcc, -1
	s_waitcnt vmcnt(3)
	v_and_b32_e32 v1, 63, v1
	v_cmp_eq_u32_e64 s[12:13], 0, v1
	v_lshrrev_b32_e32 v1, 6, v2
	v_lshlrev_b32_e32 v0, 12, v1
	buffer_store_dword v0, off, s[0:3], s33 offset:332 ; 4-byte Folded Spill
	v_lshlrev_b32_e32 v0, 10, v1
	buffer_store_dword v0, off, s[0:3], s33 offset:344 ; 4-byte Folded Spill
	buffer_store_dword v1, off, s[0:3], s33 offset:160 ; 4-byte Folded Spill
	v_lshlrev_b32_e32 v0, 11, v1
	buffer_store_dword v0, off, s[0:3], s33 offset:324 ; 4-byte Folded Spill
	v_and_b32_e32 v0, 0x3fc0, v2
	buffer_store_dword v0, off, s[0:3], s33 offset:336 ; 4-byte Folded Spill
	v_mov_b32_e32 v0, 0
	v_mov_b32_e32 v1, 0
	buffer_store_dword v0, off, s[0:3], s33 offset:96 ; 4-byte Folded Spill
	s_nop 0
	buffer_store_dword v1, off, s[0:3], s33 offset:100 ; 4-byte Folded Spill
	buffer_load_dword v3, off, s[0:3], s33 offset:492 ; 4-byte Folded Reload
	buffer_load_dword v4, off, s[0:3], s33 offset:496 ; 4-byte Folded Reload
	s_nop 0
	buffer_store_dword v24, off, s[0:3], s33 offset:500 ; 4-byte Folded Spill
	s_nop 0
	buffer_store_dword v25, off, s[0:3], s33 offset:504 ; 4-byte Folded Spill
	buffer_store_dword v26, off, s[0:3], s33 offset:508 ; 4-byte Folded Spill
	;; [unrolled: 1-line block ×3, first 2 shown]
	s_branch .LBB6_6169
.LBB6_6167:                             ;   in Loop: Header=BB6_6169 Depth=1
	s_or_b64 exec, exec, s[18:19]
.LBB6_6168:                             ;   in Loop: Header=BB6_6169 Depth=1
	s_or_b64 exec, exec, s[20:21]
	buffer_load_dword v3, off, s[0:3], s33 offset:492 ; 4-byte Folded Reload
	buffer_load_dword v4, off, s[0:3], s33 offset:496 ; 4-byte Folded Reload
	;; [unrolled: 1-line block ×6, first 2 shown]
	s_waitcnt vmcnt(0)
	v_add_co_u32_e32 v6, vcc, v6, v3
	v_addc_co_u32_e32 v7, vcc, 0, v7, vcc
	v_cmp_ge_u64_e32 vcc, v[6:7], v[24:25]
	s_or_b64 s[42:43], vcc, s[42:43]
	s_andn2_b64 exec, exec, s[42:43]
	s_cbranch_execnz .LBB6_6169
; %bb.16570:
	s_getpc_b64 s[66:67]
.Lpost_getpc21:
	s_add_u32 s66, s66, (.LBB6_12270-.Lpost_getpc21)&4294967295
	s_addc_u32 s67, s67, (.LBB6_12270-.Lpost_getpc21)>>32
	s_setpc_b64 s[66:67]
.LBB6_6169:                             ; =>This Loop Header: Depth=1
                                        ;     Child Loop BB6_6177 Depth 2
                                        ;     Child Loop BB6_6202 Depth 2
	;; [unrolled: 1-line block ×10, first 2 shown]
	v_sub_co_u32_e32 v0, vcc, v24, v6
	v_subb_co_u32_e32 v1, vcc, v25, v7, vcc
	s_waitcnt vmcnt(0)
	v_cmp_lt_u64_e32 vcc, v[3:4], v[0:1]
	v_cndmask_b32_e64 v4, v1, 0, vcc
	v_cndmask_b32_e32 v3, v0, v3, vcc
	v_add_u32_e32 v0, 15, v3
	v_cmp_eq_u64_e32 vcc, 0, v[3:4]
	v_and_b32_e32 v0, 0x7ffffff0, v0
	v_mov_b32_e32 v1, v3
	v_max_i32_e32 v0, s38, v0
	s_or_b64 s[62:63], s[6:7], vcc
	buffer_store_dword v1, off, s[0:3], s33 offset:316 ; 4-byte Folded Spill
	s_nop 0
	buffer_store_dword v2, off, s[0:3], s33 offset:320 ; 4-byte Folded Spill
	buffer_store_dword v0, off, s[0:3], s33 offset:180 ; 4-byte Folded Spill
	s_xor_b64 s[18:19], s[62:63], -1
	v_mov_b32_e32 v0, v51
	s_and_saveexec_b64 s[72:73], s[18:19]
	s_cbranch_execnz .LBB6_6170
; %bb.16572:                            ;   in Loop: Header=BB6_6169 Depth=1
	s_getpc_b64 s[66:67]
.Lpost_getpc22:
	s_add_u32 s66, s66, (.LBB6_12224-.Lpost_getpc22)&4294967295
	s_addc_u32 s67, s67, (.LBB6_12224-.Lpost_getpc22)>>32
	s_setpc_b64 s[66:67]
.LBB6_6170:                             ;   in Loop: Header=BB6_6169 Depth=1
	s_and_saveexec_b64 s[18:19], s[4:5]
	s_cbranch_execz .LBB6_6172
; %bb.6171:                             ;   in Loop: Header=BB6_6169 Depth=1
	s_trap 2
	ds_read2_b64 v[0:3], v0 offset1:1
	buffer_load_dword v4, off, s[0:3], s33 offset:548 ; 4-byte Folded Reload
	buffer_load_dword v5, off, s[0:3], s33 offset:552 ; 4-byte Folded Reload
	v_mov_b32_e32 v9, v7
	v_mov_b32_e32 v8, v6
	s_waitcnt vmcnt(0)
	v_add_co_u32_e32 v6, vcc, v8, v4
	s_waitcnt vmcnt(0)
	v_addc_co_u32_e32 v7, vcc, v9, v5, vcc
	s_waitcnt lgkmcnt(0)
	ds_read_b64 v[4:5], v0
	v_add_co_u32_e32 v0, vcc, v0, v6
	v_addc_co_u32_e32 v1, vcc, v1, v7, vcc
	ds_write_b64 v0, v[0:1]
	v_add_co_u32_e32 v0, vcc, v2, v6
	v_addc_co_u32_e32 v1, vcc, v3, v7, vcc
	ds_write_b64 v0, v[0:1]
	s_waitcnt lgkmcnt(2)
	v_add_co_u32_e32 v0, vcc, v4, v6
	v_addc_co_u32_e32 v1, vcc, v5, v7, vcc
	v_cmp_ne_u64_e32 vcc, 0, v[4:5]
	v_mov_b32_e32 v6, v8
	v_mov_b32_e32 v7, v9
	v_cndmask_b32_e32 v1, 0, v1, vcc
	v_cndmask_b32_e32 v0, 0, v0, vcc
	ds_write_b64 v0, v[0:1]
.LBB6_6172:                             ;   in Loop: Header=BB6_6169 Depth=1
	s_or_b64 exec, exec, s[18:19]
	buffer_load_dword v0, off, s[0:3], s33 offset:76 ; 4-byte Folded Reload
	s_waitcnt vmcnt(0)
	v_and_b32_e32 v0, 4, v0
	v_cmp_ne_u32_e32 vcc, 0, v0
	s_and_saveexec_b64 s[20:21], vcc
	s_cbranch_execz .LBB6_6194
; %bb.6173:                             ;   in Loop: Header=BB6_6169 Depth=1
	buffer_load_dword v0, off, s[0:3], s33 offset:80 ; 4-byte Folded Reload
	buffer_load_dword v1, off, s[0:3], s33 offset:84 ; 4-byte Folded Reload
	;; [unrolled: 1-line block ×6, first 2 shown]
	s_waitcnt vmcnt(0)
	v_add_co_u32_e32 v10, vcc, 1, v2
	s_waitcnt vmcnt(2)
	v_addc_co_u32_e32 v11, vcc, 0, v3, vcc
	s_waitcnt vmcnt(0)
	v_cmp_lt_u64_e32 vcc, v[0:1], v[10:11]
	s_and_saveexec_b64 s[74:75], vcc
	s_cbranch_execz .LBB6_6185
; %bb.6174:                             ;   in Loop: Header=BB6_6169 Depth=1
	buffer_load_dword v0, off, s[0:3], s33 offset:76 ; 4-byte Folded Reload
	s_mov_b32 s54, 0
	s_mov_b64 s[76:77], 0
                                        ; implicit-def: $sgpr78_sgpr79
                                        ; implicit-def: $sgpr88_sgpr89
                                        ; implicit-def: $sgpr90_sgpr91
	s_waitcnt vmcnt(0)
	v_and_b32_e32 v0, 64, v0
	v_cmp_eq_u32_e32 vcc, 0, v0
	s_branch .LBB6_6177
.LBB6_6175:                             ;   in Loop: Header=BB6_6177 Depth=2
	s_or_b64 exec, exec, s[36:37]
	s_andn2_b64 s[18:19], s[90:91], exec
	s_and_b64 s[90:91], s[30:31], exec
	s_or_b64 s[90:91], s[18:19], s[90:91]
	s_andn2_b64 s[18:19], s[88:89], exec
	s_and_b64 s[88:89], s[94:95], exec
	s_or_b64 s[88:89], s[18:19], s[88:89]
.LBB6_6176:                             ;   in Loop: Header=BB6_6177 Depth=2
	s_or_b64 exec, exec, s[92:93]
	s_and_b64 s[18:19], exec, s[88:89]
	s_or_b64 s[76:77], s[18:19], s[76:77]
	s_andn2_b64 s[18:19], s[78:79], exec
	s_and_b64 s[78:79], s[90:91], exec
	s_or_b64 s[78:79], s[18:19], s[78:79]
	s_andn2_b64 exec, exec, s[76:77]
	s_cbranch_execz .LBB6_6182
.LBB6_6177:                             ;   Parent Loop BB6_6169 Depth=1
                                        ; =>  This Inner Loop Header: Depth=2
	s_sleep 1
	buffer_load_dword v0, off, s[0:3], s33 offset:68 ; 4-byte Folded Reload
	buffer_load_dword v1, off, s[0:3], s33 offset:72 ; 4-byte Folded Reload
	s_or_b64 s[90:91], s[90:91], exec
	s_or_b64 s[88:89], s[88:89], exec
	s_waitcnt vmcnt(0)
	flat_load_dwordx2 v[0:1], v[0:1] glc
	s_waitcnt vmcnt(0) lgkmcnt(0)
	buffer_store_dword v0, off, s[0:3], s33 offset:60 ; 4-byte Folded Spill
	s_nop 0
	buffer_store_dword v1, off, s[0:3], s33 offset:64 ; 4-byte Folded Spill
                                        ; implicit-def: $vgpr0
	s_and_saveexec_b64 s[92:93], vcc
	s_cbranch_execz .LBB6_6176
; %bb.6178:                             ;   in Loop: Header=BB6_6177 Depth=2
	s_cmpk_lt_i32 s54, 0x270f
	s_cselect_b64 s[34:35], -1, 0
	s_cmpk_gt_i32 s54, 0x270e
	s_mov_b64 s[94:95], -1
	s_cbranch_scc0 .LBB6_6180
; %bb.6179:                             ;   in Loop: Header=BB6_6177 Depth=2
	s_trap 2
	ds_read_b64 v[0:1], v0
	s_andn2_b64 s[34:35], s[34:35], exec
	s_mov_b32 s54, 0
	s_mov_b64 s[30:31], 0
	s_waitcnt vmcnt(0) lgkmcnt(0)
	flat_load_dword v0, v[0:1] glc
	s_waitcnt vmcnt(0) lgkmcnt(0)
	buffer_wbinvl1_vol
	v_cmp_eq_u32_e64 s[18:19], 0, v0
	s_and_b64 s[18:19], s[18:19], exec
	s_or_b64 s[34:35], s[34:35], s[18:19]
	s_and_saveexec_b64 s[36:37], s[34:35]
	s_cbranch_execz .LBB6_6175
	s_branch .LBB6_6181
.LBB6_6180:                             ;   in Loop: Header=BB6_6177 Depth=2
	s_add_i32 s54, s54, 1
	s_mov_b64 s[30:31], -1
                                        ; implicit-def: $vgpr0
	s_and_saveexec_b64 s[36:37], s[34:35]
	s_cbranch_execz .LBB6_6175
.LBB6_6181:                             ;   in Loop: Header=BB6_6177 Depth=2
	buffer_load_dword v1, off, s[0:3], s33 offset:60 ; 4-byte Folded Reload
	buffer_load_dword v2, off, s[0:3], s33 offset:64 ; 4-byte Folded Reload
	s_or_b64 s[30:31], s[30:31], exec
	s_waitcnt vmcnt(0)
	v_cmp_ge_u64_e64 s[18:19], v[1:2], v[10:11]
	s_orn2_b64 s[94:95], s[18:19], exec
	s_branch .LBB6_6175
.LBB6_6182:                             ;   in Loop: Header=BB6_6169 Depth=1
	s_or_b64 exec, exec, s[76:77]
	s_xor_b64 s[18:19], s[78:79], -1
	s_and_saveexec_b64 s[76:77], s[18:19]
	s_xor_b64 s[18:19], exec, s[76:77]
	s_cbranch_execz .LBB6_6184
; %bb.6183:                             ;   in Loop: Header=BB6_6169 Depth=1
	ds_write_b32 v0, v0
	s_trap 2
	buffer_load_dword v0, off, s[0:3], s33 offset:76 ; 4-byte Folded Reload
	s_waitcnt vmcnt(0)
	v_or_b32_e32 v0, 64, v0
	buffer_store_dword v0, off, s[0:3], s33 offset:76 ; 4-byte Folded Spill
.LBB6_6184:                             ;   in Loop: Header=BB6_6169 Depth=1
	s_or_b64 exec, exec, s[18:19]
.LBB6_6185:                             ;   in Loop: Header=BB6_6169 Depth=1
	s_or_b64 exec, exec, s[74:75]
	;;#ASMSTART
	s_wakeup
	;;#ASMEND
	buffer_load_dword v0, off, s[0:3], s33 offset:76 ; 4-byte Folded Reload
	s_mov_b64 s[18:19], -1
                                        ; implicit-def: $vgpr8_vgpr9
	s_waitcnt vmcnt(0)
	v_and_b32_e32 v0, 0x100, v0
	v_cmp_ne_u32_e32 vcc, 0, v0
	buffer_load_dword v0, off, s[0:3], s33 offset:80 ; 4-byte Folded Reload
	buffer_load_dword v1, off, s[0:3], s33 offset:84 ; 4-byte Folded Reload
	buffer_load_dword v2, off, s[0:3], s33 offset:88 ; 4-byte Folded Reload
	buffer_load_dword v3, off, s[0:3], s33 offset:92 ; 4-byte Folded Reload
	s_waitcnt vmcnt(0)
	v_and_b32_e32 v0, 7, v2
	s_and_saveexec_b64 s[74:75], vcc
	s_cbranch_execz .LBB6_6189
; %bb.6186:                             ;   in Loop: Header=BB6_6169 Depth=1
	buffer_load_dword v1, off, s[0:3], s33 offset:80 ; 4-byte Folded Reload
	buffer_load_dword v2, off, s[0:3], s33 offset:84 ; 4-byte Folded Reload
	buffer_load_dword v3, off, s[0:3], s33 offset:88 ; 4-byte Folded Reload
	buffer_load_dword v4, off, s[0:3], s33 offset:92 ; 4-byte Folded Reload
                                        ; implicit-def: $vgpr8_vgpr9
	s_waitcnt vmcnt(0)
	v_mad_u64_u32 v[12:13], s[18:19], v0, 24, v[1:2]
	flat_load_dword v1, v[12:13]
	s_waitcnt vmcnt(0) lgkmcnt(0)
	v_cmp_ne_u32_e32 vcc, 1, v1
	v_cmp_eq_u32_e64 s[18:19], 1, v1
	s_and_saveexec_b64 s[76:77], s[18:19]
	s_cbranch_execz .LBB6_6188
; %bb.6187:                             ;   in Loop: Header=BB6_6169 Depth=1
	flat_load_dword v8, v[12:13] offset:4 glc
	s_waitcnt vmcnt(0) lgkmcnt(0)
	v_ashrrev_i32_e32 v9, 31, v8
.LBB6_6188:                             ;   in Loop: Header=BB6_6169 Depth=1
	s_or_b64 exec, exec, s[76:77]
	s_orn2_b64 s[18:19], vcc, exec
.LBB6_6189:                             ;   in Loop: Header=BB6_6169 Depth=1
	s_or_b64 exec, exec, s[74:75]
	s_and_saveexec_b64 s[74:75], s[18:19]
	s_cbranch_execz .LBB6_6191
; %bb.6190:                             ;   in Loop: Header=BB6_6169 Depth=1
	buffer_load_dword v1, off, s[0:3], s33 offset:588 ; 4-byte Folded Reload
	s_waitcnt vmcnt(0)
	v_mad_i64_i32 v[8:9], s[18:19], v0, v1, 0
.LBB6_6191:                             ;   in Loop: Header=BB6_6169 Depth=1
	s_or_b64 exec, exec, s[74:75]
	buffer_load_dword v0, off, s[0:3], s33 offset:524 ; 4-byte Folded Reload
	buffer_load_dword v1, off, s[0:3], s33 offset:528 ; 4-byte Folded Reload
	s_waitcnt vmcnt(0)
	v_add_co_u32_e32 v0, vcc, v0, v8
	s_waitcnt vmcnt(0)
	v_addc_co_u32_e32 v1, vcc, v1, v9, vcc
	ds_write_b64 v0, v[0:1] offset:728
	buffer_load_dword v0, off, s[0:3], s33 offset:76 ; 4-byte Folded Reload
	s_waitcnt vmcnt(0)
	v_and_b32_e32 v0, 0x2000, v0
	v_cmp_ne_u32_e32 vcc, 0, v0
	s_and_saveexec_b64 s[18:19], vcc
	s_cbranch_execz .LBB6_6193
; %bb.6192:                             ;   in Loop: Header=BB6_6169 Depth=1
	ds_read_b64 v[0:1], v0 offset:872
	s_waitcnt lgkmcnt(0)
	v_add_co_u32_e32 v0, vcc, 1, v0
	v_addc_co_u32_e32 v1, vcc, 0, v1, vcc
	ds_write_b64 v0, v[0:1] offset:872
.LBB6_6193:                             ;   in Loop: Header=BB6_6169 Depth=1
	s_or_b64 exec, exec, s[18:19]
	buffer_load_dword v0, off, s[0:3], s33 offset:80 ; 4-byte Folded Reload
	buffer_load_dword v1, off, s[0:3], s33 offset:84 ; 4-byte Folded Reload
	;; [unrolled: 1-line block ×4, first 2 shown]
	s_waitcnt vmcnt(0)
	v_mov_b32_e32 v2, v10
	v_mov_b32_e32 v3, v11
	buffer_store_dword v0, off, s[0:3], s33 offset:80 ; 4-byte Folded Spill
	s_nop 0
	buffer_store_dword v1, off, s[0:3], s33 offset:84 ; 4-byte Folded Spill
	buffer_store_dword v2, off, s[0:3], s33 offset:88 ; 4-byte Folded Spill
	;; [unrolled: 1-line block ×3, first 2 shown]
.LBB6_6194:                             ;   in Loop: Header=BB6_6169 Depth=1
	s_or_b64 exec, exec, s[20:21]
	s_and_saveexec_b64 s[18:19], s[10:11]
	s_cbranch_execz .LBB6_6213
; %bb.6195:                             ;   in Loop: Header=BB6_6169 Depth=1
	s_and_saveexec_b64 s[20:21], s[40:41]
	s_xor_b64 s[20:21], exec, s[20:21]
	s_cbranch_execz .LBB6_6210
; %bb.6196:                             ;   in Loop: Header=BB6_6169 Depth=1
	s_and_saveexec_b64 s[74:75], s[12:13]
	s_cbranch_execz .LBB6_6209
; %bb.6197:                             ;   in Loop: Header=BB6_6169 Depth=1
	s_mov_b64 s[78:79], exec
	v_mbcnt_lo_u32_b32 v0, s78, 0
	v_mbcnt_hi_u32_b32 v0, s79, v0
	v_cmp_eq_u32_e32 vcc, 0, v0
	s_waitcnt vmcnt(0) lgkmcnt(0)
	buffer_wbinvl1_vol
	s_and_saveexec_b64 s[76:77], vcc
	s_cbranch_execz .LBB6_6199
; %bb.6198:                             ;   in Loop: Header=BB6_6169 Depth=1
	s_bcnt1_i32_b64 s78, s[78:79]
	v_mov_b32_e32 v0, s78
	v_mov_b32_e32 v1, v51
	ds_add_u64 v0, v[0:1]
	s_trap 2
.LBB6_6199:                             ;   in Loop: Header=BB6_6169 Depth=1
	s_or_b64 exec, exec, s[76:77]
	s_trap 2
	ds_read_b64 v[0:1], v0
	s_waitcnt lgkmcnt(0)
	buffer_load_dword v2, off, s[0:3], s33 offset:96 ; 4-byte Folded Reload
	buffer_load_dword v3, off, s[0:3], s33 offset:100 ; 4-byte Folded Reload
	;; [unrolled: 1-line block ×3, first 2 shown]
	s_waitcnt vmcnt(0)
	v_add_co_u32_e32 v2, vcc, v2, v4
	v_addc_co_u32_e32 v3, vcc, 0, v3, vcc
	buffer_store_dword v2, off, s[0:3], s33 offset:96 ; 4-byte Folded Spill
	s_nop 0
	buffer_store_dword v3, off, s[0:3], s33 offset:100 ; 4-byte Folded Spill
	v_cmp_lt_u64_e32 vcc, v[0:1], v[2:3]
	s_and_saveexec_b64 s[76:77], vcc
	s_cbranch_execz .LBB6_6208
; %bb.6200:                             ;   in Loop: Header=BB6_6169 Depth=1
	s_mov_b32 s30, 0
	s_mov_b64 s[78:79], 0
                                        ; implicit-def: $sgpr88_sgpr89
                                        ; implicit-def: $sgpr90_sgpr91
	s_branch .LBB6_6202
.LBB6_6201:                             ;   in Loop: Header=BB6_6202 Depth=2
	s_or_b64 exec, exec, s[94:95]
	s_and_b64 s[92:93], exec, vcc
	s_or_b64 s[78:79], s[92:93], s[78:79]
	s_andn2_b64 s[88:89], s[88:89], exec
	s_and_b64 s[92:93], s[90:91], exec
	s_or_b64 s[88:89], s[88:89], s[92:93]
	s_andn2_b64 exec, exec, s[78:79]
	s_cbranch_execz .LBB6_6206
.LBB6_6202:                             ;   Parent Loop BB6_6169 Depth=1
                                        ; =>  This Inner Loop Header: Depth=2
	s_add_i32 s30, s30, 1
	s_cmpk_lg_i32 s30, 0x2710
	s_cselect_b64 s[92:93], -1, 0
	s_and_b64 vcc, exec, s[92:93]
	s_cbranch_vccz .LBB6_6204
; %bb.6203:                             ;   in Loop: Header=BB6_6202 Depth=2
	s_mov_b64 vcc, -1
	s_or_b64 s[90:91], s[90:91], exec
	s_and_saveexec_b64 s[94:95], s[92:93]
	s_cbranch_execz .LBB6_6201
	s_branch .LBB6_6205
.LBB6_6204:                             ;   in Loop: Header=BB6_6202 Depth=2
	s_trap 2
	ds_read_b64 v[0:1], v0
	s_andn2_b64 s[92:93], s[92:93], exec
	s_mov_b32 s30, 0
	s_waitcnt vmcnt(0) lgkmcnt(0)
	flat_load_dword v0, v[0:1] glc
	s_waitcnt vmcnt(0) lgkmcnt(0)
	buffer_wbinvl1_vol
	v_cmp_eq_u32_e32 vcc, 0, v0
	s_and_b64 s[94:95], vcc, exec
	s_or_b64 s[92:93], s[92:93], s[94:95]
	s_mov_b64 vcc, -1
	s_or_b64 s[90:91], s[90:91], exec
	s_and_saveexec_b64 s[94:95], s[92:93]
	s_cbranch_execz .LBB6_6201
.LBB6_6205:                             ;   in Loop: Header=BB6_6202 Depth=2
	s_sleep 1
	s_trap 2
	ds_read_b64 v[0:1], v0
	s_waitcnt lgkmcnt(0)
	buffer_load_dword v2, off, s[0:3], s33 offset:96 ; 4-byte Folded Reload
	buffer_load_dword v3, off, s[0:3], s33 offset:100 ; 4-byte Folded Reload
	s_andn2_b64 s[90:91], s[90:91], exec
	s_waitcnt vmcnt(0)
	v_cmp_ge_u64_e32 vcc, v[0:1], v[2:3]
	s_orn2_b64 vcc, vcc, exec
	s_branch .LBB6_6201
.LBB6_6206:                             ;   in Loop: Header=BB6_6169 Depth=1
	s_or_b64 exec, exec, s[78:79]
	s_and_saveexec_b64 s[78:79], s[88:89]
	s_xor_b64 s[78:79], exec, s[78:79]
	s_cbranch_execz .LBB6_6208
; %bb.6207:                             ;   in Loop: Header=BB6_6169 Depth=1
	v_mov_b32_e32 v0, 1
	ds_write_b32 v0, v0
	s_trap 2
.LBB6_6208:                             ;   in Loop: Header=BB6_6169 Depth=1
	s_or_b64 exec, exec, s[76:77]
	;;#ASMSTART
	s_wakeup
	;;#ASMEND
.LBB6_6209:                             ;   in Loop: Header=BB6_6169 Depth=1
	s_or_b64 exec, exec, s[74:75]
.LBB6_6210:                             ;   in Loop: Header=BB6_6169 Depth=1
	s_andn2_saveexec_b64 s[20:21], s[20:21]
	s_cbranch_execz .LBB6_6212
; %bb.6211:                             ;   in Loop: Header=BB6_6169 Depth=1
	s_waitcnt vmcnt(0) lgkmcnt(0)
	buffer_wbinvl1_vol
	s_barrier
.LBB6_6212:                             ;   in Loop: Header=BB6_6169 Depth=1
	s_or_b64 exec, exec, s[20:21]
.LBB6_6213:                             ;   in Loop: Header=BB6_6169 Depth=1
	s_or_b64 exec, exec, s[18:19]
	s_trap 2
	buffer_load_dword v1, off, s[0:3], s33 offset:76 ; 4-byte Folded Reload
	ds_read_b32 v0, v0
	s_waitcnt vmcnt(0)
	v_and_b32_e32 v1, 0x4000, v1
	v_cmp_ne_u32_e32 vcc, 0, v1
	s_and_b64 s[20:21], s[44:45], vcc
	s_and_saveexec_b64 s[18:19], s[20:21]
	s_cbranch_execz .LBB6_6232
; %bb.6214:                             ;   in Loop: Header=BB6_6169 Depth=1
	s_and_saveexec_b64 s[20:21], s[40:41]
	s_xor_b64 s[20:21], exec, s[20:21]
	s_cbranch_execz .LBB6_6229
; %bb.6215:                             ;   in Loop: Header=BB6_6169 Depth=1
	s_and_saveexec_b64 s[74:75], s[12:13]
	s_cbranch_execz .LBB6_6228
; %bb.6216:                             ;   in Loop: Header=BB6_6169 Depth=1
	s_mov_b64 s[78:79], exec
	v_mbcnt_lo_u32_b32 v1, s78, 0
	v_mbcnt_hi_u32_b32 v1, s79, v1
	v_cmp_eq_u32_e32 vcc, 0, v1
	s_waitcnt lgkmcnt(0)
	buffer_wbinvl1_vol
	s_and_saveexec_b64 s[76:77], vcc
	s_cbranch_execz .LBB6_6218
; %bb.6217:                             ;   in Loop: Header=BB6_6169 Depth=1
	s_bcnt1_i32_b64 s78, s[78:79]
	v_mov_b32_e32 v1, s78
	v_mov_b32_e32 v2, v51
	ds_add_u64 v0, v[1:2]
	s_trap 2
.LBB6_6218:                             ;   in Loop: Header=BB6_6169 Depth=1
	s_or_b64 exec, exec, s[76:77]
	s_trap 2
	ds_read_b64 v[1:2], v0
	s_waitcnt lgkmcnt(0)
	buffer_load_dword v3, off, s[0:3], s33 offset:96 ; 4-byte Folded Reload
	buffer_load_dword v4, off, s[0:3], s33 offset:100 ; 4-byte Folded Reload
	buffer_load_dword v5, off, s[0:3], s33 offset:160 ; 4-byte Folded Reload
	s_waitcnt vmcnt(0)
	v_add_co_u32_e32 v3, vcc, v3, v5
	v_addc_co_u32_e32 v4, vcc, 0, v4, vcc
	buffer_store_dword v3, off, s[0:3], s33 offset:96 ; 4-byte Folded Spill
	s_nop 0
	buffer_store_dword v4, off, s[0:3], s33 offset:100 ; 4-byte Folded Spill
	v_cmp_lt_u64_e32 vcc, v[1:2], v[3:4]
	s_and_saveexec_b64 s[76:77], vcc
	s_cbranch_execz .LBB6_6227
; %bb.6219:                             ;   in Loop: Header=BB6_6169 Depth=1
	s_mov_b32 s30, 0
	s_mov_b64 s[78:79], 0
                                        ; implicit-def: $sgpr88_sgpr89
                                        ; implicit-def: $sgpr90_sgpr91
	s_branch .LBB6_6221
.LBB6_6220:                             ;   in Loop: Header=BB6_6221 Depth=2
	s_or_b64 exec, exec, s[94:95]
	s_and_b64 s[92:93], exec, vcc
	s_or_b64 s[78:79], s[92:93], s[78:79]
	s_andn2_b64 s[88:89], s[88:89], exec
	s_and_b64 s[92:93], s[90:91], exec
	s_or_b64 s[88:89], s[88:89], s[92:93]
	s_andn2_b64 exec, exec, s[78:79]
	s_cbranch_execz .LBB6_6225
.LBB6_6221:                             ;   Parent Loop BB6_6169 Depth=1
                                        ; =>  This Inner Loop Header: Depth=2
	s_add_i32 s30, s30, 1
	s_cmpk_lg_i32 s30, 0x2710
	s_cselect_b64 s[92:93], -1, 0
	s_and_b64 vcc, exec, s[92:93]
	s_cbranch_vccz .LBB6_6223
; %bb.6222:                             ;   in Loop: Header=BB6_6221 Depth=2
	s_mov_b64 vcc, -1
	s_or_b64 s[90:91], s[90:91], exec
	s_and_saveexec_b64 s[94:95], s[92:93]
	s_cbranch_execz .LBB6_6220
	s_branch .LBB6_6224
.LBB6_6223:                             ;   in Loop: Header=BB6_6221 Depth=2
	s_trap 2
	ds_read_b64 v[1:2], v0
	s_andn2_b64 s[92:93], s[92:93], exec
	s_mov_b32 s30, 0
	s_waitcnt vmcnt(0) lgkmcnt(0)
	flat_load_dword v1, v[1:2] glc
	s_waitcnt vmcnt(0) lgkmcnt(0)
	buffer_wbinvl1_vol
	v_cmp_eq_u32_e32 vcc, 0, v1
	s_and_b64 s[94:95], vcc, exec
	s_or_b64 s[92:93], s[92:93], s[94:95]
	s_mov_b64 vcc, -1
	s_or_b64 s[90:91], s[90:91], exec
	s_and_saveexec_b64 s[94:95], s[92:93]
	s_cbranch_execz .LBB6_6220
.LBB6_6224:                             ;   in Loop: Header=BB6_6221 Depth=2
	s_sleep 1
	s_trap 2
	ds_read_b64 v[1:2], v0
	s_waitcnt lgkmcnt(0)
	buffer_load_dword v3, off, s[0:3], s33 offset:96 ; 4-byte Folded Reload
	buffer_load_dword v4, off, s[0:3], s33 offset:100 ; 4-byte Folded Reload
	s_andn2_b64 s[90:91], s[90:91], exec
	s_waitcnt vmcnt(0)
	v_cmp_ge_u64_e32 vcc, v[1:2], v[3:4]
	s_orn2_b64 vcc, vcc, exec
	s_branch .LBB6_6220
.LBB6_6225:                             ;   in Loop: Header=BB6_6169 Depth=1
	s_or_b64 exec, exec, s[78:79]
	s_and_saveexec_b64 s[78:79], s[88:89]
	s_xor_b64 s[78:79], exec, s[78:79]
	s_cbranch_execz .LBB6_6227
; %bb.6226:                             ;   in Loop: Header=BB6_6169 Depth=1
	v_mov_b32_e32 v1, 1
	ds_write_b32 v0, v1
	s_trap 2
.LBB6_6227:                             ;   in Loop: Header=BB6_6169 Depth=1
	s_or_b64 exec, exec, s[76:77]
	;;#ASMSTART
	s_wakeup
	;;#ASMEND
.LBB6_6228:                             ;   in Loop: Header=BB6_6169 Depth=1
	s_or_b64 exec, exec, s[74:75]
.LBB6_6229:                             ;   in Loop: Header=BB6_6169 Depth=1
	s_andn2_saveexec_b64 s[20:21], s[20:21]
	s_cbranch_execz .LBB6_6231
; %bb.6230:                             ;   in Loop: Header=BB6_6169 Depth=1
	s_waitcnt vmcnt(0) lgkmcnt(0)
	buffer_wbinvl1_vol
	s_barrier
.LBB6_6231:                             ;   in Loop: Header=BB6_6169 Depth=1
	s_or_b64 exec, exec, s[20:21]
.LBB6_6232:                             ;   in Loop: Header=BB6_6169 Depth=1
	s_or_b64 exec, exec, s[18:19]
	s_trap 2
	s_waitcnt lgkmcnt(0)
	ds_read_b64 v[52:53], v0
	buffer_load_dword v1, off, s[0:3], s33 offset:316 ; 4-byte Folded Reload
	buffer_load_dword v2, off, s[0:3], s33 offset:320 ; 4-byte Folded Reload
	;; [unrolled: 1-line block ×3, first 2 shown]
	s_waitcnt lgkmcnt(0)
	v_cmp_eq_u64_e32 vcc, 0, v[52:53]
	s_waitcnt vmcnt(0)
	v_min_u32_e32 v2, v2, v1
	buffer_store_dword v2, off, s[0:3], s33 offset:180 ; 4-byte Folded Spill
	s_cbranch_vccnz .LBB6_6240
; %bb.6233:                             ;   in Loop: Header=BB6_6169 Depth=1
	s_trap 2
	ds_read_b64 v[48:49], v0
	s_waitcnt lgkmcnt(0)
	v_cmp_eq_u64_e32 vcc, 0, v[48:49]
	s_cbranch_vccnz .LBB6_6240
; %bb.6234:                             ;   in Loop: Header=BB6_6169 Depth=1
	s_mov_b64 s[20:21], -1
	s_and_saveexec_b64 s[18:19], s[14:15]
	s_cbranch_execz .LBB6_6236
; %bb.6235:                             ;   in Loop: Header=BB6_6169 Depth=1
	ds_read_b32 v1, v0 offset:720
	s_waitcnt lgkmcnt(0)
	v_and_b32_e32 v1, 15, v1
	v_cmp_eq_u32_e32 vcc, 0, v1
	s_orn2_b64 s[20:21], vcc, exec
.LBB6_6236:                             ;   in Loop: Header=BB6_6169 Depth=1
	s_or_b64 exec, exec, s[18:19]
	s_and_saveexec_b64 s[18:19], s[16:17]
	s_cbranch_execz .LBB6_6238
; %bb.6237:                             ;   in Loop: Header=BB6_6169 Depth=1
	ds_read_b32 v1, v0 offset:784
	s_waitcnt lgkmcnt(0)
	v_and_b32_e32 v1, 15, v1
	v_cmp_eq_u32_e32 vcc, 0, v1
	s_and_b64 s[74:75], s[20:21], vcc
	s_andn2_b64 s[20:21], s[20:21], exec
	s_and_b64 s[74:75], s[74:75], exec
	s_or_b64 s[20:21], s[20:21], s[74:75]
.LBB6_6238:                             ;   in Loop: Header=BB6_6169 Depth=1
	s_or_b64 exec, exec, s[18:19]
	buffer_store_dword v6, off, s[0:3], s33 offset:352 ; 4-byte Folded Spill
	s_nop 0
	buffer_store_dword v7, off, s[0:3], s33 offset:356 ; 4-byte Folded Spill
	v_cmp_eq_u32_e32 vcc, 0, v0
	buffer_load_dword v0, off, s[0:3], s33 offset:180 ; 4-byte Folded Reload
	buffer_load_dword v4, off, s[0:3], s33 offset:532 ; 4-byte Folded Reload
	s_xor_b64 s[20:21], s[20:21], -1
	s_mov_b64 s[18:19], -1
	v_mov_b32_e32 v8, 0
	s_waitcnt vmcnt(1)
	v_cndmask_b32_e32 v1, 0, v0, vcc
	v_cndmask_b32_e64 v0, 0, 1, s[20:21]
	v_cmp_ne_u32_e32 vcc, 0, v0
	v_mov_b32_e32 v3, v1
	buffer_store_dword v1, off, s[0:3], s33 offset:348 ; 4-byte Folded Spill
	s_cbranch_vccz .LBB6_6241
; %bb.6239:                             ;   in Loop: Header=BB6_6169 Depth=1
	s_and_saveexec_b64 s[20:21], s[18:19]
	s_cbranch_execnz .LBB6_10268
; %bb.16542:                            ;   in Loop: Header=BB6_6169 Depth=1
	s_getpc_b64 s[66:67]
.Lpost_getpc7:
	s_add_u32 s66, s66, (.LBB6_12200-.Lpost_getpc7)&4294967295
	s_addc_u32 s67, s67, (.LBB6_12200-.Lpost_getpc7)>>32
	s_setpc_b64 s[66:67]
.LBB6_6240:                             ;   in Loop: Header=BB6_6169 Depth=1
	s_mov_b64 s[18:19], 0
	s_and_saveexec_b64 s[20:21], s[10:11]
	s_cbranch_execz .LBB6_16544
; %bb.16574:                            ;   in Loop: Header=BB6_6169 Depth=1
	s_getpc_b64 s[66:67]
.Lpost_getpc23:
	s_add_u32 s66, s66, (.LBB6_12201-.Lpost_getpc23)&4294967295
	s_addc_u32 s67, s67, (.LBB6_12201-.Lpost_getpc23)>>32
	s_setpc_b64 s[66:67]
.LBB6_16544:                            ;   in Loop: Header=BB6_6169 Depth=1
	s_getpc_b64 s[66:67]
.Lpost_getpc8:
	s_add_u32 s66, s66, (.LBB6_12219-.Lpost_getpc8)&4294967295
	s_addc_u32 s67, s67, (.LBB6_12219-.Lpost_getpc8)>>32
	s_setpc_b64 s[66:67]
.LBB6_6241:                             ;   in Loop: Header=BB6_6169 Depth=1
	buffer_load_dword v0, off, s[0:3], s33 offset:348 ; 4-byte Folded Reload
	buffer_load_dword v1, off, s[0:3], s33 offset:360 ; 4-byte Folded Reload
	s_waitcnt vmcnt(1)
	v_lshrrev_b32_e32 v0, 12, v0
	s_waitcnt vmcnt(0)
	v_sub_u32_e32 v26, v0, v1
	v_cmp_lt_i32_e32 vcc, 0, v26
	s_and_saveexec_b64 s[20:21], vcc
	s_cbranch_execz .LBB6_9453
; %bb.6242:                             ;   in Loop: Header=BB6_6169 Depth=1
	s_trap 2
	buffer_load_dword v2, off, s[0:3], s33 offset:392 ; 4-byte Folded Reload
	ds_read_b64 v[0:1], v0
	s_waitcnt lgkmcnt(0)
	v_readfirstlane_b32 s18, v0
	s_and_b32 s19, s18, 7
	s_flbit_i32_b32 s19, s19
	s_min_u32 s19, s19, 32
	s_and_b32 s74, s18, 0x7f
	s_bfe_u32 s75, s18, 0x40003
	s_sub_i32 s76, s19, 28
	s_sub_i32 s19, 29, s19
	s_cmp_lt_u32 s74, 8
	s_cselect_b32 s76, s76, 0
	s_cselect_b32 s19, s19, s75
	s_lshl_b32 s75, s18, 24
	s_lshl_b32 s19, s19, 23
	s_and_b32 s75, s75, 0x80000000
	s_add_i32 s19, s19, 0x3c000000
	s_or_b32 s19, s75, s19
	s_cmpk_lg_i32 s74, 0x7f
	s_mov_b64 s[74:75], 0
	s_waitcnt vmcnt(0)
	v_add_co_u32_e32 v44, vcc, v52, v2
	buffer_store_dword v52, off, s[0:3], s33 offset:376 ; 4-byte Folded Spill
	s_nop 0
	buffer_store_dword v53, off, s[0:3], s33 offset:380 ; 4-byte Folded Spill
	v_addc_co_u32_e32 v45, vcc, 0, v53, vcc
	v_add_co_u32_e32 v46, vcc, v0, v2
	v_addc_co_u32_e32 v47, vcc, 0, v1, vcc
	v_add_co_u32_e32 v55, vcc, v48, v2
	buffer_store_dword v48, off, s[0:3], s33 offset:368 ; 4-byte Folded Spill
	s_nop 0
	buffer_store_dword v49, off, s[0:3], s33 offset:372 ; 4-byte Folded Spill
	v_lshlrev_b64 v[0:1], s76, v[0:1]
	v_mov_b32_e32 v1, 0x7f800001
	v_lshlrev_b32_e32 v0, 20, v0
	v_and_b32_e32 v0, 0x700000, v0
	v_or_b32_e32 v0, s19, v0
	v_addc_co_u32_e32 v56, vcc, 0, v49, vcc
	s_cselect_b64 vcc, -1, 0
	v_cndmask_b32_e32 v0, v1, v0, vcc
	s_and_b32 s92, s18, 0xff
	buffer_store_dword v0, off, s[0:3], s33 offset:340 ; 4-byte Folded Spill
	s_branch .LBB6_6244
.LBB6_6243:                             ;   in Loop: Header=BB6_6244 Depth=2
	s_or_b64 exec, exec, s[18:19]
	v_lshl_or_b32 v11, v57, 8, v43
	v_lshl_or_b32 v5, v23, 8, v5
	v_lshlrev_b32_e32 v12, 16, v20
	v_lshlrev_b32_e32 v13, 24, v58
	;; [unrolled: 1-line block ×4, first 2 shown]
	v_or3_b32 v38, v11, v12, v13
	v_or3_b32 v37, v5, v15, v20
	v_lshl_or_b32 v5, v61, 8, v27
	v_lshlrev_b32_e32 v11, 16, v31
	v_lshlrev_b32_e32 v3, 24, v3
	v_or3_b32 v39, v5, v11, v3
	v_lshl_or_b32 v3, v52, 8, v49
	v_lshlrev_b32_e32 v5, 24, v17
	v_lshlrev_b32_e32 v11, 16, v18
	v_or3_b32 v40, v3, v11, v5
	buffer_load_dword v3, off, s[0:3], s33 offset:252 ; 4-byte Folded Reload
	buffer_load_dword v5, off, s[0:3], s33 offset:272 ; 4-byte Folded Reload
	v_lshlrev_b32_e32 v11, 24, v34
	v_lshl_or_b32 v12, v33, 8, v32
	v_lshlrev_b32_e32 v1, 16, v1
	v_lshlrev_b32_e32 v0, 16, v0
	s_waitcnt vmcnt(0)
	v_lshl_or_b32 v3, v5, 8, v3
	buffer_load_dword v5, off, s[0:3], s33 offset:312 ; 4-byte Folded Reload
	s_waitcnt vmcnt(0)
	v_lshlrev_b32_e32 v5, 16, v5
	v_or3_b32 v32, v3, v5, v11
	buffer_load_dword v3, off, s[0:3], s33 offset:268 ; 4-byte Folded Reload
	buffer_load_dword v5, off, s[0:3], s33 offset:308 ; 4-byte Folded Reload
	s_waitcnt vmcnt(1)
	v_lshlrev_b32_e32 v3, 16, v3
	s_waitcnt vmcnt(0)
	v_lshlrev_b32_e32 v5, 24, v5
	v_or3_b32 v31, v12, v3, v5
	v_lshl_or_b32 v3, v54, 8, v48
	v_lshlrev_b32_e32 v5, 24, v41
	v_or3_b32 v33, v3, v1, v5
	v_lshlrev_b32_e32 v1, 24, v21
	v_lshlrev_b32_e32 v3, 16, v22
	v_lshl_or_b32 v5, v42, 8, v35
	v_or3_b32 v34, v5, v3, v1
	buffer_load_dword v1, off, s[0:3], s33 offset:148 ; 4-byte Folded Reload
	buffer_load_dword v3, off, s[0:3], s33 offset:168 ; 4-byte Folded Reload
	;; [unrolled: 1-line block ×3, first 2 shown]
	s_waitcnt vmcnt(1)
	v_lshl_or_b32 v1, v3, 8, v1
	buffer_load_dword v3, off, s[0:3], s33 offset:196 ; 4-byte Folded Reload
	s_waitcnt vmcnt(1)
	v_lshlrev_b32_e32 v5, 24, v5
	s_waitcnt vmcnt(0)
	v_lshlrev_b32_e32 v3, 16, v3
	v_or3_b32 v21, v1, v3, v5
	buffer_load_dword v1, off, s[0:3], s33 offset:104 ; 4-byte Folded Reload
	buffer_load_dword v3, off, s[0:3], s33 offset:108 ; 4-byte Folded Reload
	v_lshlrev_b32_e32 v5, 24, v24
	s_waitcnt vmcnt(0)
	v_lshl_or_b32 v1, v3, 8, v1
	buffer_load_dword v3, off, s[0:3], s33 offset:116 ; 4-byte Folded Reload
	s_waitcnt vmcnt(0)
	v_lshlrev_b32_e32 v3, 16, v3
	v_or3_b32 v20, v1, v3, v5
	buffer_load_dword v1, off, s[0:3], s33 offset:236 ; 4-byte Folded Reload
	buffer_load_dword v3, off, s[0:3], s33 offset:256 ; 4-byte Folded Reload
	;; [unrolled: 1-line block ×3, first 2 shown]
	s_waitcnt vmcnt(1)
	v_lshl_or_b32 v1, v3, 8, v1
	buffer_load_dword v3, off, s[0:3], s33 offset:280 ; 4-byte Folded Reload
	s_waitcnt vmcnt(1)
	v_lshlrev_b32_e32 v5, 24, v5
	s_waitcnt vmcnt(0)
	v_lshlrev_b32_e32 v3, 16, v3
	v_or3_b32 v22, v1, v3, v5
	buffer_load_dword v1, off, s[0:3], s33 offset:300 ; 4-byte Folded Reload
	buffer_load_dword v3, off, s[0:3], s33 offset:296 ; 4-byte Folded Reload
	;; [unrolled: 1-line block ×4, first 2 shown]
	s_waitcnt vmcnt(3)
	v_lshlrev_b32_e32 v1, 24, v1
	s_waitcnt vmcnt(2)
	v_lshlrev_b32_e32 v3, 16, v3
	s_waitcnt vmcnt(0)
	v_lshl_or_b32 v5, v11, 8, v5
	v_or3_b32 v23, v5, v3, v1
	v_lshl_or_b32 v1, v60, 8, v9
	v_lshlrev_b32_e32 v3, 16, v16
	v_lshlrev_b32_e32 v5, 24, v59
	v_or3_b32 v12, v1, v3, v5
	v_lshl_or_b32 v1, v2, 8, v19
	v_lshlrev_b32_e32 v2, 16, v36
	v_lshlrev_b32_e32 v3, 24, v53
	v_or3_b32 v11, v1, v2, v3
	v_lshl_or_b32 v1, v30, 8, v6
	v_lshlrev_b32_e32 v2, 24, v7
	v_or3_b32 v13, v1, v0, v2
	v_lshlrev_b32_e32 v0, 24, v10
	v_lshlrev_b32_e32 v1, 16, v14
	v_lshl_or_b32 v2, v8, 8, v4
	v_or3_b32 v14, v2, v1, v0
	global_store_dwordx4 v[55:56], v[20:23], off glc slc
	global_store_dwordx4 v[55:56], v[31:34], off offset:1024 glc slc
	global_store_dwordx4 v[55:56], v[37:40], off offset:2048 glc slc
	global_store_dwordx4 v[55:56], v[11:14], off offset:3072 glc slc
	buffer_load_dword v1, off, s[0:3], s33 offset:332 ; 4-byte Folded Reload
	buffer_load_dword v0, off, s[0:3], s33 offset:160 ; 4-byte Folded Reload
	s_waitcnt vmcnt(1)
	v_add_co_u32_e32 v44, vcc, v44, v1
	v_addc_co_u32_e32 v45, vcc, 0, v45, vcc
	v_add_co_u32_e32 v46, vcc, v46, v1
	v_addc_co_u32_e32 v47, vcc, 0, v47, vcc
	s_waitcnt vmcnt(0)
	v_sub_u32_e32 v26, v26, v0
	v_cmp_gt_i32_e32 vcc, 1, v26
	s_or_b64 s[74:75], vcc, s[74:75]
	v_add_co_u32_e32 v55, vcc, v55, v1
	v_addc_co_u32_e32 v56, vcc, 0, v56, vcc
	s_andn2_b64 exec, exec, s[74:75]
	s_cbranch_execz .LBB6_9452
.LBB6_6244:                             ;   Parent Loop BB6_6169 Depth=1
                                        ; =>  This Inner Loop Header: Depth=2
	s_cmpk_lt_i32 s92, 0x80
	s_cbranch_scc1 .LBB6_6248
; %bb.6245:                             ;   in Loop: Header=BB6_6244 Depth=2
	s_and_b32 s18, 0xffff, s92
	s_cmpk_eq_i32 s18, 0x80
	s_mov_b64 s[18:19], -1
	s_cbranch_scc0 .LBB6_6247
; %bb.6246:                             ;   in Loop: Header=BB6_6244 Depth=2
	s_mov_b64 s[18:19], 0
.LBB6_6247:                             ;   in Loop: Header=BB6_6244 Depth=2
	s_brev_b32 s78, 1
	s_branch .LBB6_6250
.LBB6_6248:                             ;   in Loop: Header=BB6_6244 Depth=2
	s_mov_b64 s[18:19], 0
	s_brev_b32 s78, 1
	s_cbranch_execz .LBB6_6250
; %bb.6249:                             ;   in Loop: Header=BB6_6244 Depth=2
	s_and_b32 s18, 0xffff, s92
	s_cmp_lg_u32 s18, 0
	s_mov_b32 s78, 0
	s_cselect_b64 s[18:19], -1, 0
.LBB6_6250:                             ;   in Loop: Header=BB6_6244 Depth=2
	s_andn2_b64 vcc, exec, s[18:19]
	v_mov_b32_e32 v17, s78
	s_cbranch_vccnz .LBB6_6252
; %bb.6251:                             ;   in Loop: Header=BB6_6244 Depth=2
	buffer_load_dword v17, off, s[0:3], s33 offset:340 ; 4-byte Folded Reload
.LBB6_6252:                             ;   in Loop: Header=BB6_6244 Depth=2
	global_load_dwordx4 v[10:13], v[44:45], off glc slc
	v_mov_b32_e32 v0, 0
	s_waitcnt vmcnt(0)
	v_cmp_ne_u16_sdwa s[76:77], v10, v51 src0_sel:BYTE_0 src1_sel:DWORD
	s_and_saveexec_b64 s[18:19], s[76:77]
	s_cbranch_execz .LBB6_6258
; %bb.6253:                             ;   in Loop: Header=BB6_6244 Depth=2
	v_cmp_ne_u16_sdwa s[78:79], v10, s50 src0_sel:BYTE_0 src1_sel:DWORD
	v_bfrev_b32_e32 v0, 1
	s_and_saveexec_b64 s[76:77], s[78:79]
	s_cbranch_execz .LBB6_6257
; %bb.6254:                             ;   in Loop: Header=BB6_6244 Depth=2
	v_and_b32_e32 v1, 0x7f, v10
	v_cmp_ne_u32_e32 vcc, s39, v1
	v_mov_b32_e32 v0, 0x7f800001
	s_and_saveexec_b64 s[78:79], vcc
	s_cbranch_execz .LBB6_6256
; %bb.6255:                             ;   in Loop: Header=BB6_6244 Depth=2
	v_and_b32_e32 v0, 7, v10
	v_ffbh_u32_e32 v0, v0
	v_min_u32_e32 v0, 32, v0
	v_lshrrev_b32_e32 v2, 3, v1
	v_cmp_gt_u32_e32 vcc, 8, v1
	v_subrev_u32_e32 v1, 28, v0
	v_sub_u32_e32 v0, 29, v0
	v_cndmask_b32_e32 v2, v2, v0, vcc
	v_cndmask_b32_e32 v0, 0, v1, vcc
	v_lshlrev_b64 v[0:1], v0, v[10:11]
	v_lshlrev_b32_e32 v1, 24, v10
	v_lshlrev_b32_e32 v0, 20, v0
	v_and_b32_e32 v0, 0x700000, v0
	v_and_b32_e32 v1, 0x80000000, v1
	v_lshl_add_u32 v2, v2, 23, v62
	v_or3_b32 v0, v1, v2, v0
.LBB6_6256:                             ;   in Loop: Header=BB6_6244 Depth=2
	s_or_b64 exec, exec, s[78:79]
.LBB6_6257:                             ;   in Loop: Header=BB6_6244 Depth=2
	s_or_b64 exec, exec, s[76:77]
.LBB6_6258:                             ;   in Loop: Header=BB6_6244 Depth=2
	s_or_b64 exec, exec, s[18:19]
	v_mul_f32_e32 v1, v17, v0
	v_and_b32_e32 v50, 0x7f800000, v1
	v_cmp_ne_u64_e32 vcc, s[46:47], v[50:51]
                                        ; implicit-def: $vgpr30
	s_and_saveexec_b64 s[18:19], vcc
	s_xor_b64 s[76:77], exec, s[18:19]
	s_cbranch_execz .LBB6_6272
; %bb.6259:                             ;   in Loop: Header=BB6_6244 Depth=2
	v_and_b32_e32 v50, 0x7fffffff, v1
	v_cmp_gt_u64_e32 vcc, s[56:57], v[50:51]
	v_and_b32_sdwa v0, v1, s50 dst_sel:DWORD dst_unused:UNUSED_PAD src0_sel:BYTE_3 src1_sel:DWORD
                                        ; implicit-def: $vgpr30
	s_and_saveexec_b64 s[18:19], vcc
	s_xor_b64 s[78:79], exec, s[18:19]
	s_cbranch_execz .LBB6_6269
; %bb.6260:                             ;   in Loop: Header=BB6_6244 Depth=2
	v_mov_b32_e32 v30, 0
	v_cmp_ne_u32_e32 vcc, 0, v1
	s_and_saveexec_b64 s[88:89], vcc
	s_cbranch_execz .LBB6_6268
; %bb.6261:                             ;   in Loop: Header=BB6_6244 Depth=2
	v_and_b32_e32 v3, 0x7fffff, v1
	v_bfe_u32 v1, v1, 23, 8
	v_cmp_gt_u32_e64 s[18:19], s51, v1
	v_sub_u32_e32 v2, 0x79, v1
	v_cmp_eq_u32_e32 vcc, 0, v1
	v_cndmask_b32_e64 v2, 0, v2, s[18:19]
	v_mov_b32_e32 v5, 0x78
	v_or_b32_e32 v4, 0x800000, v3
	v_cndmask_b32_e32 v2, v2, v5, vcc
	v_cndmask_b32_e32 v50, v4, v3, vcc
	v_add_u32_e32 v3, 20, v2
	v_lshlrev_b64 v[3:4], v3, -1
	v_add_u32_e32 v5, 19, v2
	v_lshlrev_b64 v[5:6], v5, 1
	v_lshrrev_b64 v[14:15], v2, v[50:51]
	v_bfi_b32 v4, v4, 0, 0
	v_bfi_b32 v3, v3, 0, v50
	v_cmp_eq_u64_e64 s[18:19], v[3:4], v[5:6]
	v_mov_b32_e32 v16, v15
	v_mov_b32_e32 v15, v14
	s_and_saveexec_b64 s[90:91], s[18:19]
; %bb.6262:                             ;   in Loop: Header=BB6_6244 Depth=2
	v_bfe_u32 v3, v14, 20, 1
	v_add_co_u32_e64 v3, s[18:19], v14, v3
	v_add_co_u32_e64 v15, s[18:19], -1, v3
; %bb.6263:                             ;   in Loop: Header=BB6_6244 Depth=2
	s_or_b64 exec, exec, s[90:91]
	v_add_u32_e32 v1, 0xffffff81, v1
	v_mov_b32_e32 v3, 0xffffff82
	v_cndmask_b32_e32 v1, v1, v3, vcc
	v_lshrrev_b32_e32 v3, 23, v14
	v_add3_u32 v3, v2, v1, v3
	v_add_u32_e32 v2, 6, v3
	v_and_b32_e32 v1, 0xfffff, v15
	v_add_u32_e32 v50, v1, v14
	v_cmp_ne_u32_e32 vcc, 0, v2
                                        ; implicit-def: $vgpr14_vgpr15
                                        ; implicit-def: $vgpr1
	s_and_saveexec_b64 s[18:19], vcc
	s_xor_b64 s[18:19], exec, s[18:19]
; %bb.6264:                             ;   in Loop: Header=BB6_6244 Depth=2
	v_cmp_lt_u64_e32 vcc, s[58:59], v[50:51]
	v_add_u32_e32 v1, 7, v3
	v_cndmask_b32_e32 v1, v2, v1, vcc
	v_cndmask_b32_e64 v2, 0, 1, vcc
	v_lshrrev_b64 v[14:15], v2, v[50:51]
; %bb.6265:                             ;   in Loop: Header=BB6_6244 Depth=2
	s_andn2_saveexec_b64 s[18:19], s[18:19]
; %bb.6266:                             ;   in Loop: Header=BB6_6244 Depth=2
	v_mov_b32_e32 v14, v50
	v_bfe_u32 v1, v50, 23, 1
	v_mov_b32_e32 v15, v51
; %bb.6267:                             ;   in Loop: Header=BB6_6244 Depth=2
	s_or_b64 exec, exec, s[18:19]
	v_lshrrev_b64 v[2:3], 20, v[14:15]
	v_cmp_gt_i32_e32 vcc, 16, v1
	v_cndmask_b32_e32 v3, 0, v3, vcc
	v_cndmask_b32_e32 v2, 7, v2, vcc
	v_cmp_eq_u32_e32 vcc, 0, v1
	v_min_i32_e32 v1, 15, v1
	v_cmp_eq_u64_e64 s[18:19], 0, v[2:3]
	v_lshlrev_b32_e32 v1, 3, v1
	v_and_b32_e32 v1, 0xf8, v1
	v_and_or_b32 v1, v2, 7, v1
	s_and_b64 s[18:19], vcc, s[18:19]
	v_cndmask_b32_e64 v1, v1, 0, s[18:19]
	v_or_b32_e32 v30, v1, v0
.LBB6_6268:                             ;   in Loop: Header=BB6_6244 Depth=2
	s_or_b64 exec, exec, s[88:89]
                                        ; implicit-def: $vgpr0
.LBB6_6269:                             ;   in Loop: Header=BB6_6244 Depth=2
	s_andn2_saveexec_b64 s[18:19], s[78:79]
; %bb.6270:                             ;   in Loop: Header=BB6_6244 Depth=2
	v_or_b32_e32 v30, 0x7e, v0
; %bb.6271:                             ;   in Loop: Header=BB6_6244 Depth=2
	s_or_b64 exec, exec, s[18:19]
                                        ; implicit-def: $vgpr1
.LBB6_6272:                             ;   in Loop: Header=BB6_6244 Depth=2
	s_andn2_saveexec_b64 s[18:19], s[76:77]
; %bb.6273:                             ;   in Loop: Header=BB6_6244 Depth=2
	v_or_b32_sdwa v30, v1, s39 dst_sel:DWORD dst_unused:UNUSED_PAD src0_sel:BYTE_3 src1_sel:DWORD
; %bb.6274:                             ;   in Loop: Header=BB6_6244 Depth=2
	s_or_b64 exec, exec, s[18:19]
	v_lshrrev_b16_e32 v14, 8, v10
	v_cmp_ne_u16_e32 vcc, 0, v14
	v_mov_b32_e32 v0, 0
	s_and_saveexec_b64 s[18:19], vcc
	s_cbranch_execz .LBB6_6280
; %bb.6275:                             ;   in Loop: Header=BB6_6244 Depth=2
	v_cmp_ne_u16_e32 vcc, s50, v14
	v_bfrev_b32_e32 v0, 1
	s_and_saveexec_b64 s[76:77], vcc
	s_cbranch_execz .LBB6_6279
; %bb.6276:                             ;   in Loop: Header=BB6_6244 Depth=2
	v_and_b32_e32 v1, 0x7f, v14
	v_cmp_ne_u32_e32 vcc, s39, v1
	v_mov_b32_e32 v0, 0x7f800001
	s_and_saveexec_b64 s[78:79], vcc
	s_cbranch_execz .LBB6_6278
; %bb.6277:                             ;   in Loop: Header=BB6_6244 Depth=2
	v_and_b32_e32 v2, 7, v14
	v_ffbh_u32_e32 v0, v2
	v_min_u32_e32 v4, 32, v0
	v_subrev_u32_e32 v0, 28, v4
	v_lshrrev_b32_e32 v3, 3, v1
	v_cmp_gt_u32_e32 vcc, 8, v1
	v_lshlrev_b64 v[0:1], v0, v[14:15]
	v_sub_u32_e32 v1, 29, v4
	v_and_b32_e32 v0, 7, v0
	v_cndmask_b32_e32 v1, v3, v1, vcc
	v_cndmask_b32_e32 v0, v2, v0, vcc
	v_lshlrev_b32_e32 v2, 16, v10
	v_lshlrev_b32_e32 v0, 20, v0
	v_and_b32_e32 v2, 0x80000000, v2
	v_lshl_add_u32 v1, v1, 23, v62
	v_or3_b32 v0, v2, v1, v0
.LBB6_6278:                             ;   in Loop: Header=BB6_6244 Depth=2
	s_or_b64 exec, exec, s[78:79]
.LBB6_6279:                             ;   in Loop: Header=BB6_6244 Depth=2
	s_or_b64 exec, exec, s[76:77]
.LBB6_6280:                             ;   in Loop: Header=BB6_6244 Depth=2
	s_or_b64 exec, exec, s[18:19]
	v_mul_f32_e32 v1, v17, v0
	v_and_b32_e32 v50, 0x7f800000, v1
	v_cmp_ne_u64_e32 vcc, s[46:47], v[50:51]
                                        ; implicit-def: $vgpr57
	s_and_saveexec_b64 s[18:19], vcc
	s_xor_b64 s[76:77], exec, s[18:19]
	s_cbranch_execz .LBB6_6294
; %bb.6281:                             ;   in Loop: Header=BB6_6244 Depth=2
	v_and_b32_e32 v50, 0x7fffffff, v1
	v_cmp_gt_u64_e32 vcc, s[56:57], v[50:51]
	v_and_b32_sdwa v0, v1, s50 dst_sel:DWORD dst_unused:UNUSED_PAD src0_sel:BYTE_3 src1_sel:DWORD
                                        ; implicit-def: $vgpr57
	s_and_saveexec_b64 s[18:19], vcc
	s_xor_b64 s[78:79], exec, s[18:19]
	s_cbranch_execz .LBB6_6291
; %bb.6282:                             ;   in Loop: Header=BB6_6244 Depth=2
	v_mov_b32_e32 v57, 0
	v_cmp_ne_u32_e32 vcc, 0, v1
	s_and_saveexec_b64 s[88:89], vcc
	s_cbranch_execz .LBB6_6290
; %bb.6283:                             ;   in Loop: Header=BB6_6244 Depth=2
	v_and_b32_e32 v3, 0x7fffff, v1
	v_bfe_u32 v1, v1, 23, 8
	v_cmp_gt_u32_e64 s[18:19], s51, v1
	v_sub_u32_e32 v2, 0x79, v1
	v_cmp_eq_u32_e32 vcc, 0, v1
	v_cndmask_b32_e64 v2, 0, v2, s[18:19]
	v_mov_b32_e32 v5, 0x78
	v_or_b32_e32 v4, 0x800000, v3
	v_cndmask_b32_e32 v2, v2, v5, vcc
	v_cndmask_b32_e32 v50, v4, v3, vcc
	v_add_u32_e32 v3, 20, v2
	v_lshlrev_b64 v[3:4], v3, -1
	v_add_u32_e32 v5, 19, v2
	v_lshlrev_b64 v[5:6], v5, 1
	v_lshrrev_b64 v[14:15], v2, v[50:51]
	v_bfi_b32 v4, v4, 0, 0
	v_bfi_b32 v3, v3, 0, v50
	v_cmp_eq_u64_e64 s[18:19], v[3:4], v[5:6]
	v_mov_b32_e32 v16, v15
	v_mov_b32_e32 v15, v14
	s_and_saveexec_b64 s[90:91], s[18:19]
; %bb.6284:                             ;   in Loop: Header=BB6_6244 Depth=2
	v_bfe_u32 v3, v14, 20, 1
	v_add_co_u32_e64 v3, s[18:19], v14, v3
	v_add_co_u32_e64 v15, s[18:19], -1, v3
; %bb.6285:                             ;   in Loop: Header=BB6_6244 Depth=2
	s_or_b64 exec, exec, s[90:91]
	v_add_u32_e32 v1, 0xffffff81, v1
	v_mov_b32_e32 v3, 0xffffff82
	v_cndmask_b32_e32 v1, v1, v3, vcc
	v_lshrrev_b32_e32 v3, 23, v14
	v_add3_u32 v3, v2, v1, v3
	v_add_u32_e32 v2, 6, v3
	v_and_b32_e32 v1, 0xfffff, v15
	v_add_u32_e32 v50, v1, v14
	v_cmp_ne_u32_e32 vcc, 0, v2
                                        ; implicit-def: $vgpr14_vgpr15
                                        ; implicit-def: $vgpr1
	s_and_saveexec_b64 s[18:19], vcc
	s_xor_b64 s[18:19], exec, s[18:19]
; %bb.6286:                             ;   in Loop: Header=BB6_6244 Depth=2
	v_cmp_lt_u64_e32 vcc, s[58:59], v[50:51]
	v_add_u32_e32 v1, 7, v3
	v_cndmask_b32_e32 v1, v2, v1, vcc
	v_cndmask_b32_e64 v2, 0, 1, vcc
	v_lshrrev_b64 v[14:15], v2, v[50:51]
; %bb.6287:                             ;   in Loop: Header=BB6_6244 Depth=2
	s_andn2_saveexec_b64 s[18:19], s[18:19]
; %bb.6288:                             ;   in Loop: Header=BB6_6244 Depth=2
	v_mov_b32_e32 v14, v50
	v_bfe_u32 v1, v50, 23, 1
	v_mov_b32_e32 v15, v51
; %bb.6289:                             ;   in Loop: Header=BB6_6244 Depth=2
	s_or_b64 exec, exec, s[18:19]
	v_lshrrev_b64 v[2:3], 20, v[14:15]
	v_cmp_gt_i32_e32 vcc, 16, v1
	v_cndmask_b32_e32 v3, 0, v3, vcc
	v_cndmask_b32_e32 v2, 7, v2, vcc
	v_cmp_eq_u32_e32 vcc, 0, v1
	v_min_i32_e32 v1, 15, v1
	v_cmp_eq_u64_e64 s[18:19], 0, v[2:3]
	v_lshlrev_b32_e32 v1, 3, v1
	v_and_b32_e32 v1, 0xf8, v1
	v_and_or_b32 v1, v2, 7, v1
	s_and_b64 s[18:19], vcc, s[18:19]
	v_cndmask_b32_e64 v1, v1, 0, s[18:19]
	v_or_b32_e32 v57, v1, v0
.LBB6_6290:                             ;   in Loop: Header=BB6_6244 Depth=2
	s_or_b64 exec, exec, s[88:89]
                                        ; implicit-def: $vgpr0
.LBB6_6291:                             ;   in Loop: Header=BB6_6244 Depth=2
	s_andn2_saveexec_b64 s[18:19], s[78:79]
; %bb.6292:                             ;   in Loop: Header=BB6_6244 Depth=2
	v_or_b32_e32 v57, 0x7e, v0
; %bb.6293:                             ;   in Loop: Header=BB6_6244 Depth=2
	s_or_b64 exec, exec, s[18:19]
                                        ; implicit-def: $vgpr1
.LBB6_6294:                             ;   in Loop: Header=BB6_6244 Depth=2
	s_andn2_saveexec_b64 s[18:19], s[76:77]
; %bb.6295:                             ;   in Loop: Header=BB6_6244 Depth=2
	v_or_b32_sdwa v57, v1, s39 dst_sel:DWORD dst_unused:UNUSED_PAD src0_sel:BYTE_3 src1_sel:DWORD
; %bb.6296:                             ;   in Loop: Header=BB6_6244 Depth=2
	s_or_b64 exec, exec, s[18:19]
	v_lshrrev_b32_e32 v14, 16, v10
	v_cmp_ne_u16_sdwa s[76:77], v14, v51 src0_sel:BYTE_0 src1_sel:DWORD
	v_mov_b32_e32 v0, 0
	s_and_saveexec_b64 s[18:19], s[76:77]
	s_cbranch_execz .LBB6_6302
; %bb.6297:                             ;   in Loop: Header=BB6_6244 Depth=2
	v_cmp_ne_u16_sdwa s[78:79], v14, s50 src0_sel:BYTE_0 src1_sel:DWORD
	v_bfrev_b32_e32 v0, 1
	s_and_saveexec_b64 s[76:77], s[78:79]
	s_cbranch_execz .LBB6_6301
; %bb.6298:                             ;   in Loop: Header=BB6_6244 Depth=2
	v_bfe_u32 v1, v10, 16, 7
	v_cmp_ne_u32_e32 vcc, s39, v1
	v_mov_b32_e32 v0, 0x7f800001
	s_and_saveexec_b64 s[78:79], vcc
	s_cbranch_execz .LBB6_6300
; %bb.6299:                             ;   in Loop: Header=BB6_6244 Depth=2
	v_and_b32_e32 v2, 7, v14
	v_ffbh_u32_e32 v0, v2
	v_min_u32_e32 v4, 32, v0
	v_subrev_u32_e32 v0, 28, v4
	v_lshrrev_b32_e32 v3, 3, v1
	v_cmp_gt_u32_e32 vcc, 8, v1
	v_lshlrev_b64 v[0:1], v0, v[14:15]
	v_sub_u32_e32 v1, 29, v4
	v_and_b32_e32 v0, 7, v0
	v_cndmask_b32_e32 v1, v3, v1, vcc
	v_cndmask_b32_e32 v0, v2, v0, vcc
	v_lshlrev_b32_e32 v2, 24, v14
	v_lshlrev_b32_e32 v0, 20, v0
	v_and_b32_e32 v2, 0x80000000, v2
	v_lshl_add_u32 v1, v1, 23, v62
	v_or3_b32 v0, v2, v1, v0
.LBB6_6300:                             ;   in Loop: Header=BB6_6244 Depth=2
	s_or_b64 exec, exec, s[78:79]
.LBB6_6301:                             ;   in Loop: Header=BB6_6244 Depth=2
	s_or_b64 exec, exec, s[76:77]
.LBB6_6302:                             ;   in Loop: Header=BB6_6244 Depth=2
	s_or_b64 exec, exec, s[18:19]
	v_mul_f32_e32 v1, v17, v0
	v_and_b32_e32 v50, 0x7f800000, v1
	v_cmp_ne_u64_e32 vcc, s[46:47], v[50:51]
                                        ; implicit-def: $vgpr58
	s_and_saveexec_b64 s[18:19], vcc
	s_xor_b64 s[76:77], exec, s[18:19]
	s_cbranch_execz .LBB6_6316
; %bb.6303:                             ;   in Loop: Header=BB6_6244 Depth=2
	v_and_b32_e32 v50, 0x7fffffff, v1
	v_cmp_gt_u64_e32 vcc, s[56:57], v[50:51]
	v_and_b32_sdwa v0, v1, s50 dst_sel:DWORD dst_unused:UNUSED_PAD src0_sel:BYTE_3 src1_sel:DWORD
                                        ; implicit-def: $vgpr58
	s_and_saveexec_b64 s[18:19], vcc
	s_xor_b64 s[78:79], exec, s[18:19]
	s_cbranch_execz .LBB6_6313
; %bb.6304:                             ;   in Loop: Header=BB6_6244 Depth=2
	v_mov_b32_e32 v58, 0
	v_cmp_ne_u32_e32 vcc, 0, v1
	s_and_saveexec_b64 s[88:89], vcc
	s_cbranch_execz .LBB6_6312
; %bb.6305:                             ;   in Loop: Header=BB6_6244 Depth=2
	v_and_b32_e32 v3, 0x7fffff, v1
	v_bfe_u32 v1, v1, 23, 8
	v_cmp_gt_u32_e64 s[18:19], s51, v1
	v_sub_u32_e32 v2, 0x79, v1
	v_cmp_eq_u32_e32 vcc, 0, v1
	v_cndmask_b32_e64 v2, 0, v2, s[18:19]
	v_mov_b32_e32 v5, 0x78
	v_or_b32_e32 v4, 0x800000, v3
	v_cndmask_b32_e32 v2, v2, v5, vcc
	v_cndmask_b32_e32 v50, v4, v3, vcc
	v_add_u32_e32 v3, 20, v2
	v_lshlrev_b64 v[3:4], v3, -1
	v_add_u32_e32 v5, 19, v2
	v_lshlrev_b64 v[5:6], v5, 1
	v_lshrrev_b64 v[14:15], v2, v[50:51]
	v_bfi_b32 v4, v4, 0, 0
	v_bfi_b32 v3, v3, 0, v50
	v_cmp_eq_u64_e64 s[18:19], v[3:4], v[5:6]
	v_mov_b32_e32 v16, v15
	v_mov_b32_e32 v15, v14
	s_and_saveexec_b64 s[90:91], s[18:19]
; %bb.6306:                             ;   in Loop: Header=BB6_6244 Depth=2
	v_bfe_u32 v3, v14, 20, 1
	v_add_co_u32_e64 v3, s[18:19], v14, v3
	v_add_co_u32_e64 v15, s[18:19], -1, v3
; %bb.6307:                             ;   in Loop: Header=BB6_6244 Depth=2
	s_or_b64 exec, exec, s[90:91]
	v_add_u32_e32 v1, 0xffffff81, v1
	v_mov_b32_e32 v3, 0xffffff82
	v_cndmask_b32_e32 v1, v1, v3, vcc
	v_lshrrev_b32_e32 v3, 23, v14
	v_add3_u32 v3, v2, v1, v3
	v_add_u32_e32 v2, 6, v3
	v_and_b32_e32 v1, 0xfffff, v15
	v_add_u32_e32 v50, v1, v14
	v_cmp_ne_u32_e32 vcc, 0, v2
                                        ; implicit-def: $vgpr14_vgpr15
                                        ; implicit-def: $vgpr1
	s_and_saveexec_b64 s[18:19], vcc
	s_xor_b64 s[18:19], exec, s[18:19]
; %bb.6308:                             ;   in Loop: Header=BB6_6244 Depth=2
	v_cmp_lt_u64_e32 vcc, s[58:59], v[50:51]
	v_add_u32_e32 v1, 7, v3
	v_cndmask_b32_e32 v1, v2, v1, vcc
	v_cndmask_b32_e64 v2, 0, 1, vcc
	v_lshrrev_b64 v[14:15], v2, v[50:51]
; %bb.6309:                             ;   in Loop: Header=BB6_6244 Depth=2
	s_andn2_saveexec_b64 s[18:19], s[18:19]
; %bb.6310:                             ;   in Loop: Header=BB6_6244 Depth=2
	v_mov_b32_e32 v14, v50
	v_bfe_u32 v1, v50, 23, 1
	v_mov_b32_e32 v15, v51
; %bb.6311:                             ;   in Loop: Header=BB6_6244 Depth=2
	s_or_b64 exec, exec, s[18:19]
	v_lshrrev_b64 v[2:3], 20, v[14:15]
	v_cmp_gt_i32_e32 vcc, 16, v1
	v_cndmask_b32_e32 v3, 0, v3, vcc
	v_cndmask_b32_e32 v2, 7, v2, vcc
	v_cmp_eq_u32_e32 vcc, 0, v1
	v_min_i32_e32 v1, 15, v1
	v_cmp_eq_u64_e64 s[18:19], 0, v[2:3]
	v_lshlrev_b32_e32 v1, 3, v1
	v_and_b32_e32 v1, 0xf8, v1
	v_and_or_b32 v1, v2, 7, v1
	s_and_b64 s[18:19], vcc, s[18:19]
	v_cndmask_b32_e64 v1, v1, 0, s[18:19]
	v_or_b32_e32 v58, v1, v0
.LBB6_6312:                             ;   in Loop: Header=BB6_6244 Depth=2
	s_or_b64 exec, exec, s[88:89]
                                        ; implicit-def: $vgpr0
.LBB6_6313:                             ;   in Loop: Header=BB6_6244 Depth=2
	s_andn2_saveexec_b64 s[18:19], s[78:79]
; %bb.6314:                             ;   in Loop: Header=BB6_6244 Depth=2
	v_or_b32_e32 v58, 0x7e, v0
; %bb.6315:                             ;   in Loop: Header=BB6_6244 Depth=2
	s_or_b64 exec, exec, s[18:19]
                                        ; implicit-def: $vgpr1
.LBB6_6316:                             ;   in Loop: Header=BB6_6244 Depth=2
	s_andn2_saveexec_b64 s[18:19], s[76:77]
; %bb.6317:                             ;   in Loop: Header=BB6_6244 Depth=2
	v_or_b32_sdwa v58, v1, s39 dst_sel:DWORD dst_unused:UNUSED_PAD src0_sel:BYTE_3 src1_sel:DWORD
; %bb.6318:                             ;   in Loop: Header=BB6_6244 Depth=2
	s_or_b64 exec, exec, s[18:19]
	v_cmp_lt_u32_e32 vcc, s61, v10
	v_mov_b32_e32 v0, 0
	s_and_saveexec_b64 s[18:19], vcc
	s_cbranch_execz .LBB6_6324
; %bb.6319:                             ;   in Loop: Header=BB6_6244 Depth=2
	v_lshrrev_b32_e32 v14, 24, v10
	v_cmp_ne_u32_e32 vcc, s50, v14
	v_bfrev_b32_e32 v0, 1
	s_and_saveexec_b64 s[76:77], vcc
	s_cbranch_execz .LBB6_6323
; %bb.6320:                             ;   in Loop: Header=BB6_6244 Depth=2
	v_bfe_u32 v1, v10, 24, 7
	v_cmp_ne_u32_e32 vcc, s39, v1
	v_mov_b32_e32 v0, 0x7f800001
	s_and_saveexec_b64 s[78:79], vcc
	s_cbranch_execz .LBB6_6322
; %bb.6321:                             ;   in Loop: Header=BB6_6244 Depth=2
	v_and_b32_e32 v2, 7, v14
	v_ffbh_u32_e32 v0, v2
	v_min_u32_e32 v4, 32, v0
	v_subrev_u32_e32 v0, 28, v4
	v_lshrrev_b32_e32 v3, 3, v1
	v_cmp_gt_u32_e32 vcc, 8, v1
	v_lshlrev_b64 v[0:1], v0, v[14:15]
	v_sub_u32_e32 v1, 29, v4
	v_and_b32_e32 v0, 7, v0
	v_cndmask_b32_e32 v1, v3, v1, vcc
	v_cndmask_b32_e32 v0, v2, v0, vcc
	v_lshlrev_b32_e32 v2, 24, v14
	v_lshlrev_b32_e32 v0, 20, v0
	v_and_b32_e32 v2, 0x80000000, v2
	v_lshl_add_u32 v1, v1, 23, v62
	v_or3_b32 v0, v2, v1, v0
.LBB6_6322:                             ;   in Loop: Header=BB6_6244 Depth=2
	s_or_b64 exec, exec, s[78:79]
.LBB6_6323:                             ;   in Loop: Header=BB6_6244 Depth=2
	s_or_b64 exec, exec, s[76:77]
.LBB6_6324:                             ;   in Loop: Header=BB6_6244 Depth=2
	s_or_b64 exec, exec, s[18:19]
	v_mul_f32_e32 v1, v17, v0
	v_and_b32_e32 v50, 0x7f800000, v1
	v_cmp_ne_u64_e32 vcc, s[46:47], v[50:51]
                                        ; implicit-def: $vgpr59
	s_and_saveexec_b64 s[18:19], vcc
	s_xor_b64 s[76:77], exec, s[18:19]
	s_cbranch_execz .LBB6_6338
; %bb.6325:                             ;   in Loop: Header=BB6_6244 Depth=2
	v_and_b32_e32 v50, 0x7fffffff, v1
	v_cmp_gt_u64_e32 vcc, s[56:57], v[50:51]
	v_and_b32_sdwa v0, v1, s50 dst_sel:DWORD dst_unused:UNUSED_PAD src0_sel:BYTE_3 src1_sel:DWORD
                                        ; implicit-def: $vgpr59
	s_and_saveexec_b64 s[18:19], vcc
	s_xor_b64 s[78:79], exec, s[18:19]
	s_cbranch_execz .LBB6_6335
; %bb.6326:                             ;   in Loop: Header=BB6_6244 Depth=2
	v_mov_b32_e32 v59, 0
	v_cmp_ne_u32_e32 vcc, 0, v1
	s_and_saveexec_b64 s[88:89], vcc
	s_cbranch_execz .LBB6_6334
; %bb.6327:                             ;   in Loop: Header=BB6_6244 Depth=2
	v_and_b32_e32 v3, 0x7fffff, v1
	v_bfe_u32 v1, v1, 23, 8
	v_cmp_gt_u32_e64 s[18:19], s51, v1
	v_sub_u32_e32 v2, 0x79, v1
	v_cmp_eq_u32_e32 vcc, 0, v1
	v_cndmask_b32_e64 v2, 0, v2, s[18:19]
	v_mov_b32_e32 v5, 0x78
	v_or_b32_e32 v4, 0x800000, v3
	v_cndmask_b32_e32 v2, v2, v5, vcc
	v_cndmask_b32_e32 v50, v4, v3, vcc
	v_add_u32_e32 v3, 20, v2
	v_lshlrev_b64 v[3:4], v3, -1
	v_add_u32_e32 v5, 19, v2
	v_lshlrev_b64 v[5:6], v5, 1
	v_lshrrev_b64 v[14:15], v2, v[50:51]
	v_bfi_b32 v4, v4, 0, 0
	v_bfi_b32 v3, v3, 0, v50
	v_cmp_eq_u64_e64 s[18:19], v[3:4], v[5:6]
	v_mov_b32_e32 v16, v15
	v_mov_b32_e32 v15, v14
	s_and_saveexec_b64 s[90:91], s[18:19]
; %bb.6328:                             ;   in Loop: Header=BB6_6244 Depth=2
	v_bfe_u32 v3, v14, 20, 1
	v_add_co_u32_e64 v3, s[18:19], v14, v3
	v_add_co_u32_e64 v15, s[18:19], -1, v3
; %bb.6329:                             ;   in Loop: Header=BB6_6244 Depth=2
	s_or_b64 exec, exec, s[90:91]
	v_add_u32_e32 v1, 0xffffff81, v1
	v_mov_b32_e32 v3, 0xffffff82
	v_cndmask_b32_e32 v1, v1, v3, vcc
	v_lshrrev_b32_e32 v3, 23, v14
	v_add3_u32 v3, v2, v1, v3
	v_add_u32_e32 v2, 6, v3
	v_and_b32_e32 v1, 0xfffff, v15
	v_add_u32_e32 v50, v1, v14
	v_cmp_ne_u32_e32 vcc, 0, v2
                                        ; implicit-def: $vgpr14_vgpr15
                                        ; implicit-def: $vgpr1
	s_and_saveexec_b64 s[18:19], vcc
	s_xor_b64 s[18:19], exec, s[18:19]
; %bb.6330:                             ;   in Loop: Header=BB6_6244 Depth=2
	v_cmp_lt_u64_e32 vcc, s[58:59], v[50:51]
	v_add_u32_e32 v1, 7, v3
	v_cndmask_b32_e32 v1, v2, v1, vcc
	v_cndmask_b32_e64 v2, 0, 1, vcc
	v_lshrrev_b64 v[14:15], v2, v[50:51]
; %bb.6331:                             ;   in Loop: Header=BB6_6244 Depth=2
	s_andn2_saveexec_b64 s[18:19], s[18:19]
; %bb.6332:                             ;   in Loop: Header=BB6_6244 Depth=2
	v_mov_b32_e32 v14, v50
	v_bfe_u32 v1, v50, 23, 1
	v_mov_b32_e32 v15, v51
; %bb.6333:                             ;   in Loop: Header=BB6_6244 Depth=2
	s_or_b64 exec, exec, s[18:19]
	v_lshrrev_b64 v[2:3], 20, v[14:15]
	v_cmp_gt_i32_e32 vcc, 16, v1
	v_cndmask_b32_e32 v3, 0, v3, vcc
	v_cndmask_b32_e32 v2, 7, v2, vcc
	v_cmp_eq_u32_e32 vcc, 0, v1
	v_min_i32_e32 v1, 15, v1
	v_cmp_eq_u64_e64 s[18:19], 0, v[2:3]
	v_lshlrev_b32_e32 v1, 3, v1
	v_and_b32_e32 v1, 0xf8, v1
	v_and_or_b32 v1, v2, 7, v1
	s_and_b64 s[18:19], vcc, s[18:19]
	v_cndmask_b32_e64 v1, v1, 0, s[18:19]
	v_or_b32_e32 v59, v1, v0
.LBB6_6334:                             ;   in Loop: Header=BB6_6244 Depth=2
	s_or_b64 exec, exec, s[88:89]
                                        ; implicit-def: $vgpr0
.LBB6_6335:                             ;   in Loop: Header=BB6_6244 Depth=2
	s_andn2_saveexec_b64 s[18:19], s[78:79]
; %bb.6336:                             ;   in Loop: Header=BB6_6244 Depth=2
	v_or_b32_e32 v59, 0x7e, v0
; %bb.6337:                             ;   in Loop: Header=BB6_6244 Depth=2
	s_or_b64 exec, exec, s[18:19]
                                        ; implicit-def: $vgpr1
.LBB6_6338:                             ;   in Loop: Header=BB6_6244 Depth=2
	s_andn2_saveexec_b64 s[18:19], s[76:77]
; %bb.6339:                             ;   in Loop: Header=BB6_6244 Depth=2
	v_or_b32_sdwa v59, v1, s39 dst_sel:DWORD dst_unused:UNUSED_PAD src0_sel:BYTE_3 src1_sel:DWORD
; %bb.6340:                             ;   in Loop: Header=BB6_6244 Depth=2
	s_or_b64 exec, exec, s[18:19]
	v_mov_b32_e32 v50, v11
	v_cmp_ne_u16_sdwa s[76:77], v11, v51 src0_sel:BYTE_0 src1_sel:DWORD
	v_mov_b32_e32 v0, 0
	s_and_saveexec_b64 s[18:19], s[76:77]
	s_cbranch_execz .LBB6_6346
; %bb.6341:                             ;   in Loop: Header=BB6_6244 Depth=2
	v_cmp_ne_u16_sdwa s[78:79], v11, s50 src0_sel:BYTE_0 src1_sel:DWORD
	v_bfrev_b32_e32 v0, 1
	s_and_saveexec_b64 s[76:77], s[78:79]
	s_cbranch_execz .LBB6_6345
; %bb.6342:                             ;   in Loop: Header=BB6_6244 Depth=2
	v_and_b32_e32 v1, 0x7f, v11
	v_cmp_ne_u32_e32 vcc, s39, v1
	v_mov_b32_e32 v0, 0x7f800001
	s_and_saveexec_b64 s[78:79], vcc
	s_cbranch_execz .LBB6_6344
; %bb.6343:                             ;   in Loop: Header=BB6_6244 Depth=2
	v_and_b32_e32 v0, 7, v11
	v_ffbh_u32_e32 v0, v0
	v_min_u32_e32 v0, 32, v0
	v_lshrrev_b32_e32 v2, 3, v1
	v_cmp_gt_u32_e32 vcc, 8, v1
	v_subrev_u32_e32 v1, 28, v0
	v_sub_u32_e32 v0, 29, v0
	v_cndmask_b32_e32 v2, v2, v0, vcc
	v_cndmask_b32_e32 v0, 0, v1, vcc
	v_lshlrev_b64 v[0:1], v0, v[50:51]
	v_lshlrev_b32_e32 v1, 24, v50
	v_lshlrev_b32_e32 v0, 20, v0
	v_and_b32_e32 v0, 0x700000, v0
	v_and_b32_e32 v1, 0x80000000, v1
	v_lshl_add_u32 v2, v2, 23, v62
	v_or3_b32 v0, v1, v2, v0
.LBB6_6344:                             ;   in Loop: Header=BB6_6244 Depth=2
	s_or_b64 exec, exec, s[78:79]
.LBB6_6345:                             ;   in Loop: Header=BB6_6244 Depth=2
	s_or_b64 exec, exec, s[76:77]
.LBB6_6346:                             ;   in Loop: Header=BB6_6244 Depth=2
	s_or_b64 exec, exec, s[18:19]
	v_mul_f32_e32 v1, v17, v0
	v_and_b32_e32 v2, 0x7f800000, v1
	v_mov_b32_e32 v3, v51
	v_cmp_ne_u64_e32 vcc, s[46:47], v[2:3]
                                        ; implicit-def: $vgpr31
	s_and_saveexec_b64 s[18:19], vcc
	s_xor_b64 s[76:77], exec, s[18:19]
	s_cbranch_execz .LBB6_6360
; %bb.6347:                             ;   in Loop: Header=BB6_6244 Depth=2
	v_and_b32_e32 v2, 0x7fffffff, v1
	v_mov_b32_e32 v3, v51
	v_cmp_gt_u64_e32 vcc, s[56:57], v[2:3]
	v_and_b32_sdwa v0, v1, s50 dst_sel:DWORD dst_unused:UNUSED_PAD src0_sel:BYTE_3 src1_sel:DWORD
                                        ; implicit-def: $vgpr31
	s_and_saveexec_b64 s[18:19], vcc
	s_xor_b64 s[78:79], exec, s[18:19]
	s_cbranch_execz .LBB6_6357
; %bb.6348:                             ;   in Loop: Header=BB6_6244 Depth=2
	v_mov_b32_e32 v31, 0
	v_cmp_ne_u32_e32 vcc, 0, v1
	s_and_saveexec_b64 s[88:89], vcc
	s_cbranch_execz .LBB6_6356
; %bb.6349:                             ;   in Loop: Header=BB6_6244 Depth=2
	v_and_b32_e32 v3, 0x7fffff, v1
	v_bfe_u32 v1, v1, 23, 8
	v_cmp_gt_u32_e64 s[18:19], s51, v1
	v_sub_u32_e32 v2, 0x79, v1
	v_cmp_eq_u32_e32 vcc, 0, v1
	v_cndmask_b32_e64 v2, 0, v2, s[18:19]
	v_mov_b32_e32 v5, 0x78
	v_cndmask_b32_e32 v2, v2, v5, vcc
	v_or_b32_e32 v4, 0x800000, v3
	v_add_u32_e32 v5, 20, v2
	v_cndmask_b32_e32 v3, v4, v3, vcc
	v_mov_b32_e32 v4, v51
	v_lshlrev_b64 v[5:6], v5, -1
	v_add_u32_e32 v7, 19, v2
	v_lshlrev_b64 v[7:8], v7, 1
	v_lshrrev_b64 v[14:15], v2, v[3:4]
	v_bfi_b32 v6, v6, 0, 0
	v_bfi_b32 v5, v5, 0, v3
	v_cmp_eq_u64_e64 s[18:19], v[5:6], v[7:8]
	v_mov_b32_e32 v16, v15
	v_mov_b32_e32 v15, v14
	s_and_saveexec_b64 s[90:91], s[18:19]
; %bb.6350:                             ;   in Loop: Header=BB6_6244 Depth=2
	v_bfe_u32 v3, v14, 20, 1
	v_add_co_u32_e64 v3, s[18:19], v14, v3
	v_add_co_u32_e64 v15, s[18:19], -1, v3
; %bb.6351:                             ;   in Loop: Header=BB6_6244 Depth=2
	s_or_b64 exec, exec, s[90:91]
	v_add_u32_e32 v1, 0xffffff81, v1
	v_mov_b32_e32 v3, 0xffffff82
	v_cndmask_b32_e32 v1, v1, v3, vcc
	v_lshrrev_b32_e32 v3, 23, v14
	v_add3_u32 v3, v2, v1, v3
	v_add_u32_e32 v2, 6, v3
	v_and_b32_e32 v1, 0xfffff, v15
	v_add_u32_e32 v14, v1, v14
	v_mov_b32_e32 v15, v51
	v_cmp_ne_u32_e32 vcc, 0, v2
                                        ; implicit-def: $vgpr1
	s_and_saveexec_b64 s[18:19], vcc
	s_xor_b64 s[18:19], exec, s[18:19]
; %bb.6352:                             ;   in Loop: Header=BB6_6244 Depth=2
	v_cmp_lt_u64_e32 vcc, s[58:59], v[14:15]
	v_add_u32_e32 v1, 7, v3
	v_cndmask_b32_e32 v1, v2, v1, vcc
	v_cndmask_b32_e64 v2, 0, 1, vcc
	v_lshrrev_b64 v[14:15], v2, v[14:15]
; %bb.6353:                             ;   in Loop: Header=BB6_6244 Depth=2
	s_andn2_saveexec_b64 s[18:19], s[18:19]
; %bb.6354:                             ;   in Loop: Header=BB6_6244 Depth=2
	v_bfe_u32 v1, v14, 23, 1
; %bb.6355:                             ;   in Loop: Header=BB6_6244 Depth=2
	s_or_b64 exec, exec, s[18:19]
	v_lshrrev_b64 v[2:3], 20, v[14:15]
	v_cmp_gt_i32_e32 vcc, 16, v1
	v_cndmask_b32_e32 v3, 0, v3, vcc
	v_cndmask_b32_e32 v2, 7, v2, vcc
	v_cmp_eq_u32_e32 vcc, 0, v1
	v_min_i32_e32 v1, 15, v1
	v_cmp_eq_u64_e64 s[18:19], 0, v[2:3]
	v_lshlrev_b32_e32 v1, 3, v1
	v_and_b32_e32 v1, 0xf8, v1
	v_and_or_b32 v1, v2, 7, v1
	s_and_b64 s[18:19], vcc, s[18:19]
	v_cndmask_b32_e64 v1, v1, 0, s[18:19]
	v_or_b32_e32 v31, v1, v0
.LBB6_6356:                             ;   in Loop: Header=BB6_6244 Depth=2
	s_or_b64 exec, exec, s[88:89]
                                        ; implicit-def: $vgpr0
.LBB6_6357:                             ;   in Loop: Header=BB6_6244 Depth=2
	s_andn2_saveexec_b64 s[18:19], s[78:79]
; %bb.6358:                             ;   in Loop: Header=BB6_6244 Depth=2
	v_or_b32_e32 v31, 0x7e, v0
; %bb.6359:                             ;   in Loop: Header=BB6_6244 Depth=2
	s_or_b64 exec, exec, s[18:19]
                                        ; implicit-def: $vgpr1
.LBB6_6360:                             ;   in Loop: Header=BB6_6244 Depth=2
	s_andn2_saveexec_b64 s[18:19], s[76:77]
; %bb.6361:                             ;   in Loop: Header=BB6_6244 Depth=2
	v_or_b32_sdwa v31, v1, s39 dst_sel:DWORD dst_unused:UNUSED_PAD src0_sel:BYTE_3 src1_sel:DWORD
; %bb.6362:                             ;   in Loop: Header=BB6_6244 Depth=2
	s_or_b64 exec, exec, s[18:19]
	v_lshrrev_b16_e32 v14, 8, v50
	v_cmp_ne_u16_e32 vcc, 0, v14
	v_mov_b32_e32 v0, 0
	s_and_saveexec_b64 s[18:19], vcc
	s_cbranch_execz .LBB6_6368
; %bb.6363:                             ;   in Loop: Header=BB6_6244 Depth=2
	v_cmp_ne_u16_e32 vcc, s50, v14
	v_bfrev_b32_e32 v0, 1
	s_and_saveexec_b64 s[76:77], vcc
	s_cbranch_execz .LBB6_6367
; %bb.6364:                             ;   in Loop: Header=BB6_6244 Depth=2
	v_and_b32_e32 v1, 0x7f, v14
	v_cmp_ne_u32_e32 vcc, s39, v1
	v_mov_b32_e32 v0, 0x7f800001
	s_and_saveexec_b64 s[78:79], vcc
	s_cbranch_execz .LBB6_6366
; %bb.6365:                             ;   in Loop: Header=BB6_6244 Depth=2
	v_and_b32_e32 v2, 7, v14
	v_ffbh_u32_e32 v0, v2
	v_min_u32_e32 v4, 32, v0
	v_subrev_u32_e32 v0, 28, v4
	v_lshrrev_b32_e32 v3, 3, v1
	v_cmp_gt_u32_e32 vcc, 8, v1
	v_lshlrev_b64 v[0:1], v0, v[14:15]
	v_sub_u32_e32 v1, 29, v4
	v_and_b32_e32 v0, 7, v0
	v_cndmask_b32_e32 v1, v3, v1, vcc
	v_cndmask_b32_e32 v0, v2, v0, vcc
	v_lshlrev_b32_e32 v2, 16, v50
	v_lshlrev_b32_e32 v0, 20, v0
	v_and_b32_e32 v2, 0x80000000, v2
	v_lshl_add_u32 v1, v1, 23, v62
	v_or3_b32 v0, v2, v1, v0
.LBB6_6366:                             ;   in Loop: Header=BB6_6244 Depth=2
	s_or_b64 exec, exec, s[78:79]
.LBB6_6367:                             ;   in Loop: Header=BB6_6244 Depth=2
	s_or_b64 exec, exec, s[76:77]
.LBB6_6368:                             ;   in Loop: Header=BB6_6244 Depth=2
	s_or_b64 exec, exec, s[18:19]
	v_mul_f32_e32 v1, v17, v0
	v_and_b32_e32 v50, 0x7f800000, v1
	v_cmp_ne_u64_e32 vcc, s[46:47], v[50:51]
                                        ; implicit-def: $vgpr54
	s_and_saveexec_b64 s[18:19], vcc
	s_xor_b64 s[76:77], exec, s[18:19]
	s_cbranch_execz .LBB6_6382
; %bb.6369:                             ;   in Loop: Header=BB6_6244 Depth=2
	v_and_b32_e32 v50, 0x7fffffff, v1
	v_cmp_gt_u64_e32 vcc, s[56:57], v[50:51]
	v_and_b32_sdwa v0, v1, s50 dst_sel:DWORD dst_unused:UNUSED_PAD src0_sel:BYTE_3 src1_sel:DWORD
                                        ; implicit-def: $vgpr54
	s_and_saveexec_b64 s[18:19], vcc
	s_xor_b64 s[78:79], exec, s[18:19]
	s_cbranch_execz .LBB6_6379
; %bb.6370:                             ;   in Loop: Header=BB6_6244 Depth=2
	v_mov_b32_e32 v54, 0
	v_cmp_ne_u32_e32 vcc, 0, v1
	s_and_saveexec_b64 s[88:89], vcc
	s_cbranch_execz .LBB6_6378
; %bb.6371:                             ;   in Loop: Header=BB6_6244 Depth=2
	v_and_b32_e32 v3, 0x7fffff, v1
	v_bfe_u32 v1, v1, 23, 8
	v_cmp_gt_u32_e64 s[18:19], s51, v1
	v_sub_u32_e32 v2, 0x79, v1
	v_cmp_eq_u32_e32 vcc, 0, v1
	v_cndmask_b32_e64 v2, 0, v2, s[18:19]
	v_mov_b32_e32 v5, 0x78
	v_or_b32_e32 v4, 0x800000, v3
	v_cndmask_b32_e32 v2, v2, v5, vcc
	v_cndmask_b32_e32 v50, v4, v3, vcc
	v_add_u32_e32 v3, 20, v2
	v_lshlrev_b64 v[3:4], v3, -1
	v_add_u32_e32 v5, 19, v2
	v_lshlrev_b64 v[5:6], v5, 1
	v_lshrrev_b64 v[14:15], v2, v[50:51]
	v_bfi_b32 v4, v4, 0, 0
	v_bfi_b32 v3, v3, 0, v50
	v_cmp_eq_u64_e64 s[18:19], v[3:4], v[5:6]
	v_mov_b32_e32 v16, v15
	v_mov_b32_e32 v15, v14
	s_and_saveexec_b64 s[90:91], s[18:19]
; %bb.6372:                             ;   in Loop: Header=BB6_6244 Depth=2
	v_bfe_u32 v3, v14, 20, 1
	v_add_co_u32_e64 v3, s[18:19], v14, v3
	v_add_co_u32_e64 v15, s[18:19], -1, v3
; %bb.6373:                             ;   in Loop: Header=BB6_6244 Depth=2
	s_or_b64 exec, exec, s[90:91]
	v_add_u32_e32 v1, 0xffffff81, v1
	v_mov_b32_e32 v3, 0xffffff82
	v_cndmask_b32_e32 v1, v1, v3, vcc
	v_lshrrev_b32_e32 v3, 23, v14
	v_add3_u32 v3, v2, v1, v3
	v_add_u32_e32 v2, 6, v3
	v_and_b32_e32 v1, 0xfffff, v15
	v_add_u32_e32 v50, v1, v14
	v_cmp_ne_u32_e32 vcc, 0, v2
                                        ; implicit-def: $vgpr14_vgpr15
                                        ; implicit-def: $vgpr1
	s_and_saveexec_b64 s[18:19], vcc
	s_xor_b64 s[18:19], exec, s[18:19]
; %bb.6374:                             ;   in Loop: Header=BB6_6244 Depth=2
	v_cmp_lt_u64_e32 vcc, s[58:59], v[50:51]
	v_add_u32_e32 v1, 7, v3
	v_cndmask_b32_e32 v1, v2, v1, vcc
	v_cndmask_b32_e64 v2, 0, 1, vcc
	v_lshrrev_b64 v[14:15], v2, v[50:51]
; %bb.6375:                             ;   in Loop: Header=BB6_6244 Depth=2
	s_andn2_saveexec_b64 s[18:19], s[18:19]
; %bb.6376:                             ;   in Loop: Header=BB6_6244 Depth=2
	v_mov_b32_e32 v14, v50
	v_bfe_u32 v1, v50, 23, 1
	v_mov_b32_e32 v15, v51
; %bb.6377:                             ;   in Loop: Header=BB6_6244 Depth=2
	s_or_b64 exec, exec, s[18:19]
	v_lshrrev_b64 v[2:3], 20, v[14:15]
	v_cmp_gt_i32_e32 vcc, 16, v1
	v_cndmask_b32_e32 v3, 0, v3, vcc
	v_cndmask_b32_e32 v2, 7, v2, vcc
	v_cmp_eq_u32_e32 vcc, 0, v1
	v_min_i32_e32 v1, 15, v1
	v_cmp_eq_u64_e64 s[18:19], 0, v[2:3]
	v_lshlrev_b32_e32 v1, 3, v1
	v_and_b32_e32 v1, 0xf8, v1
	v_and_or_b32 v1, v2, 7, v1
	s_and_b64 s[18:19], vcc, s[18:19]
	v_cndmask_b32_e64 v1, v1, 0, s[18:19]
	v_or_b32_e32 v54, v1, v0
.LBB6_6378:                             ;   in Loop: Header=BB6_6244 Depth=2
	s_or_b64 exec, exec, s[88:89]
                                        ; implicit-def: $vgpr0
.LBB6_6379:                             ;   in Loop: Header=BB6_6244 Depth=2
	s_andn2_saveexec_b64 s[18:19], s[78:79]
; %bb.6380:                             ;   in Loop: Header=BB6_6244 Depth=2
	v_or_b32_e32 v54, 0x7e, v0
; %bb.6381:                             ;   in Loop: Header=BB6_6244 Depth=2
	s_or_b64 exec, exec, s[18:19]
                                        ; implicit-def: $vgpr1
.LBB6_6382:                             ;   in Loop: Header=BB6_6244 Depth=2
	s_andn2_saveexec_b64 s[18:19], s[76:77]
; %bb.6383:                             ;   in Loop: Header=BB6_6244 Depth=2
	v_or_b32_sdwa v54, v1, s39 dst_sel:DWORD dst_unused:UNUSED_PAD src0_sel:BYTE_3 src1_sel:DWORD
; %bb.6384:                             ;   in Loop: Header=BB6_6244 Depth=2
	s_or_b64 exec, exec, s[18:19]
	v_lshrrev_b32_e32 v14, 16, v11
	v_cmp_ne_u16_sdwa s[76:77], v14, v51 src0_sel:BYTE_0 src1_sel:DWORD
	v_mov_b32_e32 v0, 0
	s_and_saveexec_b64 s[18:19], s[76:77]
	s_cbranch_execz .LBB6_6390
; %bb.6385:                             ;   in Loop: Header=BB6_6244 Depth=2
	v_cmp_ne_u16_sdwa s[78:79], v14, s50 src0_sel:BYTE_0 src1_sel:DWORD
	v_bfrev_b32_e32 v0, 1
	s_and_saveexec_b64 s[76:77], s[78:79]
	s_cbranch_execz .LBB6_6389
; %bb.6386:                             ;   in Loop: Header=BB6_6244 Depth=2
	v_bfe_u32 v1, v11, 16, 7
	v_cmp_ne_u32_e32 vcc, s39, v1
	v_mov_b32_e32 v0, 0x7f800001
	s_and_saveexec_b64 s[78:79], vcc
	s_cbranch_execz .LBB6_6388
; %bb.6387:                             ;   in Loop: Header=BB6_6244 Depth=2
	v_and_b32_e32 v2, 7, v14
	v_ffbh_u32_e32 v0, v2
	v_min_u32_e32 v4, 32, v0
	v_subrev_u32_e32 v0, 28, v4
	v_lshrrev_b32_e32 v3, 3, v1
	v_cmp_gt_u32_e32 vcc, 8, v1
	v_lshlrev_b64 v[0:1], v0, v[14:15]
	v_sub_u32_e32 v1, 29, v4
	v_and_b32_e32 v0, 7, v0
	v_cndmask_b32_e32 v1, v3, v1, vcc
	v_cndmask_b32_e32 v0, v2, v0, vcc
	v_lshlrev_b32_e32 v2, 24, v14
	v_lshlrev_b32_e32 v0, 20, v0
	v_and_b32_e32 v2, 0x80000000, v2
	v_lshl_add_u32 v1, v1, 23, v62
	v_or3_b32 v0, v2, v1, v0
.LBB6_6388:                             ;   in Loop: Header=BB6_6244 Depth=2
	s_or_b64 exec, exec, s[78:79]
.LBB6_6389:                             ;   in Loop: Header=BB6_6244 Depth=2
	s_or_b64 exec, exec, s[76:77]
.LBB6_6390:                             ;   in Loop: Header=BB6_6244 Depth=2
	s_or_b64 exec, exec, s[18:19]
	v_mul_f32_e32 v1, v17, v0
	v_and_b32_e32 v50, 0x7f800000, v1
	v_cmp_ne_u64_e32 vcc, s[46:47], v[50:51]
                                        ; implicit-def: $vgpr32
	s_and_saveexec_b64 s[18:19], vcc
	s_xor_b64 s[76:77], exec, s[18:19]
	s_cbranch_execz .LBB6_6404
; %bb.6391:                             ;   in Loop: Header=BB6_6244 Depth=2
	v_and_b32_e32 v50, 0x7fffffff, v1
	v_cmp_gt_u64_e32 vcc, s[56:57], v[50:51]
	v_and_b32_sdwa v0, v1, s50 dst_sel:DWORD dst_unused:UNUSED_PAD src0_sel:BYTE_3 src1_sel:DWORD
                                        ; implicit-def: $vgpr32
	s_and_saveexec_b64 s[18:19], vcc
	s_xor_b64 s[78:79], exec, s[18:19]
	s_cbranch_execz .LBB6_6401
; %bb.6392:                             ;   in Loop: Header=BB6_6244 Depth=2
	v_mov_b32_e32 v32, 0
	v_cmp_ne_u32_e32 vcc, 0, v1
	s_and_saveexec_b64 s[88:89], vcc
	s_cbranch_execz .LBB6_6400
; %bb.6393:                             ;   in Loop: Header=BB6_6244 Depth=2
	v_and_b32_e32 v3, 0x7fffff, v1
	v_bfe_u32 v1, v1, 23, 8
	v_cmp_gt_u32_e64 s[18:19], s51, v1
	v_sub_u32_e32 v2, 0x79, v1
	v_cmp_eq_u32_e32 vcc, 0, v1
	v_cndmask_b32_e64 v2, 0, v2, s[18:19]
	v_mov_b32_e32 v5, 0x78
	v_or_b32_e32 v4, 0x800000, v3
	v_cndmask_b32_e32 v2, v2, v5, vcc
	v_cndmask_b32_e32 v50, v4, v3, vcc
	v_add_u32_e32 v3, 20, v2
	v_lshlrev_b64 v[3:4], v3, -1
	v_add_u32_e32 v5, 19, v2
	v_lshlrev_b64 v[5:6], v5, 1
	v_lshrrev_b64 v[14:15], v2, v[50:51]
	v_bfi_b32 v4, v4, 0, 0
	v_bfi_b32 v3, v3, 0, v50
	v_cmp_eq_u64_e64 s[18:19], v[3:4], v[5:6]
	v_mov_b32_e32 v16, v15
	v_mov_b32_e32 v15, v14
	s_and_saveexec_b64 s[90:91], s[18:19]
; %bb.6394:                             ;   in Loop: Header=BB6_6244 Depth=2
	v_bfe_u32 v3, v14, 20, 1
	v_add_co_u32_e64 v3, s[18:19], v14, v3
	v_add_co_u32_e64 v15, s[18:19], -1, v3
; %bb.6395:                             ;   in Loop: Header=BB6_6244 Depth=2
	s_or_b64 exec, exec, s[90:91]
	v_add_u32_e32 v1, 0xffffff81, v1
	v_mov_b32_e32 v3, 0xffffff82
	v_cndmask_b32_e32 v1, v1, v3, vcc
	v_lshrrev_b32_e32 v3, 23, v14
	v_add3_u32 v3, v2, v1, v3
	v_add_u32_e32 v2, 6, v3
	v_and_b32_e32 v1, 0xfffff, v15
	v_add_u32_e32 v50, v1, v14
	v_cmp_ne_u32_e32 vcc, 0, v2
                                        ; implicit-def: $vgpr14_vgpr15
                                        ; implicit-def: $vgpr1
	s_and_saveexec_b64 s[18:19], vcc
	s_xor_b64 s[18:19], exec, s[18:19]
; %bb.6396:                             ;   in Loop: Header=BB6_6244 Depth=2
	v_cmp_lt_u64_e32 vcc, s[58:59], v[50:51]
	v_add_u32_e32 v1, 7, v3
	v_cndmask_b32_e32 v1, v2, v1, vcc
	v_cndmask_b32_e64 v2, 0, 1, vcc
	v_lshrrev_b64 v[14:15], v2, v[50:51]
; %bb.6397:                             ;   in Loop: Header=BB6_6244 Depth=2
	s_andn2_saveexec_b64 s[18:19], s[18:19]
; %bb.6398:                             ;   in Loop: Header=BB6_6244 Depth=2
	v_mov_b32_e32 v14, v50
	v_bfe_u32 v1, v50, 23, 1
	v_mov_b32_e32 v15, v51
; %bb.6399:                             ;   in Loop: Header=BB6_6244 Depth=2
	s_or_b64 exec, exec, s[18:19]
	v_lshrrev_b64 v[2:3], 20, v[14:15]
	v_cmp_gt_i32_e32 vcc, 16, v1
	v_cndmask_b32_e32 v3, 0, v3, vcc
	v_cndmask_b32_e32 v2, 7, v2, vcc
	v_cmp_eq_u32_e32 vcc, 0, v1
	v_min_i32_e32 v1, 15, v1
	v_cmp_eq_u64_e64 s[18:19], 0, v[2:3]
	v_lshlrev_b32_e32 v1, 3, v1
	v_and_b32_e32 v1, 0xf8, v1
	v_and_or_b32 v1, v2, 7, v1
	s_and_b64 s[18:19], vcc, s[18:19]
	v_cndmask_b32_e64 v1, v1, 0, s[18:19]
	v_or_b32_e32 v32, v1, v0
.LBB6_6400:                             ;   in Loop: Header=BB6_6244 Depth=2
	s_or_b64 exec, exec, s[88:89]
                                        ; implicit-def: $vgpr0
.LBB6_6401:                             ;   in Loop: Header=BB6_6244 Depth=2
	s_andn2_saveexec_b64 s[18:19], s[78:79]
; %bb.6402:                             ;   in Loop: Header=BB6_6244 Depth=2
	v_or_b32_e32 v32, 0x7e, v0
; %bb.6403:                             ;   in Loop: Header=BB6_6244 Depth=2
	s_or_b64 exec, exec, s[18:19]
                                        ; implicit-def: $vgpr1
.LBB6_6404:                             ;   in Loop: Header=BB6_6244 Depth=2
	s_andn2_saveexec_b64 s[18:19], s[76:77]
; %bb.6405:                             ;   in Loop: Header=BB6_6244 Depth=2
	v_or_b32_sdwa v32, v1, s39 dst_sel:DWORD dst_unused:UNUSED_PAD src0_sel:BYTE_3 src1_sel:DWORD
; %bb.6406:                             ;   in Loop: Header=BB6_6244 Depth=2
	s_or_b64 exec, exec, s[18:19]
	v_cmp_lt_u64_e32 vcc, s[60:61], v[10:11]
	v_mov_b32_e32 v0, 0
	s_and_saveexec_b64 s[18:19], vcc
	s_cbranch_execz .LBB6_6412
; %bb.6407:                             ;   in Loop: Header=BB6_6244 Depth=2
	v_lshrrev_b32_e32 v10, 24, v11
	v_cmp_ne_u32_e32 vcc, s50, v10
	v_bfrev_b32_e32 v0, 1
	s_and_saveexec_b64 s[76:77], vcc
	s_cbranch_execz .LBB6_6411
; %bb.6408:                             ;   in Loop: Header=BB6_6244 Depth=2
	v_bfe_u32 v1, v11, 24, 7
	v_cmp_ne_u32_e32 vcc, s39, v1
	v_mov_b32_e32 v0, 0x7f800001
	s_and_saveexec_b64 s[78:79], vcc
	s_cbranch_execz .LBB6_6410
; %bb.6409:                             ;   in Loop: Header=BB6_6244 Depth=2
	v_and_b32_e32 v2, 7, v10
	v_ffbh_u32_e32 v0, v2
	v_min_u32_e32 v4, 32, v0
	v_subrev_u32_e32 v0, 28, v4
	v_lshrrev_b32_e32 v3, 3, v1
	v_cmp_gt_u32_e32 vcc, 8, v1
	v_lshlrev_b64 v[0:1], v0, v[10:11]
	v_sub_u32_e32 v1, 29, v4
	v_and_b32_e32 v0, 7, v0
	v_cndmask_b32_e32 v1, v3, v1, vcc
	v_cndmask_b32_e32 v0, v2, v0, vcc
	v_lshlrev_b32_e32 v2, 24, v10
	v_lshlrev_b32_e32 v0, 20, v0
	v_and_b32_e32 v2, 0x80000000, v2
	v_lshl_add_u32 v1, v1, 23, v62
	v_or3_b32 v0, v2, v1, v0
.LBB6_6410:                             ;   in Loop: Header=BB6_6244 Depth=2
	s_or_b64 exec, exec, s[78:79]
.LBB6_6411:                             ;   in Loop: Header=BB6_6244 Depth=2
	s_or_b64 exec, exec, s[76:77]
.LBB6_6412:                             ;   in Loop: Header=BB6_6244 Depth=2
	s_or_b64 exec, exec, s[18:19]
	v_mul_f32_e32 v1, v17, v0
	v_and_b32_e32 v50, 0x7f800000, v1
	v_cmp_ne_u64_e32 vcc, s[46:47], v[50:51]
                                        ; implicit-def: $vgpr37
	s_and_saveexec_b64 s[18:19], vcc
	s_xor_b64 s[76:77], exec, s[18:19]
	s_cbranch_execz .LBB6_6426
; %bb.6413:                             ;   in Loop: Header=BB6_6244 Depth=2
	v_and_b32_e32 v50, 0x7fffffff, v1
	v_cmp_gt_u64_e32 vcc, s[56:57], v[50:51]
	v_and_b32_sdwa v0, v1, s50 dst_sel:DWORD dst_unused:UNUSED_PAD src0_sel:BYTE_3 src1_sel:DWORD
                                        ; implicit-def: $vgpr37
	s_and_saveexec_b64 s[18:19], vcc
	s_xor_b64 s[78:79], exec, s[18:19]
	s_cbranch_execz .LBB6_6423
; %bb.6414:                             ;   in Loop: Header=BB6_6244 Depth=2
	v_mov_b32_e32 v37, 0
	v_cmp_ne_u32_e32 vcc, 0, v1
	s_and_saveexec_b64 s[88:89], vcc
	s_cbranch_execz .LBB6_6422
; %bb.6415:                             ;   in Loop: Header=BB6_6244 Depth=2
	v_and_b32_e32 v3, 0x7fffff, v1
	v_bfe_u32 v1, v1, 23, 8
	v_cmp_gt_u32_e64 s[18:19], s51, v1
	v_sub_u32_e32 v2, 0x79, v1
	v_cmp_eq_u32_e32 vcc, 0, v1
	v_cndmask_b32_e64 v2, 0, v2, s[18:19]
	v_mov_b32_e32 v5, 0x78
	v_or_b32_e32 v4, 0x800000, v3
	v_cndmask_b32_e32 v2, v2, v5, vcc
	v_cndmask_b32_e32 v50, v4, v3, vcc
	v_add_u32_e32 v3, 20, v2
	v_lshlrev_b64 v[3:4], v3, -1
	v_add_u32_e32 v5, 19, v2
	v_lshlrev_b64 v[5:6], v5, 1
	v_lshrrev_b64 v[10:11], v2, v[50:51]
	v_bfi_b32 v4, v4, 0, 0
	v_bfi_b32 v3, v3, 0, v50
	v_cmp_eq_u64_e64 s[18:19], v[3:4], v[5:6]
	v_mov_b32_e32 v15, v11
	v_mov_b32_e32 v14, v10
	s_and_saveexec_b64 s[90:91], s[18:19]
; %bb.6416:                             ;   in Loop: Header=BB6_6244 Depth=2
	v_bfe_u32 v3, v10, 20, 1
	v_add_co_u32_e64 v3, s[18:19], v10, v3
	v_add_co_u32_e64 v14, s[18:19], -1, v3
; %bb.6417:                             ;   in Loop: Header=BB6_6244 Depth=2
	s_or_b64 exec, exec, s[90:91]
	v_add_u32_e32 v1, 0xffffff81, v1
	v_mov_b32_e32 v3, 0xffffff82
	v_cndmask_b32_e32 v1, v1, v3, vcc
	v_lshrrev_b32_e32 v3, 23, v10
	v_add3_u32 v3, v2, v1, v3
	v_add_u32_e32 v2, 6, v3
	v_and_b32_e32 v1, 0xfffff, v14
	v_add_u32_e32 v50, v1, v10
	v_cmp_ne_u32_e32 vcc, 0, v2
                                        ; implicit-def: $vgpr10_vgpr11
                                        ; implicit-def: $vgpr1
	s_and_saveexec_b64 s[18:19], vcc
	s_xor_b64 s[18:19], exec, s[18:19]
; %bb.6418:                             ;   in Loop: Header=BB6_6244 Depth=2
	v_cmp_lt_u64_e32 vcc, s[58:59], v[50:51]
	v_add_u32_e32 v1, 7, v3
	v_cndmask_b32_e32 v1, v2, v1, vcc
	v_cndmask_b32_e64 v2, 0, 1, vcc
	v_lshrrev_b64 v[10:11], v2, v[50:51]
; %bb.6419:                             ;   in Loop: Header=BB6_6244 Depth=2
	s_andn2_saveexec_b64 s[18:19], s[18:19]
; %bb.6420:                             ;   in Loop: Header=BB6_6244 Depth=2
	v_mov_b32_e32 v10, v50
	v_bfe_u32 v1, v50, 23, 1
	v_mov_b32_e32 v11, v51
; %bb.6421:                             ;   in Loop: Header=BB6_6244 Depth=2
	s_or_b64 exec, exec, s[18:19]
	v_lshrrev_b64 v[2:3], 20, v[10:11]
	v_cmp_gt_i32_e32 vcc, 16, v1
	v_cndmask_b32_e32 v3, 0, v3, vcc
	v_cndmask_b32_e32 v2, 7, v2, vcc
	v_cmp_eq_u32_e32 vcc, 0, v1
	v_min_i32_e32 v1, 15, v1
	v_cmp_eq_u64_e64 s[18:19], 0, v[2:3]
	v_lshlrev_b32_e32 v1, 3, v1
	v_and_b32_e32 v1, 0xf8, v1
	v_and_or_b32 v1, v2, 7, v1
	s_and_b64 s[18:19], vcc, s[18:19]
	v_cndmask_b32_e64 v1, v1, 0, s[18:19]
	v_or_b32_e32 v37, v1, v0
.LBB6_6422:                             ;   in Loop: Header=BB6_6244 Depth=2
	s_or_b64 exec, exec, s[88:89]
                                        ; implicit-def: $vgpr0
.LBB6_6423:                             ;   in Loop: Header=BB6_6244 Depth=2
	s_andn2_saveexec_b64 s[18:19], s[78:79]
; %bb.6424:                             ;   in Loop: Header=BB6_6244 Depth=2
	v_or_b32_e32 v37, 0x7e, v0
; %bb.6425:                             ;   in Loop: Header=BB6_6244 Depth=2
	s_or_b64 exec, exec, s[18:19]
                                        ; implicit-def: $vgpr1
.LBB6_6426:                             ;   in Loop: Header=BB6_6244 Depth=2
	s_andn2_saveexec_b64 s[18:19], s[76:77]
; %bb.6427:                             ;   in Loop: Header=BB6_6244 Depth=2
	v_or_b32_sdwa v37, v1, s39 dst_sel:DWORD dst_unused:UNUSED_PAD src0_sel:BYTE_3 src1_sel:DWORD
; %bb.6428:                             ;   in Loop: Header=BB6_6244 Depth=2
	s_or_b64 exec, exec, s[18:19]
	v_cmp_ne_u16_sdwa s[76:77], v12, v51 src0_sel:BYTE_0 src1_sel:DWORD
	v_mov_b32_e32 v0, 0
	s_and_saveexec_b64 s[18:19], s[76:77]
	s_cbranch_execz .LBB6_6434
; %bb.6429:                             ;   in Loop: Header=BB6_6244 Depth=2
	v_cmp_ne_u16_sdwa s[78:79], v12, s50 src0_sel:BYTE_0 src1_sel:DWORD
	v_bfrev_b32_e32 v0, 1
	s_and_saveexec_b64 s[76:77], s[78:79]
	s_cbranch_execz .LBB6_6433
; %bb.6430:                             ;   in Loop: Header=BB6_6244 Depth=2
	v_and_b32_e32 v1, 0x7f, v12
	v_cmp_ne_u32_e32 vcc, s39, v1
	v_mov_b32_e32 v0, 0x7f800001
	s_and_saveexec_b64 s[78:79], vcc
	s_cbranch_execz .LBB6_6432
; %bb.6431:                             ;   in Loop: Header=BB6_6244 Depth=2
	v_and_b32_e32 v0, 7, v12
	v_ffbh_u32_e32 v0, v0
	v_min_u32_e32 v0, 32, v0
	v_lshrrev_b32_e32 v2, 3, v1
	v_cmp_gt_u32_e32 vcc, 8, v1
	v_subrev_u32_e32 v1, 28, v0
	v_sub_u32_e32 v0, 29, v0
	v_cndmask_b32_e32 v2, v2, v0, vcc
	v_cndmask_b32_e32 v0, 0, v1, vcc
	v_lshlrev_b64 v[0:1], v0, v[12:13]
	v_lshlrev_b32_e32 v1, 24, v12
	v_lshlrev_b32_e32 v0, 20, v0
	v_and_b32_e32 v0, 0x700000, v0
	v_and_b32_e32 v1, 0x80000000, v1
	v_lshl_add_u32 v2, v2, 23, v62
	v_or3_b32 v0, v1, v2, v0
.LBB6_6432:                             ;   in Loop: Header=BB6_6244 Depth=2
	s_or_b64 exec, exec, s[78:79]
.LBB6_6433:                             ;   in Loop: Header=BB6_6244 Depth=2
	s_or_b64 exec, exec, s[76:77]
.LBB6_6434:                             ;   in Loop: Header=BB6_6244 Depth=2
	s_or_b64 exec, exec, s[18:19]
	v_mul_f32_e32 v1, v17, v0
	v_and_b32_e32 v50, 0x7f800000, v1
	v_cmp_ne_u64_e32 vcc, s[46:47], v[50:51]
                                        ; implicit-def: $vgpr3
	s_and_saveexec_b64 s[18:19], vcc
	s_xor_b64 s[76:77], exec, s[18:19]
	s_cbranch_execz .LBB6_6448
; %bb.6435:                             ;   in Loop: Header=BB6_6244 Depth=2
	v_and_b32_e32 v50, 0x7fffffff, v1
	v_cmp_gt_u64_e32 vcc, s[56:57], v[50:51]
	v_and_b32_sdwa v0, v1, s50 dst_sel:DWORD dst_unused:UNUSED_PAD src0_sel:BYTE_3 src1_sel:DWORD
                                        ; implicit-def: $vgpr3
	s_and_saveexec_b64 s[18:19], vcc
	s_xor_b64 s[78:79], exec, s[18:19]
	s_cbranch_execz .LBB6_6445
; %bb.6436:                             ;   in Loop: Header=BB6_6244 Depth=2
	v_mov_b32_e32 v3, 0
	v_cmp_ne_u32_e32 vcc, 0, v1
	s_and_saveexec_b64 s[88:89], vcc
	s_cbranch_execz .LBB6_6444
; %bb.6437:                             ;   in Loop: Header=BB6_6244 Depth=2
	v_and_b32_e32 v3, 0x7fffff, v1
	v_bfe_u32 v1, v1, 23, 8
	v_cmp_gt_u32_e64 s[18:19], s51, v1
	v_sub_u32_e32 v2, 0x79, v1
	v_cmp_eq_u32_e32 vcc, 0, v1
	v_cndmask_b32_e64 v2, 0, v2, s[18:19]
	v_mov_b32_e32 v5, 0x78
	v_or_b32_e32 v4, 0x800000, v3
	v_cndmask_b32_e32 v2, v2, v5, vcc
	v_cndmask_b32_e32 v50, v4, v3, vcc
	v_add_u32_e32 v3, 20, v2
	v_lshlrev_b64 v[3:4], v3, -1
	v_add_u32_e32 v5, 19, v2
	v_lshlrev_b64 v[5:6], v5, 1
	v_lshrrev_b64 v[10:11], v2, v[50:51]
	v_bfi_b32 v4, v4, 0, 0
	v_bfi_b32 v3, v3, 0, v50
	v_cmp_eq_u64_e64 s[18:19], v[3:4], v[5:6]
	v_mov_b32_e32 v15, v11
	v_mov_b32_e32 v14, v10
	s_and_saveexec_b64 s[90:91], s[18:19]
; %bb.6438:                             ;   in Loop: Header=BB6_6244 Depth=2
	v_bfe_u32 v3, v10, 20, 1
	v_add_co_u32_e64 v3, s[18:19], v10, v3
	v_add_co_u32_e64 v14, s[18:19], -1, v3
; %bb.6439:                             ;   in Loop: Header=BB6_6244 Depth=2
	s_or_b64 exec, exec, s[90:91]
	v_add_u32_e32 v1, 0xffffff81, v1
	v_mov_b32_e32 v3, 0xffffff82
	v_cndmask_b32_e32 v1, v1, v3, vcc
	v_lshrrev_b32_e32 v3, 23, v10
	v_add3_u32 v3, v2, v1, v3
	v_add_u32_e32 v2, 6, v3
	v_and_b32_e32 v1, 0xfffff, v14
	v_add_u32_e32 v50, v1, v10
	v_cmp_ne_u32_e32 vcc, 0, v2
                                        ; implicit-def: $vgpr10_vgpr11
                                        ; implicit-def: $vgpr1
	s_and_saveexec_b64 s[18:19], vcc
	s_xor_b64 s[18:19], exec, s[18:19]
; %bb.6440:                             ;   in Loop: Header=BB6_6244 Depth=2
	v_cmp_lt_u64_e32 vcc, s[58:59], v[50:51]
	v_add_u32_e32 v1, 7, v3
	v_cndmask_b32_e32 v1, v2, v1, vcc
	v_cndmask_b32_e64 v2, 0, 1, vcc
	v_lshrrev_b64 v[10:11], v2, v[50:51]
; %bb.6441:                             ;   in Loop: Header=BB6_6244 Depth=2
	s_andn2_saveexec_b64 s[18:19], s[18:19]
; %bb.6442:                             ;   in Loop: Header=BB6_6244 Depth=2
	v_mov_b32_e32 v10, v50
	v_bfe_u32 v1, v50, 23, 1
	v_mov_b32_e32 v11, v51
; %bb.6443:                             ;   in Loop: Header=BB6_6244 Depth=2
	s_or_b64 exec, exec, s[18:19]
	v_lshrrev_b64 v[2:3], 20, v[10:11]
	v_cmp_gt_i32_e32 vcc, 16, v1
	v_cndmask_b32_e32 v3, 0, v3, vcc
	v_cndmask_b32_e32 v2, 7, v2, vcc
	v_cmp_eq_u32_e32 vcc, 0, v1
	v_min_i32_e32 v1, 15, v1
	v_cmp_eq_u64_e64 s[18:19], 0, v[2:3]
	v_lshlrev_b32_e32 v1, 3, v1
	v_and_b32_e32 v1, 0xf8, v1
	v_and_or_b32 v1, v2, 7, v1
	s_and_b64 s[18:19], vcc, s[18:19]
	v_cndmask_b32_e64 v1, v1, 0, s[18:19]
	v_or_b32_e32 v3, v1, v0
.LBB6_6444:                             ;   in Loop: Header=BB6_6244 Depth=2
	s_or_b64 exec, exec, s[88:89]
                                        ; implicit-def: $vgpr0
.LBB6_6445:                             ;   in Loop: Header=BB6_6244 Depth=2
	s_andn2_saveexec_b64 s[18:19], s[78:79]
; %bb.6446:                             ;   in Loop: Header=BB6_6244 Depth=2
	v_or_b32_e32 v3, 0x7e, v0
; %bb.6447:                             ;   in Loop: Header=BB6_6244 Depth=2
	s_or_b64 exec, exec, s[18:19]
                                        ; implicit-def: $vgpr1
.LBB6_6448:                             ;   in Loop: Header=BB6_6244 Depth=2
	s_andn2_saveexec_b64 s[18:19], s[76:77]
; %bb.6449:                             ;   in Loop: Header=BB6_6244 Depth=2
	v_or_b32_sdwa v3, v1, s39 dst_sel:DWORD dst_unused:UNUSED_PAD src0_sel:BYTE_3 src1_sel:DWORD
; %bb.6450:                             ;   in Loop: Header=BB6_6244 Depth=2
	s_or_b64 exec, exec, s[18:19]
	v_lshrrev_b16_e32 v10, 8, v12
	v_cmp_ne_u16_e32 vcc, 0, v10
	v_mov_b32_e32 v0, 0
	s_and_saveexec_b64 s[18:19], vcc
	s_cbranch_execz .LBB6_6456
; %bb.6451:                             ;   in Loop: Header=BB6_6244 Depth=2
	v_cmp_ne_u16_e32 vcc, s50, v10
	v_bfrev_b32_e32 v0, 1
	s_and_saveexec_b64 s[76:77], vcc
	s_cbranch_execz .LBB6_6455
; %bb.6452:                             ;   in Loop: Header=BB6_6244 Depth=2
	v_and_b32_e32 v1, 0x7f, v10
	v_cmp_ne_u32_e32 vcc, s39, v1
	v_mov_b32_e32 v0, 0x7f800001
	s_and_saveexec_b64 s[78:79], vcc
	s_cbranch_execz .LBB6_6454
; %bb.6453:                             ;   in Loop: Header=BB6_6244 Depth=2
	v_and_b32_e32 v2, 7, v10
	v_ffbh_u32_e32 v0, v2
	v_min_u32_e32 v5, 32, v0
	v_subrev_u32_e32 v0, 28, v5
	v_lshrrev_b32_e32 v4, 3, v1
	v_cmp_gt_u32_e32 vcc, 8, v1
	v_lshlrev_b64 v[0:1], v0, v[10:11]
	v_sub_u32_e32 v1, 29, v5
	v_and_b32_e32 v0, 7, v0
	v_cndmask_b32_e32 v1, v4, v1, vcc
	v_cndmask_b32_e32 v0, v2, v0, vcc
	v_lshlrev_b32_e32 v2, 16, v12
	v_lshlrev_b32_e32 v0, 20, v0
	v_and_b32_e32 v2, 0x80000000, v2
	v_lshl_add_u32 v1, v1, 23, v62
	v_or3_b32 v0, v2, v1, v0
.LBB6_6454:                             ;   in Loop: Header=BB6_6244 Depth=2
	s_or_b64 exec, exec, s[78:79]
.LBB6_6455:                             ;   in Loop: Header=BB6_6244 Depth=2
	s_or_b64 exec, exec, s[76:77]
.LBB6_6456:                             ;   in Loop: Header=BB6_6244 Depth=2
	s_or_b64 exec, exec, s[18:19]
	v_mul_f32_e32 v1, v17, v0
	v_and_b32_e32 v50, 0x7f800000, v1
	v_cmp_ne_u64_e32 vcc, s[46:47], v[50:51]
                                        ; implicit-def: $vgpr43
	s_and_saveexec_b64 s[18:19], vcc
	s_xor_b64 s[76:77], exec, s[18:19]
	s_cbranch_execz .LBB6_6470
; %bb.6457:                             ;   in Loop: Header=BB6_6244 Depth=2
	v_and_b32_e32 v50, 0x7fffffff, v1
	v_cmp_gt_u64_e32 vcc, s[56:57], v[50:51]
	v_and_b32_sdwa v0, v1, s50 dst_sel:DWORD dst_unused:UNUSED_PAD src0_sel:BYTE_3 src1_sel:DWORD
                                        ; implicit-def: $vgpr43
	s_and_saveexec_b64 s[18:19], vcc
	s_xor_b64 s[78:79], exec, s[18:19]
	s_cbranch_execz .LBB6_6467
; %bb.6458:                             ;   in Loop: Header=BB6_6244 Depth=2
	v_mov_b32_e32 v43, 0
	v_cmp_ne_u32_e32 vcc, 0, v1
	s_and_saveexec_b64 s[88:89], vcc
	s_cbranch_execz .LBB6_6466
; %bb.6459:                             ;   in Loop: Header=BB6_6244 Depth=2
	v_and_b32_e32 v4, 0x7fffff, v1
	v_bfe_u32 v1, v1, 23, 8
	v_cmp_gt_u32_e64 s[18:19], s51, v1
	v_sub_u32_e32 v2, 0x79, v1
	v_cmp_eq_u32_e32 vcc, 0, v1
	v_cndmask_b32_e64 v2, 0, v2, s[18:19]
	v_mov_b32_e32 v6, 0x78
	v_or_b32_e32 v5, 0x800000, v4
	v_cndmask_b32_e32 v2, v2, v6, vcc
	v_cndmask_b32_e32 v50, v5, v4, vcc
	v_add_u32_e32 v4, 20, v2
	v_lshlrev_b64 v[4:5], v4, -1
	v_add_u32_e32 v6, 19, v2
	v_lshlrev_b64 v[6:7], v6, 1
	v_lshrrev_b64 v[10:11], v2, v[50:51]
	v_bfi_b32 v5, v5, 0, 0
	v_bfi_b32 v4, v4, 0, v50
	v_cmp_eq_u64_e64 s[18:19], v[4:5], v[6:7]
	v_mov_b32_e32 v15, v11
	v_mov_b32_e32 v14, v10
	s_and_saveexec_b64 s[90:91], s[18:19]
; %bb.6460:                             ;   in Loop: Header=BB6_6244 Depth=2
	v_bfe_u32 v4, v10, 20, 1
	v_add_co_u32_e64 v4, s[18:19], v10, v4
	v_add_co_u32_e64 v14, s[18:19], -1, v4
; %bb.6461:                             ;   in Loop: Header=BB6_6244 Depth=2
	s_or_b64 exec, exec, s[90:91]
	v_add_u32_e32 v1, 0xffffff81, v1
	v_mov_b32_e32 v4, 0xffffff82
	v_cndmask_b32_e32 v1, v1, v4, vcc
	v_lshrrev_b32_e32 v4, 23, v10
	v_add3_u32 v4, v2, v1, v4
	v_add_u32_e32 v2, 6, v4
	v_and_b32_e32 v1, 0xfffff, v14
	v_add_u32_e32 v50, v1, v10
	v_cmp_ne_u32_e32 vcc, 0, v2
                                        ; implicit-def: $vgpr10_vgpr11
                                        ; implicit-def: $vgpr1
	s_and_saveexec_b64 s[18:19], vcc
	s_xor_b64 s[18:19], exec, s[18:19]
; %bb.6462:                             ;   in Loop: Header=BB6_6244 Depth=2
	v_cmp_lt_u64_e32 vcc, s[58:59], v[50:51]
	v_add_u32_e32 v1, 7, v4
	v_cndmask_b32_e32 v1, v2, v1, vcc
	v_cndmask_b32_e64 v2, 0, 1, vcc
	v_lshrrev_b64 v[10:11], v2, v[50:51]
; %bb.6463:                             ;   in Loop: Header=BB6_6244 Depth=2
	s_andn2_saveexec_b64 s[18:19], s[18:19]
; %bb.6464:                             ;   in Loop: Header=BB6_6244 Depth=2
	v_mov_b32_e32 v10, v50
	v_bfe_u32 v1, v50, 23, 1
	v_mov_b32_e32 v11, v51
; %bb.6465:                             ;   in Loop: Header=BB6_6244 Depth=2
	s_or_b64 exec, exec, s[18:19]
	v_lshrrev_b64 v[4:5], 20, v[10:11]
	v_cmp_gt_i32_e32 vcc, 16, v1
	v_cndmask_b32_e32 v5, 0, v5, vcc
	v_cndmask_b32_e32 v4, 7, v4, vcc
	v_cmp_eq_u32_e32 vcc, 0, v1
	v_min_i32_e32 v1, 15, v1
	v_cmp_eq_u64_e64 s[18:19], 0, v[4:5]
	v_lshlrev_b32_e32 v1, 3, v1
	v_and_b32_e32 v1, 0xf8, v1
	v_and_or_b32 v1, v4, 7, v1
	s_and_b64 s[18:19], vcc, s[18:19]
	v_cndmask_b32_e64 v1, v1, 0, s[18:19]
	v_or_b32_e32 v43, v1, v0
.LBB6_6466:                             ;   in Loop: Header=BB6_6244 Depth=2
	s_or_b64 exec, exec, s[88:89]
                                        ; implicit-def: $vgpr0
.LBB6_6467:                             ;   in Loop: Header=BB6_6244 Depth=2
	s_andn2_saveexec_b64 s[18:19], s[78:79]
; %bb.6468:                             ;   in Loop: Header=BB6_6244 Depth=2
	v_or_b32_e32 v43, 0x7e, v0
; %bb.6469:                             ;   in Loop: Header=BB6_6244 Depth=2
	s_or_b64 exec, exec, s[18:19]
                                        ; implicit-def: $vgpr1
.LBB6_6470:                             ;   in Loop: Header=BB6_6244 Depth=2
	s_andn2_saveexec_b64 s[18:19], s[76:77]
; %bb.6471:                             ;   in Loop: Header=BB6_6244 Depth=2
	v_or_b32_sdwa v43, v1, s39 dst_sel:DWORD dst_unused:UNUSED_PAD src0_sel:BYTE_3 src1_sel:DWORD
; %bb.6472:                             ;   in Loop: Header=BB6_6244 Depth=2
	s_or_b64 exec, exec, s[18:19]
	v_lshrrev_b32_e32 v10, 16, v12
	v_cmp_ne_u16_sdwa s[76:77], v10, v51 src0_sel:BYTE_0 src1_sel:DWORD
	v_mov_b32_e32 v0, 0
	s_and_saveexec_b64 s[18:19], s[76:77]
	s_cbranch_execz .LBB6_6478
; %bb.6473:                             ;   in Loop: Header=BB6_6244 Depth=2
	v_cmp_ne_u16_sdwa s[78:79], v10, s50 src0_sel:BYTE_0 src1_sel:DWORD
	v_bfrev_b32_e32 v0, 1
	s_and_saveexec_b64 s[76:77], s[78:79]
	s_cbranch_execz .LBB6_6477
; %bb.6474:                             ;   in Loop: Header=BB6_6244 Depth=2
	v_bfe_u32 v1, v12, 16, 7
	v_cmp_ne_u32_e32 vcc, s39, v1
	v_mov_b32_e32 v0, 0x7f800001
	s_and_saveexec_b64 s[78:79], vcc
	s_cbranch_execz .LBB6_6476
; %bb.6475:                             ;   in Loop: Header=BB6_6244 Depth=2
	v_and_b32_e32 v2, 7, v10
	v_ffbh_u32_e32 v0, v2
	v_min_u32_e32 v5, 32, v0
	v_subrev_u32_e32 v0, 28, v5
	v_lshrrev_b32_e32 v4, 3, v1
	v_cmp_gt_u32_e32 vcc, 8, v1
	v_lshlrev_b64 v[0:1], v0, v[10:11]
	v_sub_u32_e32 v1, 29, v5
	v_and_b32_e32 v0, 7, v0
	v_cndmask_b32_e32 v1, v4, v1, vcc
	v_cndmask_b32_e32 v0, v2, v0, vcc
	v_lshlrev_b32_e32 v2, 24, v10
	v_lshlrev_b32_e32 v0, 20, v0
	v_and_b32_e32 v2, 0x80000000, v2
	v_lshl_add_u32 v1, v1, 23, v62
	v_or3_b32 v0, v2, v1, v0
.LBB6_6476:                             ;   in Loop: Header=BB6_6244 Depth=2
	s_or_b64 exec, exec, s[78:79]
.LBB6_6477:                             ;   in Loop: Header=BB6_6244 Depth=2
	s_or_b64 exec, exec, s[76:77]
.LBB6_6478:                             ;   in Loop: Header=BB6_6244 Depth=2
	s_or_b64 exec, exec, s[18:19]
	v_mul_f32_e32 v1, v17, v0
	v_and_b32_e32 v50, 0x7f800000, v1
	v_cmp_ne_u64_e32 vcc, s[46:47], v[50:51]
                                        ; implicit-def: $vgpr7
	s_and_saveexec_b64 s[18:19], vcc
	s_xor_b64 s[76:77], exec, s[18:19]
	s_cbranch_execz .LBB6_6492
; %bb.6479:                             ;   in Loop: Header=BB6_6244 Depth=2
	v_and_b32_e32 v50, 0x7fffffff, v1
	v_cmp_gt_u64_e32 vcc, s[56:57], v[50:51]
	v_and_b32_sdwa v0, v1, s50 dst_sel:DWORD dst_unused:UNUSED_PAD src0_sel:BYTE_3 src1_sel:DWORD
                                        ; implicit-def: $vgpr7
	s_and_saveexec_b64 s[18:19], vcc
	s_xor_b64 s[78:79], exec, s[18:19]
	s_cbranch_execz .LBB6_6489
; %bb.6480:                             ;   in Loop: Header=BB6_6244 Depth=2
	v_mov_b32_e32 v7, 0
	v_cmp_ne_u32_e32 vcc, 0, v1
	s_and_saveexec_b64 s[88:89], vcc
	s_cbranch_execz .LBB6_6488
; %bb.6481:                             ;   in Loop: Header=BB6_6244 Depth=2
	v_and_b32_e32 v4, 0x7fffff, v1
	v_bfe_u32 v1, v1, 23, 8
	v_cmp_gt_u32_e64 s[18:19], s51, v1
	v_sub_u32_e32 v2, 0x79, v1
	v_cmp_eq_u32_e32 vcc, 0, v1
	v_cndmask_b32_e64 v2, 0, v2, s[18:19]
	v_mov_b32_e32 v6, 0x78
	v_or_b32_e32 v5, 0x800000, v4
	v_cndmask_b32_e32 v2, v2, v6, vcc
	v_cndmask_b32_e32 v50, v5, v4, vcc
	v_add_u32_e32 v4, 20, v2
	v_lshlrev_b64 v[4:5], v4, -1
	v_add_u32_e32 v6, 19, v2
	v_lshlrev_b64 v[6:7], v6, 1
	v_lshrrev_b64 v[10:11], v2, v[50:51]
	v_bfi_b32 v5, v5, 0, 0
	v_bfi_b32 v4, v4, 0, v50
	v_cmp_eq_u64_e64 s[18:19], v[4:5], v[6:7]
	v_mov_b32_e32 v15, v11
	v_mov_b32_e32 v14, v10
	s_and_saveexec_b64 s[90:91], s[18:19]
; %bb.6482:                             ;   in Loop: Header=BB6_6244 Depth=2
	v_bfe_u32 v4, v10, 20, 1
	v_add_co_u32_e64 v4, s[18:19], v10, v4
	v_add_co_u32_e64 v14, s[18:19], -1, v4
; %bb.6483:                             ;   in Loop: Header=BB6_6244 Depth=2
	s_or_b64 exec, exec, s[90:91]
	v_add_u32_e32 v1, 0xffffff81, v1
	v_mov_b32_e32 v4, 0xffffff82
	v_cndmask_b32_e32 v1, v1, v4, vcc
	v_lshrrev_b32_e32 v4, 23, v10
	v_add3_u32 v4, v2, v1, v4
	v_add_u32_e32 v2, 6, v4
	v_and_b32_e32 v1, 0xfffff, v14
	v_add_u32_e32 v50, v1, v10
	v_cmp_ne_u32_e32 vcc, 0, v2
                                        ; implicit-def: $vgpr10_vgpr11
                                        ; implicit-def: $vgpr1
	s_and_saveexec_b64 s[18:19], vcc
	s_xor_b64 s[18:19], exec, s[18:19]
; %bb.6484:                             ;   in Loop: Header=BB6_6244 Depth=2
	v_cmp_lt_u64_e32 vcc, s[58:59], v[50:51]
	v_add_u32_e32 v1, 7, v4
	v_cndmask_b32_e32 v1, v2, v1, vcc
	v_cndmask_b32_e64 v2, 0, 1, vcc
	v_lshrrev_b64 v[10:11], v2, v[50:51]
; %bb.6485:                             ;   in Loop: Header=BB6_6244 Depth=2
	s_andn2_saveexec_b64 s[18:19], s[18:19]
; %bb.6486:                             ;   in Loop: Header=BB6_6244 Depth=2
	v_mov_b32_e32 v10, v50
	v_bfe_u32 v1, v50, 23, 1
	v_mov_b32_e32 v11, v51
; %bb.6487:                             ;   in Loop: Header=BB6_6244 Depth=2
	s_or_b64 exec, exec, s[18:19]
	v_lshrrev_b64 v[4:5], 20, v[10:11]
	v_cmp_gt_i32_e32 vcc, 16, v1
	v_cndmask_b32_e32 v5, 0, v5, vcc
	v_cndmask_b32_e32 v4, 7, v4, vcc
	v_cmp_eq_u32_e32 vcc, 0, v1
	v_min_i32_e32 v1, 15, v1
	v_cmp_eq_u64_e64 s[18:19], 0, v[4:5]
	v_lshlrev_b32_e32 v1, 3, v1
	v_and_b32_e32 v1, 0xf8, v1
	v_and_or_b32 v1, v4, 7, v1
	s_and_b64 s[18:19], vcc, s[18:19]
	v_cndmask_b32_e64 v1, v1, 0, s[18:19]
	v_or_b32_e32 v7, v1, v0
.LBB6_6488:                             ;   in Loop: Header=BB6_6244 Depth=2
	s_or_b64 exec, exec, s[88:89]
                                        ; implicit-def: $vgpr0
.LBB6_6489:                             ;   in Loop: Header=BB6_6244 Depth=2
	s_andn2_saveexec_b64 s[18:19], s[78:79]
; %bb.6490:                             ;   in Loop: Header=BB6_6244 Depth=2
	v_or_b32_e32 v7, 0x7e, v0
; %bb.6491:                             ;   in Loop: Header=BB6_6244 Depth=2
	s_or_b64 exec, exec, s[18:19]
                                        ; implicit-def: $vgpr1
.LBB6_6492:                             ;   in Loop: Header=BB6_6244 Depth=2
	s_andn2_saveexec_b64 s[18:19], s[76:77]
; %bb.6493:                             ;   in Loop: Header=BB6_6244 Depth=2
	v_or_b32_sdwa v7, v1, s39 dst_sel:DWORD dst_unused:UNUSED_PAD src0_sel:BYTE_3 src1_sel:DWORD
; %bb.6494:                             ;   in Loop: Header=BB6_6244 Depth=2
	s_or_b64 exec, exec, s[18:19]
	v_cmp_lt_u32_e32 vcc, s61, v12
	v_mov_b32_e32 v0, 0
	s_and_saveexec_b64 s[18:19], vcc
	s_cbranch_execz .LBB6_6500
; %bb.6495:                             ;   in Loop: Header=BB6_6244 Depth=2
	v_lshrrev_b32_e32 v10, 24, v12
	v_cmp_ne_u32_e32 vcc, s50, v10
	v_bfrev_b32_e32 v0, 1
	s_and_saveexec_b64 s[76:77], vcc
	s_cbranch_execz .LBB6_6499
; %bb.6496:                             ;   in Loop: Header=BB6_6244 Depth=2
	v_bfe_u32 v1, v12, 24, 7
	v_cmp_ne_u32_e32 vcc, s39, v1
	v_mov_b32_e32 v0, 0x7f800001
	s_and_saveexec_b64 s[78:79], vcc
	s_cbranch_execz .LBB6_6498
; %bb.6497:                             ;   in Loop: Header=BB6_6244 Depth=2
	v_and_b32_e32 v2, 7, v10
	v_ffbh_u32_e32 v0, v2
	v_min_u32_e32 v5, 32, v0
	v_subrev_u32_e32 v0, 28, v5
	v_lshrrev_b32_e32 v4, 3, v1
	v_cmp_gt_u32_e32 vcc, 8, v1
	v_lshlrev_b64 v[0:1], v0, v[10:11]
	v_sub_u32_e32 v1, 29, v5
	v_and_b32_e32 v0, 7, v0
	v_cndmask_b32_e32 v1, v4, v1, vcc
	v_cndmask_b32_e32 v0, v2, v0, vcc
	v_lshlrev_b32_e32 v2, 24, v10
	v_lshlrev_b32_e32 v0, 20, v0
	v_and_b32_e32 v2, 0x80000000, v2
	v_lshl_add_u32 v1, v1, 23, v62
	v_or3_b32 v0, v2, v1, v0
.LBB6_6498:                             ;   in Loop: Header=BB6_6244 Depth=2
	s_or_b64 exec, exec, s[78:79]
.LBB6_6499:                             ;   in Loop: Header=BB6_6244 Depth=2
	s_or_b64 exec, exec, s[76:77]
.LBB6_6500:                             ;   in Loop: Header=BB6_6244 Depth=2
	s_or_b64 exec, exec, s[18:19]
	v_mul_f32_e32 v1, v17, v0
	v_and_b32_e32 v50, 0x7f800000, v1
	v_cmp_ne_u64_e32 vcc, s[46:47], v[50:51]
                                        ; implicit-def: $vgpr33
	s_and_saveexec_b64 s[18:19], vcc
	s_xor_b64 s[76:77], exec, s[18:19]
	s_cbranch_execz .LBB6_6514
; %bb.6501:                             ;   in Loop: Header=BB6_6244 Depth=2
	v_and_b32_e32 v50, 0x7fffffff, v1
	v_cmp_gt_u64_e32 vcc, s[56:57], v[50:51]
	v_and_b32_sdwa v0, v1, s50 dst_sel:DWORD dst_unused:UNUSED_PAD src0_sel:BYTE_3 src1_sel:DWORD
                                        ; implicit-def: $vgpr33
	s_and_saveexec_b64 s[18:19], vcc
	s_xor_b64 s[78:79], exec, s[18:19]
	s_cbranch_execz .LBB6_6511
; %bb.6502:                             ;   in Loop: Header=BB6_6244 Depth=2
	v_mov_b32_e32 v33, 0
	v_cmp_ne_u32_e32 vcc, 0, v1
	s_and_saveexec_b64 s[88:89], vcc
	s_cbranch_execz .LBB6_6510
; %bb.6503:                             ;   in Loop: Header=BB6_6244 Depth=2
	v_and_b32_e32 v4, 0x7fffff, v1
	v_bfe_u32 v1, v1, 23, 8
	v_cmp_gt_u32_e64 s[18:19], s51, v1
	v_sub_u32_e32 v2, 0x79, v1
	v_cmp_eq_u32_e32 vcc, 0, v1
	v_cndmask_b32_e64 v2, 0, v2, s[18:19]
	v_mov_b32_e32 v6, 0x78
	v_or_b32_e32 v5, 0x800000, v4
	v_cndmask_b32_e32 v2, v2, v6, vcc
	v_cndmask_b32_e32 v50, v5, v4, vcc
	v_add_u32_e32 v4, 20, v2
	v_lshlrev_b64 v[4:5], v4, -1
	v_add_u32_e32 v6, 19, v2
	v_lshlrev_b64 v[8:9], v6, 1
	v_lshrrev_b64 v[10:11], v2, v[50:51]
	v_bfi_b32 v5, v5, 0, 0
	v_bfi_b32 v4, v4, 0, v50
	v_cmp_eq_u64_e64 s[18:19], v[4:5], v[8:9]
	v_mov_b32_e32 v15, v11
	v_mov_b32_e32 v14, v10
	s_and_saveexec_b64 s[90:91], s[18:19]
; %bb.6504:                             ;   in Loop: Header=BB6_6244 Depth=2
	v_bfe_u32 v4, v10, 20, 1
	v_add_co_u32_e64 v4, s[18:19], v10, v4
	v_add_co_u32_e64 v14, s[18:19], -1, v4
; %bb.6505:                             ;   in Loop: Header=BB6_6244 Depth=2
	s_or_b64 exec, exec, s[90:91]
	v_add_u32_e32 v1, 0xffffff81, v1
	v_mov_b32_e32 v4, 0xffffff82
	v_cndmask_b32_e32 v1, v1, v4, vcc
	v_lshrrev_b32_e32 v4, 23, v10
	v_add3_u32 v4, v2, v1, v4
	v_add_u32_e32 v2, 6, v4
	v_and_b32_e32 v1, 0xfffff, v14
	v_add_u32_e32 v50, v1, v10
	v_cmp_ne_u32_e32 vcc, 0, v2
                                        ; implicit-def: $vgpr10_vgpr11
                                        ; implicit-def: $vgpr1
	s_and_saveexec_b64 s[18:19], vcc
	s_xor_b64 s[18:19], exec, s[18:19]
; %bb.6506:                             ;   in Loop: Header=BB6_6244 Depth=2
	v_cmp_lt_u64_e32 vcc, s[58:59], v[50:51]
	v_add_u32_e32 v1, 7, v4
	v_cndmask_b32_e32 v1, v2, v1, vcc
	v_cndmask_b32_e64 v2, 0, 1, vcc
	v_lshrrev_b64 v[10:11], v2, v[50:51]
; %bb.6507:                             ;   in Loop: Header=BB6_6244 Depth=2
	s_andn2_saveexec_b64 s[18:19], s[18:19]
; %bb.6508:                             ;   in Loop: Header=BB6_6244 Depth=2
	v_mov_b32_e32 v10, v50
	v_bfe_u32 v1, v50, 23, 1
	v_mov_b32_e32 v11, v51
; %bb.6509:                             ;   in Loop: Header=BB6_6244 Depth=2
	s_or_b64 exec, exec, s[18:19]
	v_lshrrev_b64 v[4:5], 20, v[10:11]
	v_cmp_gt_i32_e32 vcc, 16, v1
	v_cndmask_b32_e32 v5, 0, v5, vcc
	v_cndmask_b32_e32 v4, 7, v4, vcc
	v_cmp_eq_u32_e32 vcc, 0, v1
	v_min_i32_e32 v1, 15, v1
	v_cmp_eq_u64_e64 s[18:19], 0, v[4:5]
	v_lshlrev_b32_e32 v1, 3, v1
	v_and_b32_e32 v1, 0xf8, v1
	v_and_or_b32 v1, v4, 7, v1
	s_and_b64 s[18:19], vcc, s[18:19]
	v_cndmask_b32_e64 v1, v1, 0, s[18:19]
	v_or_b32_e32 v33, v1, v0
.LBB6_6510:                             ;   in Loop: Header=BB6_6244 Depth=2
	s_or_b64 exec, exec, s[88:89]
                                        ; implicit-def: $vgpr0
.LBB6_6511:                             ;   in Loop: Header=BB6_6244 Depth=2
	s_andn2_saveexec_b64 s[18:19], s[78:79]
; %bb.6512:                             ;   in Loop: Header=BB6_6244 Depth=2
	v_or_b32_e32 v33, 0x7e, v0
; %bb.6513:                             ;   in Loop: Header=BB6_6244 Depth=2
	s_or_b64 exec, exec, s[18:19]
                                        ; implicit-def: $vgpr1
.LBB6_6514:                             ;   in Loop: Header=BB6_6244 Depth=2
	s_andn2_saveexec_b64 s[18:19], s[76:77]
; %bb.6515:                             ;   in Loop: Header=BB6_6244 Depth=2
	v_or_b32_sdwa v33, v1, s39 dst_sel:DWORD dst_unused:UNUSED_PAD src0_sel:BYTE_3 src1_sel:DWORD
; %bb.6516:                             ;   in Loop: Header=BB6_6244 Depth=2
	s_or_b64 exec, exec, s[18:19]
	v_mov_b32_e32 v50, v13
	v_cmp_ne_u16_sdwa s[76:77], v13, v51 src0_sel:BYTE_0 src1_sel:DWORD
	v_mov_b32_e32 v0, 0
	s_and_saveexec_b64 s[18:19], s[76:77]
	s_cbranch_execz .LBB6_6522
; %bb.6517:                             ;   in Loop: Header=BB6_6244 Depth=2
	v_cmp_ne_u16_sdwa s[78:79], v13, s50 src0_sel:BYTE_0 src1_sel:DWORD
	v_bfrev_b32_e32 v0, 1
	s_and_saveexec_b64 s[76:77], s[78:79]
	s_cbranch_execz .LBB6_6521
; %bb.6518:                             ;   in Loop: Header=BB6_6244 Depth=2
	v_and_b32_e32 v1, 0x7f, v13
	v_cmp_ne_u32_e32 vcc, s39, v1
	v_mov_b32_e32 v0, 0x7f800001
	s_and_saveexec_b64 s[78:79], vcc
	s_cbranch_execz .LBB6_6520
; %bb.6519:                             ;   in Loop: Header=BB6_6244 Depth=2
	v_and_b32_e32 v0, 7, v13
	v_ffbh_u32_e32 v0, v0
	v_min_u32_e32 v0, 32, v0
	v_lshrrev_b32_e32 v2, 3, v1
	v_cmp_gt_u32_e32 vcc, 8, v1
	v_subrev_u32_e32 v1, 28, v0
	v_sub_u32_e32 v0, 29, v0
	v_cndmask_b32_e32 v2, v2, v0, vcc
	v_cndmask_b32_e32 v0, 0, v1, vcc
	v_lshlrev_b64 v[0:1], v0, v[50:51]
	v_lshlrev_b32_e32 v1, 24, v50
	v_lshlrev_b32_e32 v0, 20, v0
	v_and_b32_e32 v0, 0x700000, v0
	v_and_b32_e32 v1, 0x80000000, v1
	v_lshl_add_u32 v2, v2, 23, v62
	v_or3_b32 v0, v1, v2, v0
.LBB6_6520:                             ;   in Loop: Header=BB6_6244 Depth=2
	s_or_b64 exec, exec, s[78:79]
.LBB6_6521:                             ;   in Loop: Header=BB6_6244 Depth=2
	s_or_b64 exec, exec, s[76:77]
.LBB6_6522:                             ;   in Loop: Header=BB6_6244 Depth=2
	s_or_b64 exec, exec, s[18:19]
	v_mul_f32_e32 v1, v17, v0
	v_and_b32_e32 v4, 0x7f800000, v1
	v_mov_b32_e32 v5, v51
	v_cmp_ne_u64_e32 vcc, s[46:47], v[4:5]
                                        ; implicit-def: $vgpr34
	s_and_saveexec_b64 s[18:19], vcc
	s_xor_b64 s[76:77], exec, s[18:19]
	s_cbranch_execz .LBB6_6536
; %bb.6523:                             ;   in Loop: Header=BB6_6244 Depth=2
	v_and_b32_e32 v4, 0x7fffffff, v1
	v_mov_b32_e32 v5, v51
	v_cmp_gt_u64_e32 vcc, s[56:57], v[4:5]
	v_and_b32_sdwa v0, v1, s50 dst_sel:DWORD dst_unused:UNUSED_PAD src0_sel:BYTE_3 src1_sel:DWORD
                                        ; implicit-def: $vgpr34
	s_and_saveexec_b64 s[18:19], vcc
	s_xor_b64 s[78:79], exec, s[18:19]
	s_cbranch_execz .LBB6_6533
; %bb.6524:                             ;   in Loop: Header=BB6_6244 Depth=2
	v_mov_b32_e32 v34, 0
	v_cmp_ne_u32_e32 vcc, 0, v1
	s_and_saveexec_b64 s[88:89], vcc
	s_cbranch_execz .LBB6_6532
; %bb.6525:                             ;   in Loop: Header=BB6_6244 Depth=2
	v_and_b32_e32 v4, 0x7fffff, v1
	v_bfe_u32 v1, v1, 23, 8
	v_cmp_gt_u32_e64 s[18:19], s51, v1
	v_sub_u32_e32 v2, 0x79, v1
	v_cmp_eq_u32_e32 vcc, 0, v1
	v_cndmask_b32_e64 v2, 0, v2, s[18:19]
	v_mov_b32_e32 v6, 0x78
	v_cndmask_b32_e32 v2, v2, v6, vcc
	v_add_u32_e32 v6, 20, v2
	v_or_b32_e32 v5, 0x800000, v4
	v_lshlrev_b64 v[8:9], v6, -1
	v_add_u32_e32 v6, 19, v2
	v_cndmask_b32_e32 v4, v5, v4, vcc
	v_lshlrev_b64 v[10:11], v6, 1
	v_mov_b32_e32 v5, v51
	v_bfi_b32 v9, v9, 0, 0
	v_bfi_b32 v8, v8, 0, v4
	v_cmp_eq_u64_e64 s[18:19], v[8:9], v[10:11]
	v_lshrrev_b64 v[10:11], v2, v[4:5]
	v_mov_b32_e32 v15, v11
	v_mov_b32_e32 v14, v10
	s_and_saveexec_b64 s[90:91], s[18:19]
; %bb.6526:                             ;   in Loop: Header=BB6_6244 Depth=2
	v_bfe_u32 v4, v10, 20, 1
	v_add_co_u32_e64 v4, s[18:19], v10, v4
	v_add_co_u32_e64 v14, s[18:19], -1, v4
; %bb.6527:                             ;   in Loop: Header=BB6_6244 Depth=2
	s_or_b64 exec, exec, s[90:91]
	v_add_u32_e32 v1, 0xffffff81, v1
	v_mov_b32_e32 v4, 0xffffff82
	v_cndmask_b32_e32 v1, v1, v4, vcc
	v_lshrrev_b32_e32 v4, 23, v10
	v_add3_u32 v4, v2, v1, v4
	v_add_u32_e32 v2, 6, v4
	v_and_b32_e32 v1, 0xfffff, v14
	v_add_u32_e32 v10, v1, v10
	v_mov_b32_e32 v11, v51
	v_cmp_ne_u32_e32 vcc, 0, v2
                                        ; implicit-def: $vgpr1
	s_and_saveexec_b64 s[18:19], vcc
	s_xor_b64 s[18:19], exec, s[18:19]
; %bb.6528:                             ;   in Loop: Header=BB6_6244 Depth=2
	v_cmp_lt_u64_e32 vcc, s[58:59], v[10:11]
	v_add_u32_e32 v1, 7, v4
	v_cndmask_b32_e32 v1, v2, v1, vcc
	v_cndmask_b32_e64 v2, 0, 1, vcc
	v_lshrrev_b64 v[10:11], v2, v[10:11]
; %bb.6529:                             ;   in Loop: Header=BB6_6244 Depth=2
	s_andn2_saveexec_b64 s[18:19], s[18:19]
; %bb.6530:                             ;   in Loop: Header=BB6_6244 Depth=2
	v_bfe_u32 v1, v10, 23, 1
; %bb.6531:                             ;   in Loop: Header=BB6_6244 Depth=2
	s_or_b64 exec, exec, s[18:19]
	v_lshrrev_b64 v[4:5], 20, v[10:11]
	v_cmp_gt_i32_e32 vcc, 16, v1
	v_cndmask_b32_e32 v5, 0, v5, vcc
	v_cndmask_b32_e32 v4, 7, v4, vcc
	v_cmp_eq_u32_e32 vcc, 0, v1
	v_min_i32_e32 v1, 15, v1
	v_cmp_eq_u64_e64 s[18:19], 0, v[4:5]
	v_lshlrev_b32_e32 v1, 3, v1
	v_and_b32_e32 v1, 0xf8, v1
	v_and_or_b32 v1, v4, 7, v1
	s_and_b64 s[18:19], vcc, s[18:19]
	v_cndmask_b32_e64 v1, v1, 0, s[18:19]
	v_or_b32_e32 v34, v1, v0
.LBB6_6532:                             ;   in Loop: Header=BB6_6244 Depth=2
	s_or_b64 exec, exec, s[88:89]
                                        ; implicit-def: $vgpr0
.LBB6_6533:                             ;   in Loop: Header=BB6_6244 Depth=2
	s_andn2_saveexec_b64 s[18:19], s[78:79]
; %bb.6534:                             ;   in Loop: Header=BB6_6244 Depth=2
	v_or_b32_e32 v34, 0x7e, v0
; %bb.6535:                             ;   in Loop: Header=BB6_6244 Depth=2
	s_or_b64 exec, exec, s[18:19]
                                        ; implicit-def: $vgpr1
.LBB6_6536:                             ;   in Loop: Header=BB6_6244 Depth=2
	s_andn2_saveexec_b64 s[18:19], s[76:77]
; %bb.6537:                             ;   in Loop: Header=BB6_6244 Depth=2
	v_or_b32_sdwa v34, v1, s39 dst_sel:DWORD dst_unused:UNUSED_PAD src0_sel:BYTE_3 src1_sel:DWORD
; %bb.6538:                             ;   in Loop: Header=BB6_6244 Depth=2
	s_or_b64 exec, exec, s[18:19]
	v_lshrrev_b16_e32 v10, 8, v50
	v_cmp_ne_u16_e32 vcc, 0, v10
	v_mov_b32_e32 v0, 0
	s_and_saveexec_b64 s[18:19], vcc
	s_cbranch_execz .LBB6_6544
; %bb.6539:                             ;   in Loop: Header=BB6_6244 Depth=2
	v_cmp_ne_u16_e32 vcc, s50, v10
	v_bfrev_b32_e32 v0, 1
	s_and_saveexec_b64 s[76:77], vcc
	s_cbranch_execz .LBB6_6543
; %bb.6540:                             ;   in Loop: Header=BB6_6244 Depth=2
	v_and_b32_e32 v1, 0x7f, v10
	v_cmp_ne_u32_e32 vcc, s39, v1
	v_mov_b32_e32 v0, 0x7f800001
	s_and_saveexec_b64 s[78:79], vcc
	s_cbranch_execz .LBB6_6542
; %bb.6541:                             ;   in Loop: Header=BB6_6244 Depth=2
	v_and_b32_e32 v2, 7, v10
	v_ffbh_u32_e32 v0, v2
	v_min_u32_e32 v5, 32, v0
	v_subrev_u32_e32 v0, 28, v5
	v_lshrrev_b32_e32 v4, 3, v1
	v_cmp_gt_u32_e32 vcc, 8, v1
	v_lshlrev_b64 v[0:1], v0, v[10:11]
	v_sub_u32_e32 v1, 29, v5
	v_and_b32_e32 v0, 7, v0
	v_cndmask_b32_e32 v1, v4, v1, vcc
	v_cndmask_b32_e32 v0, v2, v0, vcc
	v_lshlrev_b32_e32 v2, 16, v50
	v_lshlrev_b32_e32 v0, 20, v0
	v_and_b32_e32 v2, 0x80000000, v2
	v_lshl_add_u32 v1, v1, 23, v62
	v_or3_b32 v0, v2, v1, v0
.LBB6_6542:                             ;   in Loop: Header=BB6_6244 Depth=2
	s_or_b64 exec, exec, s[78:79]
.LBB6_6543:                             ;   in Loop: Header=BB6_6244 Depth=2
	s_or_b64 exec, exec, s[76:77]
.LBB6_6544:                             ;   in Loop: Header=BB6_6244 Depth=2
	s_or_b64 exec, exec, s[18:19]
	v_mul_f32_e32 v1, v17, v0
	v_and_b32_e32 v50, 0x7f800000, v1
	v_cmp_ne_u64_e32 vcc, s[46:47], v[50:51]
                                        ; implicit-def: $vgpr0
                                        ; kill: killed $vgpr0
	s_and_saveexec_b64 s[18:19], vcc
	s_xor_b64 s[76:77], exec, s[18:19]
	s_cbranch_execz .LBB6_6558
; %bb.6545:                             ;   in Loop: Header=BB6_6244 Depth=2
	v_and_b32_e32 v50, 0x7fffffff, v1
	v_cmp_gt_u64_e32 vcc, s[56:57], v[50:51]
	v_and_b32_sdwa v0, v1, s50 dst_sel:DWORD dst_unused:UNUSED_PAD src0_sel:BYTE_3 src1_sel:DWORD
                                        ; implicit-def: $vgpr2
                                        ; kill: killed $vgpr2
	s_and_saveexec_b64 s[18:19], vcc
	s_xor_b64 s[78:79], exec, s[18:19]
	s_cbranch_execz .LBB6_6555
; %bb.6546:                             ;   in Loop: Header=BB6_6244 Depth=2
	v_mov_b32_e32 v2, 0
	v_cmp_ne_u32_e32 vcc, 0, v1
	buffer_store_dword v2, off, s[0:3], s33 offset:284 ; 4-byte Folded Spill
	s_and_saveexec_b64 s[88:89], vcc
	s_cbranch_execz .LBB6_6554
; %bb.6547:                             ;   in Loop: Header=BB6_6244 Depth=2
	v_and_b32_e32 v4, 0x7fffff, v1
	v_bfe_u32 v1, v1, 23, 8
	v_cmp_gt_u32_e64 s[18:19], s51, v1
	v_sub_u32_e32 v2, 0x79, v1
	v_cmp_eq_u32_e32 vcc, 0, v1
	v_cndmask_b32_e64 v2, 0, v2, s[18:19]
	v_mov_b32_e32 v6, 0x78
	v_or_b32_e32 v5, 0x800000, v4
	v_cndmask_b32_e32 v2, v2, v6, vcc
	v_cndmask_b32_e32 v50, v5, v4, vcc
	v_add_u32_e32 v4, 20, v2
	v_lshlrev_b64 v[4:5], v4, -1
	v_add_u32_e32 v6, 19, v2
	v_lshlrev_b64 v[8:9], v6, 1
	v_lshrrev_b64 v[10:11], v2, v[50:51]
	v_bfi_b32 v5, v5, 0, 0
	v_bfi_b32 v4, v4, 0, v50
	v_cmp_eq_u64_e64 s[18:19], v[4:5], v[8:9]
	v_mov_b32_e32 v15, v11
	v_mov_b32_e32 v14, v10
	s_and_saveexec_b64 s[90:91], s[18:19]
; %bb.6548:                             ;   in Loop: Header=BB6_6244 Depth=2
	v_bfe_u32 v4, v10, 20, 1
	v_add_co_u32_e64 v4, s[18:19], v10, v4
	v_add_co_u32_e64 v14, s[18:19], -1, v4
; %bb.6549:                             ;   in Loop: Header=BB6_6244 Depth=2
	s_or_b64 exec, exec, s[90:91]
	v_add_u32_e32 v1, 0xffffff81, v1
	v_mov_b32_e32 v4, 0xffffff82
	v_cndmask_b32_e32 v1, v1, v4, vcc
	v_lshrrev_b32_e32 v4, 23, v10
	v_add3_u32 v4, v2, v1, v4
	v_add_u32_e32 v2, 6, v4
	v_and_b32_e32 v1, 0xfffff, v14
	v_add_u32_e32 v50, v1, v10
	v_cmp_ne_u32_e32 vcc, 0, v2
                                        ; implicit-def: $vgpr10_vgpr11
                                        ; implicit-def: $vgpr1
	s_and_saveexec_b64 s[18:19], vcc
	s_xor_b64 s[18:19], exec, s[18:19]
; %bb.6550:                             ;   in Loop: Header=BB6_6244 Depth=2
	v_cmp_lt_u64_e32 vcc, s[58:59], v[50:51]
	v_add_u32_e32 v1, 7, v4
	v_cndmask_b32_e32 v1, v2, v1, vcc
	v_cndmask_b32_e64 v2, 0, 1, vcc
	v_lshrrev_b64 v[10:11], v2, v[50:51]
; %bb.6551:                             ;   in Loop: Header=BB6_6244 Depth=2
	s_andn2_saveexec_b64 s[18:19], s[18:19]
; %bb.6552:                             ;   in Loop: Header=BB6_6244 Depth=2
	v_mov_b32_e32 v10, v50
	v_bfe_u32 v1, v50, 23, 1
	v_mov_b32_e32 v11, v51
; %bb.6553:                             ;   in Loop: Header=BB6_6244 Depth=2
	s_or_b64 exec, exec, s[18:19]
	v_lshrrev_b64 v[4:5], 20, v[10:11]
	v_cmp_gt_i32_e32 vcc, 16, v1
	v_cndmask_b32_e32 v5, 0, v5, vcc
	v_cndmask_b32_e32 v4, 7, v4, vcc
	v_cmp_eq_u32_e32 vcc, 0, v1
	v_min_i32_e32 v1, 15, v1
	v_cmp_eq_u64_e64 s[18:19], 0, v[4:5]
	v_lshlrev_b32_e32 v1, 3, v1
	v_and_b32_e32 v1, 0xf8, v1
	v_and_or_b32 v1, v4, 7, v1
	s_and_b64 s[18:19], vcc, s[18:19]
	v_cndmask_b32_e64 v1, v1, 0, s[18:19]
	v_or_b32_e32 v0, v1, v0
	buffer_store_dword v0, off, s[0:3], s33 offset:284 ; 4-byte Folded Spill
.LBB6_6554:                             ;   in Loop: Header=BB6_6244 Depth=2
	s_or_b64 exec, exec, s[88:89]
                                        ; implicit-def: $vgpr0
.LBB6_6555:                             ;   in Loop: Header=BB6_6244 Depth=2
	s_andn2_saveexec_b64 s[18:19], s[78:79]
	s_cbranch_execz .LBB6_6557
; %bb.6556:                             ;   in Loop: Header=BB6_6244 Depth=2
	v_or_b32_e32 v0, 0x7e, v0
	buffer_store_dword v0, off, s[0:3], s33 offset:284 ; 4-byte Folded Spill
.LBB6_6557:                             ;   in Loop: Header=BB6_6244 Depth=2
	s_or_b64 exec, exec, s[18:19]
                                        ; implicit-def: $vgpr1
.LBB6_6558:                             ;   in Loop: Header=BB6_6244 Depth=2
	s_andn2_saveexec_b64 s[18:19], s[76:77]
	s_cbranch_execz .LBB6_6560
; %bb.6559:                             ;   in Loop: Header=BB6_6244 Depth=2
	v_or_b32_sdwa v0, v1, s39 dst_sel:DWORD dst_unused:UNUSED_PAD src0_sel:BYTE_3 src1_sel:DWORD
	buffer_store_dword v0, off, s[0:3], s33 offset:284 ; 4-byte Folded Spill
.LBB6_6560:                             ;   in Loop: Header=BB6_6244 Depth=2
	s_or_b64 exec, exec, s[18:19]
	v_lshrrev_b32_e32 v10, 16, v13
	v_cmp_ne_u16_sdwa s[76:77], v10, v51 src0_sel:BYTE_0 src1_sel:DWORD
	v_mov_b32_e32 v0, 0
	s_and_saveexec_b64 s[18:19], s[76:77]
	s_cbranch_execz .LBB6_6566
; %bb.6561:                             ;   in Loop: Header=BB6_6244 Depth=2
	v_cmp_ne_u16_sdwa s[78:79], v10, s50 src0_sel:BYTE_0 src1_sel:DWORD
	v_bfrev_b32_e32 v0, 1
	s_and_saveexec_b64 s[76:77], s[78:79]
	s_cbranch_execz .LBB6_6565
; %bb.6562:                             ;   in Loop: Header=BB6_6244 Depth=2
	v_bfe_u32 v1, v13, 16, 7
	v_cmp_ne_u32_e32 vcc, s39, v1
	v_mov_b32_e32 v0, 0x7f800001
	s_and_saveexec_b64 s[78:79], vcc
	s_cbranch_execz .LBB6_6564
; %bb.6563:                             ;   in Loop: Header=BB6_6244 Depth=2
	v_and_b32_e32 v2, 7, v10
	v_ffbh_u32_e32 v0, v2
	v_min_u32_e32 v5, 32, v0
	v_subrev_u32_e32 v0, 28, v5
	v_lshrrev_b32_e32 v4, 3, v1
	v_cmp_gt_u32_e32 vcc, 8, v1
	v_lshlrev_b64 v[0:1], v0, v[10:11]
	v_sub_u32_e32 v1, 29, v5
	v_and_b32_e32 v0, 7, v0
	v_cndmask_b32_e32 v1, v4, v1, vcc
	v_cndmask_b32_e32 v0, v2, v0, vcc
	v_lshlrev_b32_e32 v2, 24, v10
	v_lshlrev_b32_e32 v0, 20, v0
	v_and_b32_e32 v2, 0x80000000, v2
	v_lshl_add_u32 v1, v1, 23, v62
	v_or3_b32 v0, v2, v1, v0
.LBB6_6564:                             ;   in Loop: Header=BB6_6244 Depth=2
	s_or_b64 exec, exec, s[78:79]
.LBB6_6565:                             ;   in Loop: Header=BB6_6244 Depth=2
	s_or_b64 exec, exec, s[76:77]
.LBB6_6566:                             ;   in Loop: Header=BB6_6244 Depth=2
	s_or_b64 exec, exec, s[18:19]
	v_mul_f32_e32 v2, v17, v0
	v_and_b32_e32 v50, 0x7f800000, v2
	v_cmp_ne_u64_e32 vcc, s[46:47], v[50:51]
                                        ; implicit-def: $vgpr0
	s_and_saveexec_b64 s[18:19], vcc
	s_xor_b64 s[76:77], exec, s[18:19]
	s_cbranch_execz .LBB6_6580
; %bb.6567:                             ;   in Loop: Header=BB6_6244 Depth=2
	v_and_b32_e32 v50, 0x7fffffff, v2
	v_cmp_gt_u64_e32 vcc, s[56:57], v[50:51]
	v_and_b32_sdwa v1, v2, s50 dst_sel:DWORD dst_unused:UNUSED_PAD src0_sel:BYTE_3 src1_sel:DWORD
                                        ; implicit-def: $vgpr0
	s_and_saveexec_b64 s[18:19], vcc
	s_xor_b64 s[78:79], exec, s[18:19]
	s_cbranch_execz .LBB6_6577
; %bb.6568:                             ;   in Loop: Header=BB6_6244 Depth=2
	v_mov_b32_e32 v0, 0
	v_cmp_ne_u32_e32 vcc, 0, v2
	s_and_saveexec_b64 s[88:89], vcc
	s_cbranch_execz .LBB6_6576
; %bb.6569:                             ;   in Loop: Header=BB6_6244 Depth=2
	v_bfe_u32 v0, v2, 23, 8
	v_and_b32_e32 v4, 0x7fffff, v2
	v_cmp_gt_u32_e64 s[18:19], s51, v0
	v_sub_u32_e32 v2, 0x79, v0
	v_cmp_eq_u32_e32 vcc, 0, v0
	v_cndmask_b32_e64 v2, 0, v2, s[18:19]
	v_mov_b32_e32 v6, 0x78
	v_or_b32_e32 v5, 0x800000, v4
	v_cndmask_b32_e32 v2, v2, v6, vcc
	v_cndmask_b32_e32 v50, v5, v4, vcc
	v_add_u32_e32 v4, 20, v2
	v_lshlrev_b64 v[4:5], v4, -1
	v_add_u32_e32 v6, 19, v2
	v_lshlrev_b64 v[8:9], v6, 1
	v_lshrrev_b64 v[10:11], v2, v[50:51]
	v_bfi_b32 v5, v5, 0, 0
	v_bfi_b32 v4, v4, 0, v50
	v_cmp_eq_u64_e64 s[18:19], v[4:5], v[8:9]
	v_mov_b32_e32 v15, v11
	v_mov_b32_e32 v14, v10
	s_and_saveexec_b64 s[90:91], s[18:19]
; %bb.6570:                             ;   in Loop: Header=BB6_6244 Depth=2
	v_bfe_u32 v4, v10, 20, 1
	v_add_co_u32_e64 v4, s[18:19], v10, v4
	v_add_co_u32_e64 v14, s[18:19], -1, v4
; %bb.6571:                             ;   in Loop: Header=BB6_6244 Depth=2
	s_or_b64 exec, exec, s[90:91]
	v_add_u32_e32 v0, 0xffffff81, v0
	v_mov_b32_e32 v4, 0xffffff82
	v_cndmask_b32_e32 v0, v0, v4, vcc
	v_lshrrev_b32_e32 v4, 23, v10
	v_add3_u32 v4, v2, v0, v4
	v_add_u32_e32 v2, 6, v4
	v_and_b32_e32 v0, 0xfffff, v14
	v_add_u32_e32 v50, v0, v10
	v_cmp_ne_u32_e32 vcc, 0, v2
                                        ; implicit-def: $vgpr10_vgpr11
                                        ; implicit-def: $vgpr0
	s_and_saveexec_b64 s[18:19], vcc
	s_xor_b64 s[18:19], exec, s[18:19]
; %bb.6572:                             ;   in Loop: Header=BB6_6244 Depth=2
	v_cmp_lt_u64_e32 vcc, s[58:59], v[50:51]
	v_add_u32_e32 v0, 7, v4
	v_cndmask_b32_e32 v0, v2, v0, vcc
	v_cndmask_b32_e64 v2, 0, 1, vcc
	v_lshrrev_b64 v[10:11], v2, v[50:51]
; %bb.6573:                             ;   in Loop: Header=BB6_6244 Depth=2
	s_andn2_saveexec_b64 s[18:19], s[18:19]
; %bb.6574:                             ;   in Loop: Header=BB6_6244 Depth=2
	v_mov_b32_e32 v10, v50
	v_bfe_u32 v0, v50, 23, 1
	v_mov_b32_e32 v11, v51
; %bb.6575:                             ;   in Loop: Header=BB6_6244 Depth=2
	s_or_b64 exec, exec, s[18:19]
	v_lshrrev_b64 v[4:5], 20, v[10:11]
	v_cmp_gt_i32_e32 vcc, 16, v0
	v_cndmask_b32_e32 v5, 0, v5, vcc
	v_cndmask_b32_e32 v4, 7, v4, vcc
	v_cmp_eq_u32_e32 vcc, 0, v0
	v_min_i32_e32 v0, 15, v0
	v_cmp_eq_u64_e64 s[18:19], 0, v[4:5]
	v_lshlrev_b32_e32 v0, 3, v0
	v_and_b32_e32 v0, 0xf8, v0
	v_and_or_b32 v0, v4, 7, v0
	s_and_b64 s[18:19], vcc, s[18:19]
	v_cndmask_b32_e64 v0, v0, 0, s[18:19]
	v_or_b32_e32 v0, v0, v1
.LBB6_6576:                             ;   in Loop: Header=BB6_6244 Depth=2
	s_or_b64 exec, exec, s[88:89]
                                        ; implicit-def: $vgpr1
.LBB6_6577:                             ;   in Loop: Header=BB6_6244 Depth=2
	s_andn2_saveexec_b64 s[18:19], s[78:79]
; %bb.6578:                             ;   in Loop: Header=BB6_6244 Depth=2
	v_or_b32_e32 v0, 0x7e, v1
; %bb.6579:                             ;   in Loop: Header=BB6_6244 Depth=2
	s_or_b64 exec, exec, s[18:19]
                                        ; implicit-def: $vgpr2
.LBB6_6580:                             ;   in Loop: Header=BB6_6244 Depth=2
	s_andn2_saveexec_b64 s[18:19], s[76:77]
; %bb.6581:                             ;   in Loop: Header=BB6_6244 Depth=2
	v_or_b32_sdwa v0, v2, s39 dst_sel:DWORD dst_unused:UNUSED_PAD src0_sel:BYTE_3 src1_sel:DWORD
; %bb.6582:                             ;   in Loop: Header=BB6_6244 Depth=2
	s_or_b64 exec, exec, s[18:19]
	v_cmp_lt_u64_e32 vcc, s[60:61], v[12:13]
	v_mov_b32_e32 v1, 0
	s_and_saveexec_b64 s[18:19], vcc
	s_cbranch_execz .LBB6_6588
; %bb.6583:                             ;   in Loop: Header=BB6_6244 Depth=2
	v_lshrrev_b32_e32 v10, 24, v13
	v_cmp_ne_u32_e32 vcc, s50, v10
	v_bfrev_b32_e32 v1, 1
	s_and_saveexec_b64 s[76:77], vcc
	s_cbranch_execz .LBB6_6587
; %bb.6584:                             ;   in Loop: Header=BB6_6244 Depth=2
	v_bfe_u32 v2, v13, 24, 7
	v_cmp_ne_u32_e32 vcc, s39, v2
	v_mov_b32_e32 v1, 0x7f800001
	s_and_saveexec_b64 s[78:79], vcc
	s_cbranch_execz .LBB6_6586
; %bb.6585:                             ;   in Loop: Header=BB6_6244 Depth=2
	v_and_b32_e32 v4, 7, v10
	v_ffbh_u32_e32 v1, v4
	v_min_u32_e32 v6, 32, v1
	v_subrev_u32_e32 v1, 28, v6
	v_lshrrev_b32_e32 v5, 3, v2
	v_cmp_gt_u32_e32 vcc, 8, v2
	v_lshlrev_b64 v[1:2], v1, v[10:11]
	v_sub_u32_e32 v2, 29, v6
	v_and_b32_e32 v1, 7, v1
	v_cndmask_b32_e32 v2, v5, v2, vcc
	v_cndmask_b32_e32 v1, v4, v1, vcc
	v_lshlrev_b32_e32 v4, 24, v10
	v_lshlrev_b32_e32 v1, 20, v1
	v_and_b32_e32 v4, 0x80000000, v4
	v_lshl_add_u32 v2, v2, 23, v62
	v_or3_b32 v1, v4, v2, v1
.LBB6_6586:                             ;   in Loop: Header=BB6_6244 Depth=2
	s_or_b64 exec, exec, s[78:79]
.LBB6_6587:                             ;   in Loop: Header=BB6_6244 Depth=2
	s_or_b64 exec, exec, s[76:77]
.LBB6_6588:                             ;   in Loop: Header=BB6_6244 Depth=2
	s_or_b64 exec, exec, s[18:19]
	v_mul_f32_e32 v2, v17, v1
	v_and_b32_e32 v50, 0x7f800000, v2
	v_cmp_ne_u64_e32 vcc, s[46:47], v[50:51]
                                        ; implicit-def: $vgpr8
	s_and_saveexec_b64 s[18:19], vcc
	s_xor_b64 s[76:77], exec, s[18:19]
	s_cbranch_execz .LBB6_6602
; %bb.6589:                             ;   in Loop: Header=BB6_6244 Depth=2
	v_and_b32_e32 v50, 0x7fffffff, v2
	v_cmp_gt_u64_e32 vcc, s[56:57], v[50:51]
	v_and_b32_sdwa v1, v2, s50 dst_sel:DWORD dst_unused:UNUSED_PAD src0_sel:BYTE_3 src1_sel:DWORD
                                        ; implicit-def: $vgpr8
	s_and_saveexec_b64 s[18:19], vcc
	s_xor_b64 s[78:79], exec, s[18:19]
	s_cbranch_execz .LBB6_6599
; %bb.6590:                             ;   in Loop: Header=BB6_6244 Depth=2
	v_mov_b32_e32 v8, 0
	v_cmp_ne_u32_e32 vcc, 0, v2
	s_and_saveexec_b64 s[88:89], vcc
	s_cbranch_execz .LBB6_6598
; %bb.6591:                             ;   in Loop: Header=BB6_6244 Depth=2
	v_and_b32_e32 v5, 0x7fffff, v2
	v_bfe_u32 v2, v2, 23, 8
	v_cmp_gt_u32_e64 s[18:19], s51, v2
	v_sub_u32_e32 v4, 0x79, v2
	v_cmp_eq_u32_e32 vcc, 0, v2
	v_cndmask_b32_e64 v4, 0, v4, s[18:19]
	v_mov_b32_e32 v8, 0x78
	v_or_b32_e32 v6, 0x800000, v5
	v_cndmask_b32_e32 v4, v4, v8, vcc
	v_cndmask_b32_e32 v50, v6, v5, vcc
	v_add_u32_e32 v5, 20, v4
	v_lshlrev_b64 v[5:6], v5, -1
	v_add_u32_e32 v8, 19, v4
	v_lshlrev_b64 v[8:9], v8, 1
	v_lshrrev_b64 v[10:11], v4, v[50:51]
	v_bfi_b32 v6, v6, 0, 0
	v_bfi_b32 v5, v5, 0, v50
	v_cmp_eq_u64_e64 s[18:19], v[5:6], v[8:9]
	v_mov_b32_e32 v12, v11
	v_mov_b32_e32 v11, v10
	s_and_saveexec_b64 s[90:91], s[18:19]
; %bb.6592:                             ;   in Loop: Header=BB6_6244 Depth=2
	v_bfe_u32 v5, v10, 20, 1
	v_add_co_u32_e64 v5, s[18:19], v10, v5
	v_add_co_u32_e64 v11, s[18:19], -1, v5
; %bb.6593:                             ;   in Loop: Header=BB6_6244 Depth=2
	s_or_b64 exec, exec, s[90:91]
	v_add_u32_e32 v2, 0xffffff81, v2
	v_mov_b32_e32 v5, 0xffffff82
	v_cndmask_b32_e32 v2, v2, v5, vcc
	v_lshrrev_b32_e32 v5, 23, v10
	v_add3_u32 v5, v4, v2, v5
	v_add_u32_e32 v4, 6, v5
	v_and_b32_e32 v2, 0xfffff, v11
	v_add_u32_e32 v50, v2, v10
	v_cmp_ne_u32_e32 vcc, 0, v4
                                        ; implicit-def: $vgpr10_vgpr11
                                        ; implicit-def: $vgpr2
	s_and_saveexec_b64 s[18:19], vcc
	s_xor_b64 s[18:19], exec, s[18:19]
; %bb.6594:                             ;   in Loop: Header=BB6_6244 Depth=2
	v_cmp_lt_u64_e32 vcc, s[58:59], v[50:51]
	v_add_u32_e32 v2, 7, v5
	v_cndmask_b32_e32 v2, v4, v2, vcc
	v_cndmask_b32_e64 v4, 0, 1, vcc
	v_lshrrev_b64 v[10:11], v4, v[50:51]
; %bb.6595:                             ;   in Loop: Header=BB6_6244 Depth=2
	s_andn2_saveexec_b64 s[18:19], s[18:19]
; %bb.6596:                             ;   in Loop: Header=BB6_6244 Depth=2
	v_mov_b32_e32 v10, v50
	v_bfe_u32 v2, v50, 23, 1
	v_mov_b32_e32 v11, v51
; %bb.6597:                             ;   in Loop: Header=BB6_6244 Depth=2
	s_or_b64 exec, exec, s[18:19]
	v_lshrrev_b64 v[4:5], 20, v[10:11]
	v_cmp_gt_i32_e32 vcc, 16, v2
	v_cndmask_b32_e32 v5, 0, v5, vcc
	v_cndmask_b32_e32 v4, 7, v4, vcc
	v_cmp_eq_u32_e32 vcc, 0, v2
	v_min_i32_e32 v2, 15, v2
	v_cmp_eq_u64_e64 s[18:19], 0, v[4:5]
	v_lshlrev_b32_e32 v2, 3, v2
	v_and_b32_e32 v2, 0xf8, v2
	v_and_or_b32 v2, v4, 7, v2
	s_and_b64 s[18:19], vcc, s[18:19]
	v_cndmask_b32_e64 v2, v2, 0, s[18:19]
	v_or_b32_e32 v8, v2, v1
.LBB6_6598:                             ;   in Loop: Header=BB6_6244 Depth=2
	s_or_b64 exec, exec, s[88:89]
                                        ; implicit-def: $vgpr1
.LBB6_6599:                             ;   in Loop: Header=BB6_6244 Depth=2
	s_andn2_saveexec_b64 s[18:19], s[78:79]
; %bb.6600:                             ;   in Loop: Header=BB6_6244 Depth=2
	v_or_b32_e32 v8, 0x7e, v1
; %bb.6601:                             ;   in Loop: Header=BB6_6244 Depth=2
	s_or_b64 exec, exec, s[18:19]
                                        ; implicit-def: $vgpr2
.LBB6_6602:                             ;   in Loop: Header=BB6_6244 Depth=2
	s_andn2_saveexec_b64 s[18:19], s[76:77]
; %bb.6603:                             ;   in Loop: Header=BB6_6244 Depth=2
	v_or_b32_sdwa v8, v2, s39 dst_sel:DWORD dst_unused:UNUSED_PAD src0_sel:BYTE_3 src1_sel:DWORD
; %bb.6604:                             ;   in Loop: Header=BB6_6244 Depth=2
	s_or_b64 exec, exec, s[18:19]
	global_load_dwordx4 v[10:13], v[44:45], off offset:1024 glc slc
	v_mov_b32_e32 v1, 0
	s_waitcnt vmcnt(0)
	v_cmp_ne_u16_sdwa s[76:77], v10, v51 src0_sel:BYTE_0 src1_sel:DWORD
	s_and_saveexec_b64 s[18:19], s[76:77]
	s_cbranch_execz .LBB6_6610
; %bb.6605:                             ;   in Loop: Header=BB6_6244 Depth=2
	v_cmp_ne_u16_sdwa s[78:79], v10, s50 src0_sel:BYTE_0 src1_sel:DWORD
	v_bfrev_b32_e32 v1, 1
	s_and_saveexec_b64 s[76:77], s[78:79]
	s_cbranch_execz .LBB6_6609
; %bb.6606:                             ;   in Loop: Header=BB6_6244 Depth=2
	v_and_b32_e32 v2, 0x7f, v10
	v_cmp_ne_u32_e32 vcc, s39, v2
	v_mov_b32_e32 v1, 0x7f800001
	s_and_saveexec_b64 s[78:79], vcc
	s_cbranch_execz .LBB6_6608
; %bb.6607:                             ;   in Loop: Header=BB6_6244 Depth=2
	v_and_b32_e32 v1, 7, v10
	v_ffbh_u32_e32 v1, v1
	v_min_u32_e32 v1, 32, v1
	v_lshrrev_b32_e32 v4, 3, v2
	v_cmp_gt_u32_e32 vcc, 8, v2
	v_subrev_u32_e32 v2, 28, v1
	v_sub_u32_e32 v1, 29, v1
	v_cndmask_b32_e32 v4, v4, v1, vcc
	v_cndmask_b32_e32 v1, 0, v2, vcc
	v_lshlrev_b64 v[1:2], v1, v[10:11]
	v_lshlrev_b32_e32 v2, 24, v10
	v_lshlrev_b32_e32 v1, 20, v1
	v_and_b32_e32 v1, 0x700000, v1
	v_and_b32_e32 v2, 0x80000000, v2
	v_lshl_add_u32 v4, v4, 23, v62
	v_or3_b32 v1, v2, v4, v1
.LBB6_6608:                             ;   in Loop: Header=BB6_6244 Depth=2
	s_or_b64 exec, exec, s[78:79]
.LBB6_6609:                             ;   in Loop: Header=BB6_6244 Depth=2
	s_or_b64 exec, exec, s[76:77]
.LBB6_6610:                             ;   in Loop: Header=BB6_6244 Depth=2
	s_or_b64 exec, exec, s[18:19]
	v_mul_f32_e32 v2, v17, v1
	v_and_b32_e32 v50, 0x7f800000, v2
	v_cmp_ne_u64_e32 vcc, s[46:47], v[50:51]
                                        ; implicit-def: $vgpr28
	s_and_saveexec_b64 s[18:19], vcc
	s_xor_b64 s[76:77], exec, s[18:19]
	s_cbranch_execz .LBB6_6624
; %bb.6611:                             ;   in Loop: Header=BB6_6244 Depth=2
	v_and_b32_e32 v50, 0x7fffffff, v2
	v_cmp_gt_u64_e32 vcc, s[56:57], v[50:51]
	v_and_b32_sdwa v1, v2, s50 dst_sel:DWORD dst_unused:UNUSED_PAD src0_sel:BYTE_3 src1_sel:DWORD
                                        ; implicit-def: $vgpr28
	s_and_saveexec_b64 s[18:19], vcc
	s_xor_b64 s[78:79], exec, s[18:19]
	s_cbranch_execz .LBB6_6621
; %bb.6612:                             ;   in Loop: Header=BB6_6244 Depth=2
	v_mov_b32_e32 v28, 0
	v_cmp_ne_u32_e32 vcc, 0, v2
	s_and_saveexec_b64 s[88:89], vcc
	s_cbranch_execz .LBB6_6620
; %bb.6613:                             ;   in Loop: Header=BB6_6244 Depth=2
	v_and_b32_e32 v5, 0x7fffff, v2
	v_bfe_u32 v2, v2, 23, 8
	v_cmp_gt_u32_e64 s[18:19], s51, v2
	v_sub_u32_e32 v4, 0x79, v2
	v_cmp_eq_u32_e32 vcc, 0, v2
	v_cndmask_b32_e64 v4, 0, v4, s[18:19]
	v_mov_b32_e32 v9, 0x78
	v_or_b32_e32 v6, 0x800000, v5
	v_cndmask_b32_e32 v4, v4, v9, vcc
	v_cndmask_b32_e32 v50, v6, v5, vcc
	v_add_u32_e32 v5, 20, v4
	v_lshlrev_b64 v[5:6], v5, -1
	v_add_u32_e32 v9, 19, v4
	v_lshlrev_b64 v[14:15], v9, 1
	v_bfi_b32 v6, v6, 0, 0
	v_bfi_b32 v5, v5, 0, v50
	v_cmp_eq_u64_e64 s[18:19], v[5:6], v[14:15]
	v_lshrrev_b64 v[14:15], v4, v[50:51]
	v_mov_b32_e32 v16, v15
	v_mov_b32_e32 v15, v14
	s_and_saveexec_b64 s[90:91], s[18:19]
; %bb.6614:                             ;   in Loop: Header=BB6_6244 Depth=2
	v_bfe_u32 v5, v14, 20, 1
	v_add_co_u32_e64 v5, s[18:19], v14, v5
	v_add_co_u32_e64 v15, s[18:19], -1, v5
; %bb.6615:                             ;   in Loop: Header=BB6_6244 Depth=2
	s_or_b64 exec, exec, s[90:91]
	v_add_u32_e32 v2, 0xffffff81, v2
	v_mov_b32_e32 v5, 0xffffff82
	v_cndmask_b32_e32 v2, v2, v5, vcc
	v_lshrrev_b32_e32 v5, 23, v14
	v_add3_u32 v5, v4, v2, v5
	v_add_u32_e32 v4, 6, v5
	v_and_b32_e32 v2, 0xfffff, v15
	v_add_u32_e32 v50, v2, v14
	v_cmp_ne_u32_e32 vcc, 0, v4
                                        ; implicit-def: $vgpr14_vgpr15
                                        ; implicit-def: $vgpr2
	s_and_saveexec_b64 s[18:19], vcc
	s_xor_b64 s[18:19], exec, s[18:19]
; %bb.6616:                             ;   in Loop: Header=BB6_6244 Depth=2
	v_cmp_lt_u64_e32 vcc, s[58:59], v[50:51]
	v_add_u32_e32 v2, 7, v5
	v_cndmask_b32_e32 v2, v4, v2, vcc
	v_cndmask_b32_e64 v4, 0, 1, vcc
	v_lshrrev_b64 v[14:15], v4, v[50:51]
; %bb.6617:                             ;   in Loop: Header=BB6_6244 Depth=2
	s_andn2_saveexec_b64 s[18:19], s[18:19]
; %bb.6618:                             ;   in Loop: Header=BB6_6244 Depth=2
	v_mov_b32_e32 v14, v50
	v_bfe_u32 v2, v50, 23, 1
	v_mov_b32_e32 v15, v51
; %bb.6619:                             ;   in Loop: Header=BB6_6244 Depth=2
	s_or_b64 exec, exec, s[18:19]
	v_lshrrev_b64 v[4:5], 20, v[14:15]
	v_cmp_gt_i32_e32 vcc, 16, v2
	v_cndmask_b32_e32 v5, 0, v5, vcc
	v_cndmask_b32_e32 v4, 7, v4, vcc
	v_cmp_eq_u32_e32 vcc, 0, v2
	v_min_i32_e32 v2, 15, v2
	v_cmp_eq_u64_e64 s[18:19], 0, v[4:5]
	v_lshlrev_b32_e32 v2, 3, v2
	v_and_b32_e32 v2, 0xf8, v2
	v_and_or_b32 v2, v4, 7, v2
	s_and_b64 s[18:19], vcc, s[18:19]
	v_cndmask_b32_e64 v2, v2, 0, s[18:19]
	v_or_b32_e32 v28, v2, v1
.LBB6_6620:                             ;   in Loop: Header=BB6_6244 Depth=2
	s_or_b64 exec, exec, s[88:89]
                                        ; implicit-def: $vgpr1
.LBB6_6621:                             ;   in Loop: Header=BB6_6244 Depth=2
	s_andn2_saveexec_b64 s[18:19], s[78:79]
; %bb.6622:                             ;   in Loop: Header=BB6_6244 Depth=2
	v_or_b32_e32 v28, 0x7e, v1
; %bb.6623:                             ;   in Loop: Header=BB6_6244 Depth=2
	s_or_b64 exec, exec, s[18:19]
                                        ; implicit-def: $vgpr2
.LBB6_6624:                             ;   in Loop: Header=BB6_6244 Depth=2
	s_andn2_saveexec_b64 s[18:19], s[76:77]
; %bb.6625:                             ;   in Loop: Header=BB6_6244 Depth=2
	v_or_b32_sdwa v28, v2, s39 dst_sel:DWORD dst_unused:UNUSED_PAD src0_sel:BYTE_3 src1_sel:DWORD
; %bb.6626:                             ;   in Loop: Header=BB6_6244 Depth=2
	s_or_b64 exec, exec, s[18:19]
	v_lshrrev_b16_e32 v14, 8, v10
	v_cmp_ne_u16_e32 vcc, 0, v14
	v_mov_b32_e32 v1, 0
	s_and_saveexec_b64 s[18:19], vcc
	s_cbranch_execz .LBB6_6632
; %bb.6627:                             ;   in Loop: Header=BB6_6244 Depth=2
	v_cmp_ne_u16_e32 vcc, s50, v14
	v_bfrev_b32_e32 v1, 1
	s_and_saveexec_b64 s[76:77], vcc
	s_cbranch_execz .LBB6_6631
; %bb.6628:                             ;   in Loop: Header=BB6_6244 Depth=2
	v_and_b32_e32 v2, 0x7f, v14
	v_cmp_ne_u32_e32 vcc, s39, v2
	v_mov_b32_e32 v1, 0x7f800001
	s_and_saveexec_b64 s[78:79], vcc
	s_cbranch_execz .LBB6_6630
; %bb.6629:                             ;   in Loop: Header=BB6_6244 Depth=2
	v_and_b32_e32 v4, 7, v14
	v_ffbh_u32_e32 v1, v4
	v_min_u32_e32 v6, 32, v1
	v_subrev_u32_e32 v1, 28, v6
	v_lshrrev_b32_e32 v5, 3, v2
	v_cmp_gt_u32_e32 vcc, 8, v2
	v_lshlrev_b64 v[1:2], v1, v[14:15]
	v_sub_u32_e32 v2, 29, v6
	v_and_b32_e32 v1, 7, v1
	v_cndmask_b32_e32 v2, v5, v2, vcc
	v_cndmask_b32_e32 v1, v4, v1, vcc
	v_lshlrev_b32_e32 v4, 16, v10
	v_lshlrev_b32_e32 v1, 20, v1
	v_and_b32_e32 v4, 0x80000000, v4
	v_lshl_add_u32 v2, v2, 23, v62
	v_or3_b32 v1, v4, v2, v1
.LBB6_6630:                             ;   in Loop: Header=BB6_6244 Depth=2
	s_or_b64 exec, exec, s[78:79]
.LBB6_6631:                             ;   in Loop: Header=BB6_6244 Depth=2
	s_or_b64 exec, exec, s[76:77]
.LBB6_6632:                             ;   in Loop: Header=BB6_6244 Depth=2
	s_or_b64 exec, exec, s[18:19]
	v_mul_f32_e32 v2, v17, v1
	v_and_b32_e32 v50, 0x7f800000, v2
	v_cmp_ne_u64_e32 vcc, s[46:47], v[50:51]
                                        ; implicit-def: $vgpr1
                                        ; kill: killed $vgpr1
	s_and_saveexec_b64 s[18:19], vcc
	s_xor_b64 s[76:77], exec, s[18:19]
	s_cbranch_execz .LBB6_6646
; %bb.6633:                             ;   in Loop: Header=BB6_6244 Depth=2
	v_and_b32_e32 v50, 0x7fffffff, v2
	v_cmp_gt_u64_e32 vcc, s[56:57], v[50:51]
	v_and_b32_sdwa v1, v2, s50 dst_sel:DWORD dst_unused:UNUSED_PAD src0_sel:BYTE_3 src1_sel:DWORD
                                        ; implicit-def: $vgpr4
                                        ; kill: killed $vgpr4
	s_and_saveexec_b64 s[18:19], vcc
	s_xor_b64 s[78:79], exec, s[18:19]
	s_cbranch_execz .LBB6_6643
; %bb.6634:                             ;   in Loop: Header=BB6_6244 Depth=2
	v_mov_b32_e32 v4, 0
	v_cmp_ne_u32_e32 vcc, 0, v2
	buffer_store_dword v4, off, s[0:3], s33 offset:268 ; 4-byte Folded Spill
	s_and_saveexec_b64 s[88:89], vcc
	s_cbranch_execz .LBB6_6642
; %bb.6635:                             ;   in Loop: Header=BB6_6244 Depth=2
	v_and_b32_e32 v5, 0x7fffff, v2
	v_bfe_u32 v2, v2, 23, 8
	v_cmp_gt_u32_e64 s[18:19], s51, v2
	v_sub_u32_e32 v4, 0x79, v2
	v_cmp_eq_u32_e32 vcc, 0, v2
	v_cndmask_b32_e64 v4, 0, v4, s[18:19]
	v_mov_b32_e32 v9, 0x78
	v_or_b32_e32 v6, 0x800000, v5
	v_cndmask_b32_e32 v4, v4, v9, vcc
	v_cndmask_b32_e32 v50, v6, v5, vcc
	v_add_u32_e32 v5, 20, v4
	v_lshlrev_b64 v[5:6], v5, -1
	v_add_u32_e32 v9, 19, v4
	v_lshlrev_b64 v[14:15], v9, 1
	v_bfi_b32 v6, v6, 0, 0
	v_bfi_b32 v5, v5, 0, v50
	v_cmp_eq_u64_e64 s[18:19], v[5:6], v[14:15]
	v_lshrrev_b64 v[14:15], v4, v[50:51]
	v_mov_b32_e32 v16, v15
	v_mov_b32_e32 v15, v14
	s_and_saveexec_b64 s[90:91], s[18:19]
; %bb.6636:                             ;   in Loop: Header=BB6_6244 Depth=2
	v_bfe_u32 v5, v14, 20, 1
	v_add_co_u32_e64 v5, s[18:19], v14, v5
	v_add_co_u32_e64 v15, s[18:19], -1, v5
; %bb.6637:                             ;   in Loop: Header=BB6_6244 Depth=2
	s_or_b64 exec, exec, s[90:91]
	v_add_u32_e32 v2, 0xffffff81, v2
	v_mov_b32_e32 v5, 0xffffff82
	v_cndmask_b32_e32 v2, v2, v5, vcc
	v_lshrrev_b32_e32 v5, 23, v14
	v_add3_u32 v5, v4, v2, v5
	v_add_u32_e32 v4, 6, v5
	v_and_b32_e32 v2, 0xfffff, v15
	v_add_u32_e32 v50, v2, v14
	v_cmp_ne_u32_e32 vcc, 0, v4
                                        ; implicit-def: $vgpr14_vgpr15
                                        ; implicit-def: $vgpr2
	s_and_saveexec_b64 s[18:19], vcc
	s_xor_b64 s[18:19], exec, s[18:19]
; %bb.6638:                             ;   in Loop: Header=BB6_6244 Depth=2
	v_cmp_lt_u64_e32 vcc, s[58:59], v[50:51]
	v_add_u32_e32 v2, 7, v5
	v_cndmask_b32_e32 v2, v4, v2, vcc
	v_cndmask_b32_e64 v4, 0, 1, vcc
	v_lshrrev_b64 v[14:15], v4, v[50:51]
; %bb.6639:                             ;   in Loop: Header=BB6_6244 Depth=2
	s_andn2_saveexec_b64 s[18:19], s[18:19]
; %bb.6640:                             ;   in Loop: Header=BB6_6244 Depth=2
	v_mov_b32_e32 v14, v50
	v_bfe_u32 v2, v50, 23, 1
	v_mov_b32_e32 v15, v51
; %bb.6641:                             ;   in Loop: Header=BB6_6244 Depth=2
	s_or_b64 exec, exec, s[18:19]
	v_lshrrev_b64 v[4:5], 20, v[14:15]
	v_cmp_gt_i32_e32 vcc, 16, v2
	v_cndmask_b32_e32 v5, 0, v5, vcc
	v_cndmask_b32_e32 v4, 7, v4, vcc
	v_cmp_eq_u32_e32 vcc, 0, v2
	v_min_i32_e32 v2, 15, v2
	v_cmp_eq_u64_e64 s[18:19], 0, v[4:5]
	v_lshlrev_b32_e32 v2, 3, v2
	v_and_b32_e32 v2, 0xf8, v2
	v_and_or_b32 v2, v4, 7, v2
	s_and_b64 s[18:19], vcc, s[18:19]
	v_cndmask_b32_e64 v2, v2, 0, s[18:19]
	v_or_b32_e32 v1, v2, v1
	buffer_store_dword v1, off, s[0:3], s33 offset:268 ; 4-byte Folded Spill
.LBB6_6642:                             ;   in Loop: Header=BB6_6244 Depth=2
	s_or_b64 exec, exec, s[88:89]
                                        ; implicit-def: $vgpr1
.LBB6_6643:                             ;   in Loop: Header=BB6_6244 Depth=2
	s_andn2_saveexec_b64 s[18:19], s[78:79]
	s_cbranch_execz .LBB6_6645
; %bb.6644:                             ;   in Loop: Header=BB6_6244 Depth=2
	v_or_b32_e32 v1, 0x7e, v1
	buffer_store_dword v1, off, s[0:3], s33 offset:268 ; 4-byte Folded Spill
.LBB6_6645:                             ;   in Loop: Header=BB6_6244 Depth=2
	s_or_b64 exec, exec, s[18:19]
                                        ; implicit-def: $vgpr2
.LBB6_6646:                             ;   in Loop: Header=BB6_6244 Depth=2
	s_andn2_saveexec_b64 s[18:19], s[76:77]
	s_cbranch_execz .LBB6_6648
; %bb.6647:                             ;   in Loop: Header=BB6_6244 Depth=2
	v_or_b32_sdwa v1, v2, s39 dst_sel:DWORD dst_unused:UNUSED_PAD src0_sel:BYTE_3 src1_sel:DWORD
	buffer_store_dword v1, off, s[0:3], s33 offset:268 ; 4-byte Folded Spill
.LBB6_6648:                             ;   in Loop: Header=BB6_6244 Depth=2
	s_or_b64 exec, exec, s[18:19]
	v_lshrrev_b32_e32 v14, 16, v10
	v_cmp_ne_u16_sdwa s[76:77], v14, v51 src0_sel:BYTE_0 src1_sel:DWORD
	v_mov_b32_e32 v1, 0
	s_and_saveexec_b64 s[18:19], s[76:77]
	s_cbranch_execz .LBB6_6654
; %bb.6649:                             ;   in Loop: Header=BB6_6244 Depth=2
	v_cmp_ne_u16_sdwa s[78:79], v14, s50 src0_sel:BYTE_0 src1_sel:DWORD
	v_bfrev_b32_e32 v1, 1
	s_and_saveexec_b64 s[76:77], s[78:79]
	s_cbranch_execz .LBB6_6653
; %bb.6650:                             ;   in Loop: Header=BB6_6244 Depth=2
	v_bfe_u32 v2, v10, 16, 7
	v_cmp_ne_u32_e32 vcc, s39, v2
	v_mov_b32_e32 v1, 0x7f800001
	s_and_saveexec_b64 s[78:79], vcc
	s_cbranch_execz .LBB6_6652
; %bb.6651:                             ;   in Loop: Header=BB6_6244 Depth=2
	v_and_b32_e32 v4, 7, v14
	v_ffbh_u32_e32 v1, v4
	v_min_u32_e32 v6, 32, v1
	v_subrev_u32_e32 v1, 28, v6
	v_lshrrev_b32_e32 v5, 3, v2
	v_cmp_gt_u32_e32 vcc, 8, v2
	v_lshlrev_b64 v[1:2], v1, v[14:15]
	v_sub_u32_e32 v2, 29, v6
	v_and_b32_e32 v1, 7, v1
	v_cndmask_b32_e32 v2, v5, v2, vcc
	v_cndmask_b32_e32 v1, v4, v1, vcc
	v_lshlrev_b32_e32 v4, 24, v14
	v_lshlrev_b32_e32 v1, 20, v1
	v_and_b32_e32 v4, 0x80000000, v4
	v_lshl_add_u32 v2, v2, 23, v62
	v_or3_b32 v1, v4, v2, v1
.LBB6_6652:                             ;   in Loop: Header=BB6_6244 Depth=2
	s_or_b64 exec, exec, s[78:79]
.LBB6_6653:                             ;   in Loop: Header=BB6_6244 Depth=2
	s_or_b64 exec, exec, s[76:77]
.LBB6_6654:                             ;   in Loop: Header=BB6_6244 Depth=2
	s_or_b64 exec, exec, s[18:19]
	v_mul_f32_e32 v2, v17, v1
	v_and_b32_e32 v50, 0x7f800000, v2
	v_cmp_ne_u64_e32 vcc, s[46:47], v[50:51]
                                        ; implicit-def: $vgpr41
	s_and_saveexec_b64 s[18:19], vcc
	s_xor_b64 s[76:77], exec, s[18:19]
	s_cbranch_execz .LBB6_6668
; %bb.6655:                             ;   in Loop: Header=BB6_6244 Depth=2
	v_and_b32_e32 v50, 0x7fffffff, v2
	v_cmp_gt_u64_e32 vcc, s[56:57], v[50:51]
	v_and_b32_sdwa v1, v2, s50 dst_sel:DWORD dst_unused:UNUSED_PAD src0_sel:BYTE_3 src1_sel:DWORD
                                        ; implicit-def: $vgpr41
	s_and_saveexec_b64 s[18:19], vcc
	s_xor_b64 s[78:79], exec, s[18:19]
	s_cbranch_execz .LBB6_6665
; %bb.6656:                             ;   in Loop: Header=BB6_6244 Depth=2
	v_mov_b32_e32 v41, 0
	v_cmp_ne_u32_e32 vcc, 0, v2
	s_and_saveexec_b64 s[88:89], vcc
	s_cbranch_execz .LBB6_6664
; %bb.6657:                             ;   in Loop: Header=BB6_6244 Depth=2
	v_and_b32_e32 v5, 0x7fffff, v2
	v_bfe_u32 v2, v2, 23, 8
	v_cmp_gt_u32_e64 s[18:19], s51, v2
	v_sub_u32_e32 v4, 0x79, v2
	v_cmp_eq_u32_e32 vcc, 0, v2
	v_cndmask_b32_e64 v4, 0, v4, s[18:19]
	v_mov_b32_e32 v9, 0x78
	v_or_b32_e32 v6, 0x800000, v5
	v_cndmask_b32_e32 v4, v4, v9, vcc
	v_cndmask_b32_e32 v50, v6, v5, vcc
	v_add_u32_e32 v5, 20, v4
	v_lshlrev_b64 v[5:6], v5, -1
	v_add_u32_e32 v9, 19, v4
	v_lshlrev_b64 v[14:15], v9, 1
	v_bfi_b32 v6, v6, 0, 0
	v_bfi_b32 v5, v5, 0, v50
	v_cmp_eq_u64_e64 s[18:19], v[5:6], v[14:15]
	v_lshrrev_b64 v[14:15], v4, v[50:51]
	v_mov_b32_e32 v16, v15
	v_mov_b32_e32 v15, v14
	s_and_saveexec_b64 s[90:91], s[18:19]
; %bb.6658:                             ;   in Loop: Header=BB6_6244 Depth=2
	v_bfe_u32 v5, v14, 20, 1
	v_add_co_u32_e64 v5, s[18:19], v14, v5
	v_add_co_u32_e64 v15, s[18:19], -1, v5
; %bb.6659:                             ;   in Loop: Header=BB6_6244 Depth=2
	s_or_b64 exec, exec, s[90:91]
	v_add_u32_e32 v2, 0xffffff81, v2
	v_mov_b32_e32 v5, 0xffffff82
	v_cndmask_b32_e32 v2, v2, v5, vcc
	v_lshrrev_b32_e32 v5, 23, v14
	v_add3_u32 v5, v4, v2, v5
	v_add_u32_e32 v4, 6, v5
	v_and_b32_e32 v2, 0xfffff, v15
	v_add_u32_e32 v50, v2, v14
	v_cmp_ne_u32_e32 vcc, 0, v4
                                        ; implicit-def: $vgpr14_vgpr15
                                        ; implicit-def: $vgpr2
	s_and_saveexec_b64 s[18:19], vcc
	s_xor_b64 s[18:19], exec, s[18:19]
; %bb.6660:                             ;   in Loop: Header=BB6_6244 Depth=2
	v_cmp_lt_u64_e32 vcc, s[58:59], v[50:51]
	v_add_u32_e32 v2, 7, v5
	v_cndmask_b32_e32 v2, v4, v2, vcc
	v_cndmask_b32_e64 v4, 0, 1, vcc
	v_lshrrev_b64 v[14:15], v4, v[50:51]
; %bb.6661:                             ;   in Loop: Header=BB6_6244 Depth=2
	s_andn2_saveexec_b64 s[18:19], s[18:19]
; %bb.6662:                             ;   in Loop: Header=BB6_6244 Depth=2
	v_mov_b32_e32 v14, v50
	v_bfe_u32 v2, v50, 23, 1
	v_mov_b32_e32 v15, v51
; %bb.6663:                             ;   in Loop: Header=BB6_6244 Depth=2
	s_or_b64 exec, exec, s[18:19]
	v_lshrrev_b64 v[4:5], 20, v[14:15]
	v_cmp_gt_i32_e32 vcc, 16, v2
	v_cndmask_b32_e32 v5, 0, v5, vcc
	v_cndmask_b32_e32 v4, 7, v4, vcc
	v_cmp_eq_u32_e32 vcc, 0, v2
	v_min_i32_e32 v2, 15, v2
	v_cmp_eq_u64_e64 s[18:19], 0, v[4:5]
	v_lshlrev_b32_e32 v2, 3, v2
	v_and_b32_e32 v2, 0xf8, v2
	v_and_or_b32 v2, v4, 7, v2
	s_and_b64 s[18:19], vcc, s[18:19]
	v_cndmask_b32_e64 v2, v2, 0, s[18:19]
	v_or_b32_e32 v41, v2, v1
.LBB6_6664:                             ;   in Loop: Header=BB6_6244 Depth=2
	s_or_b64 exec, exec, s[88:89]
                                        ; implicit-def: $vgpr1
.LBB6_6665:                             ;   in Loop: Header=BB6_6244 Depth=2
	s_andn2_saveexec_b64 s[18:19], s[78:79]
; %bb.6666:                             ;   in Loop: Header=BB6_6244 Depth=2
	v_or_b32_e32 v41, 0x7e, v1
; %bb.6667:                             ;   in Loop: Header=BB6_6244 Depth=2
	s_or_b64 exec, exec, s[18:19]
                                        ; implicit-def: $vgpr2
.LBB6_6668:                             ;   in Loop: Header=BB6_6244 Depth=2
	s_andn2_saveexec_b64 s[18:19], s[76:77]
; %bb.6669:                             ;   in Loop: Header=BB6_6244 Depth=2
	v_or_b32_sdwa v41, v2, s39 dst_sel:DWORD dst_unused:UNUSED_PAD src0_sel:BYTE_3 src1_sel:DWORD
; %bb.6670:                             ;   in Loop: Header=BB6_6244 Depth=2
	s_or_b64 exec, exec, s[18:19]
	v_cmp_lt_u32_e32 vcc, s61, v10
	v_mov_b32_e32 v1, 0
	s_and_saveexec_b64 s[18:19], vcc
	s_cbranch_execz .LBB6_6676
; %bb.6671:                             ;   in Loop: Header=BB6_6244 Depth=2
	v_lshrrev_b32_e32 v14, 24, v10
	v_cmp_ne_u32_e32 vcc, s50, v14
	v_bfrev_b32_e32 v1, 1
	s_and_saveexec_b64 s[76:77], vcc
	s_cbranch_execz .LBB6_6675
; %bb.6672:                             ;   in Loop: Header=BB6_6244 Depth=2
	v_bfe_u32 v2, v10, 24, 7
	v_cmp_ne_u32_e32 vcc, s39, v2
	v_mov_b32_e32 v1, 0x7f800001
	s_and_saveexec_b64 s[78:79], vcc
	s_cbranch_execz .LBB6_6674
; %bb.6673:                             ;   in Loop: Header=BB6_6244 Depth=2
	v_and_b32_e32 v4, 7, v14
	v_ffbh_u32_e32 v1, v4
	v_min_u32_e32 v6, 32, v1
	v_subrev_u32_e32 v1, 28, v6
	v_lshrrev_b32_e32 v5, 3, v2
	v_cmp_gt_u32_e32 vcc, 8, v2
	v_lshlrev_b64 v[1:2], v1, v[14:15]
	v_sub_u32_e32 v2, 29, v6
	v_and_b32_e32 v1, 7, v1
	v_cndmask_b32_e32 v2, v5, v2, vcc
	v_cndmask_b32_e32 v1, v4, v1, vcc
	v_lshlrev_b32_e32 v4, 24, v14
	v_lshlrev_b32_e32 v1, 20, v1
	v_and_b32_e32 v4, 0x80000000, v4
	v_lshl_add_u32 v2, v2, 23, v62
	v_or3_b32 v1, v4, v2, v1
.LBB6_6674:                             ;   in Loop: Header=BB6_6244 Depth=2
	s_or_b64 exec, exec, s[78:79]
.LBB6_6675:                             ;   in Loop: Header=BB6_6244 Depth=2
	s_or_b64 exec, exec, s[76:77]
.LBB6_6676:                             ;   in Loop: Header=BB6_6244 Depth=2
	s_or_b64 exec, exec, s[18:19]
	v_mul_f32_e32 v2, v17, v1
	v_and_b32_e32 v50, 0x7f800000, v2
	v_cmp_ne_u64_e32 vcc, s[46:47], v[50:51]
                                        ; implicit-def: $vgpr29
	s_and_saveexec_b64 s[18:19], vcc
	s_xor_b64 s[76:77], exec, s[18:19]
	s_cbranch_execz .LBB6_6690
; %bb.6677:                             ;   in Loop: Header=BB6_6244 Depth=2
	v_and_b32_e32 v50, 0x7fffffff, v2
	v_cmp_gt_u64_e32 vcc, s[56:57], v[50:51]
	v_and_b32_sdwa v1, v2, s50 dst_sel:DWORD dst_unused:UNUSED_PAD src0_sel:BYTE_3 src1_sel:DWORD
                                        ; implicit-def: $vgpr29
	s_and_saveexec_b64 s[18:19], vcc
	s_xor_b64 s[78:79], exec, s[18:19]
	s_cbranch_execz .LBB6_6687
; %bb.6678:                             ;   in Loop: Header=BB6_6244 Depth=2
	v_mov_b32_e32 v29, 0
	v_cmp_ne_u32_e32 vcc, 0, v2
	s_and_saveexec_b64 s[88:89], vcc
	s_cbranch_execz .LBB6_6686
; %bb.6679:                             ;   in Loop: Header=BB6_6244 Depth=2
	v_and_b32_e32 v5, 0x7fffff, v2
	v_bfe_u32 v2, v2, 23, 8
	v_cmp_gt_u32_e64 s[18:19], s51, v2
	v_sub_u32_e32 v4, 0x79, v2
	v_cmp_eq_u32_e32 vcc, 0, v2
	v_cndmask_b32_e64 v4, 0, v4, s[18:19]
	v_mov_b32_e32 v9, 0x78
	v_or_b32_e32 v6, 0x800000, v5
	v_cndmask_b32_e32 v4, v4, v9, vcc
	v_cndmask_b32_e32 v50, v6, v5, vcc
	v_add_u32_e32 v5, 20, v4
	v_lshlrev_b64 v[5:6], v5, -1
	v_add_u32_e32 v9, 19, v4
	v_lshlrev_b64 v[14:15], v9, 1
	v_bfi_b32 v6, v6, 0, 0
	v_bfi_b32 v5, v5, 0, v50
	v_cmp_eq_u64_e64 s[18:19], v[5:6], v[14:15]
	v_lshrrev_b64 v[14:15], v4, v[50:51]
	v_mov_b32_e32 v16, v15
	v_mov_b32_e32 v15, v14
	s_and_saveexec_b64 s[90:91], s[18:19]
; %bb.6680:                             ;   in Loop: Header=BB6_6244 Depth=2
	v_bfe_u32 v5, v14, 20, 1
	v_add_co_u32_e64 v5, s[18:19], v14, v5
	v_add_co_u32_e64 v15, s[18:19], -1, v5
; %bb.6681:                             ;   in Loop: Header=BB6_6244 Depth=2
	s_or_b64 exec, exec, s[90:91]
	v_add_u32_e32 v2, 0xffffff81, v2
	v_mov_b32_e32 v5, 0xffffff82
	v_cndmask_b32_e32 v2, v2, v5, vcc
	v_lshrrev_b32_e32 v5, 23, v14
	v_add3_u32 v5, v4, v2, v5
	v_add_u32_e32 v4, 6, v5
	v_and_b32_e32 v2, 0xfffff, v15
	v_add_u32_e32 v50, v2, v14
	v_cmp_ne_u32_e32 vcc, 0, v4
                                        ; implicit-def: $vgpr14_vgpr15
                                        ; implicit-def: $vgpr2
	s_and_saveexec_b64 s[18:19], vcc
	s_xor_b64 s[18:19], exec, s[18:19]
; %bb.6682:                             ;   in Loop: Header=BB6_6244 Depth=2
	v_cmp_lt_u64_e32 vcc, s[58:59], v[50:51]
	v_add_u32_e32 v2, 7, v5
	v_cndmask_b32_e32 v2, v4, v2, vcc
	v_cndmask_b32_e64 v4, 0, 1, vcc
	v_lshrrev_b64 v[14:15], v4, v[50:51]
; %bb.6683:                             ;   in Loop: Header=BB6_6244 Depth=2
	s_andn2_saveexec_b64 s[18:19], s[18:19]
; %bb.6684:                             ;   in Loop: Header=BB6_6244 Depth=2
	v_mov_b32_e32 v14, v50
	v_bfe_u32 v2, v50, 23, 1
	v_mov_b32_e32 v15, v51
; %bb.6685:                             ;   in Loop: Header=BB6_6244 Depth=2
	s_or_b64 exec, exec, s[18:19]
	v_lshrrev_b64 v[4:5], 20, v[14:15]
	v_cmp_gt_i32_e32 vcc, 16, v2
	v_cndmask_b32_e32 v5, 0, v5, vcc
	v_cndmask_b32_e32 v4, 7, v4, vcc
	v_cmp_eq_u32_e32 vcc, 0, v2
	v_min_i32_e32 v2, 15, v2
	v_cmp_eq_u64_e64 s[18:19], 0, v[4:5]
	v_lshlrev_b32_e32 v2, 3, v2
	v_and_b32_e32 v2, 0xf8, v2
	v_and_or_b32 v2, v4, 7, v2
	s_and_b64 s[18:19], vcc, s[18:19]
	v_cndmask_b32_e64 v2, v2, 0, s[18:19]
	v_or_b32_e32 v29, v2, v1
.LBB6_6686:                             ;   in Loop: Header=BB6_6244 Depth=2
	s_or_b64 exec, exec, s[88:89]
                                        ; implicit-def: $vgpr1
.LBB6_6687:                             ;   in Loop: Header=BB6_6244 Depth=2
	s_andn2_saveexec_b64 s[18:19], s[78:79]
; %bb.6688:                             ;   in Loop: Header=BB6_6244 Depth=2
	v_or_b32_e32 v29, 0x7e, v1
; %bb.6689:                             ;   in Loop: Header=BB6_6244 Depth=2
	s_or_b64 exec, exec, s[18:19]
                                        ; implicit-def: $vgpr2
.LBB6_6690:                             ;   in Loop: Header=BB6_6244 Depth=2
	s_andn2_saveexec_b64 s[18:19], s[76:77]
; %bb.6691:                             ;   in Loop: Header=BB6_6244 Depth=2
	v_or_b32_sdwa v29, v2, s39 dst_sel:DWORD dst_unused:UNUSED_PAD src0_sel:BYTE_3 src1_sel:DWORD
; %bb.6692:                             ;   in Loop: Header=BB6_6244 Depth=2
	s_or_b64 exec, exec, s[18:19]
	v_mov_b32_e32 v50, v11
	v_cmp_ne_u16_sdwa s[76:77], v11, v51 src0_sel:BYTE_0 src1_sel:DWORD
	v_mov_b32_e32 v1, 0
	s_and_saveexec_b64 s[18:19], s[76:77]
	s_cbranch_execz .LBB6_6698
; %bb.6693:                             ;   in Loop: Header=BB6_6244 Depth=2
	v_cmp_ne_u16_sdwa s[78:79], v11, s50 src0_sel:BYTE_0 src1_sel:DWORD
	v_bfrev_b32_e32 v1, 1
	s_and_saveexec_b64 s[76:77], s[78:79]
	s_cbranch_execz .LBB6_6697
; %bb.6694:                             ;   in Loop: Header=BB6_6244 Depth=2
	v_and_b32_e32 v2, 0x7f, v11
	v_cmp_ne_u32_e32 vcc, s39, v2
	v_mov_b32_e32 v1, 0x7f800001
	s_and_saveexec_b64 s[78:79], vcc
	s_cbranch_execz .LBB6_6696
; %bb.6695:                             ;   in Loop: Header=BB6_6244 Depth=2
	v_and_b32_e32 v1, 7, v11
	v_ffbh_u32_e32 v1, v1
	v_min_u32_e32 v1, 32, v1
	v_lshrrev_b32_e32 v4, 3, v2
	v_cmp_gt_u32_e32 vcc, 8, v2
	v_subrev_u32_e32 v2, 28, v1
	v_sub_u32_e32 v1, 29, v1
	v_cndmask_b32_e32 v4, v4, v1, vcc
	v_cndmask_b32_e32 v1, 0, v2, vcc
	v_lshlrev_b64 v[1:2], v1, v[50:51]
	v_lshlrev_b32_e32 v2, 24, v50
	v_lshlrev_b32_e32 v1, 20, v1
	v_and_b32_e32 v1, 0x700000, v1
	v_and_b32_e32 v2, 0x80000000, v2
	v_lshl_add_u32 v4, v4, 23, v62
	v_or3_b32 v1, v2, v4, v1
.LBB6_6696:                             ;   in Loop: Header=BB6_6244 Depth=2
	s_or_b64 exec, exec, s[78:79]
.LBB6_6697:                             ;   in Loop: Header=BB6_6244 Depth=2
	s_or_b64 exec, exec, s[76:77]
.LBB6_6698:                             ;   in Loop: Header=BB6_6244 Depth=2
	s_or_b64 exec, exec, s[18:19]
	v_mul_f32_e32 v2, v17, v1
	v_and_b32_e32 v4, 0x7f800000, v2
	v_mov_b32_e32 v5, v51
	v_cmp_ne_u64_e32 vcc, s[46:47], v[4:5]
                                        ; implicit-def: $vgpr42
	s_and_saveexec_b64 s[18:19], vcc
	s_xor_b64 s[76:77], exec, s[18:19]
	s_cbranch_execz .LBB6_6712
; %bb.6699:                             ;   in Loop: Header=BB6_6244 Depth=2
	v_and_b32_e32 v4, 0x7fffffff, v2
	v_mov_b32_e32 v5, v51
	v_cmp_gt_u64_e32 vcc, s[56:57], v[4:5]
	v_and_b32_sdwa v1, v2, s50 dst_sel:DWORD dst_unused:UNUSED_PAD src0_sel:BYTE_3 src1_sel:DWORD
                                        ; implicit-def: $vgpr42
	s_and_saveexec_b64 s[18:19], vcc
	s_xor_b64 s[78:79], exec, s[18:19]
	s_cbranch_execz .LBB6_6709
; %bb.6700:                             ;   in Loop: Header=BB6_6244 Depth=2
	v_mov_b32_e32 v42, 0
	v_cmp_ne_u32_e32 vcc, 0, v2
	s_and_saveexec_b64 s[88:89], vcc
	s_cbranch_execz .LBB6_6708
; %bb.6701:                             ;   in Loop: Header=BB6_6244 Depth=2
	v_and_b32_e32 v5, 0x7fffff, v2
	v_bfe_u32 v2, v2, 23, 8
	v_cmp_gt_u32_e64 s[18:19], s51, v2
	v_sub_u32_e32 v4, 0x79, v2
	v_cmp_eq_u32_e32 vcc, 0, v2
	v_cndmask_b32_e64 v4, 0, v4, s[18:19]
	v_mov_b32_e32 v9, 0x78
	v_cndmask_b32_e32 v4, v4, v9, vcc
	v_add_u32_e32 v9, 20, v4
	v_or_b32_e32 v6, 0x800000, v5
	v_lshlrev_b64 v[14:15], v9, -1
	v_add_u32_e32 v9, 19, v4
	v_cndmask_b32_e32 v5, v6, v5, vcc
	v_lshlrev_b64 v[18:19], v9, 1
	v_mov_b32_e32 v6, v51
	v_bfi_b32 v15, v15, 0, 0
	v_bfi_b32 v14, v14, 0, v5
	v_cmp_eq_u64_e64 s[18:19], v[14:15], v[18:19]
	v_lshrrev_b64 v[14:15], v4, v[5:6]
	v_mov_b32_e32 v16, v15
	v_mov_b32_e32 v15, v14
	s_and_saveexec_b64 s[90:91], s[18:19]
; %bb.6702:                             ;   in Loop: Header=BB6_6244 Depth=2
	v_bfe_u32 v5, v14, 20, 1
	v_add_co_u32_e64 v5, s[18:19], v14, v5
	v_add_co_u32_e64 v15, s[18:19], -1, v5
; %bb.6703:                             ;   in Loop: Header=BB6_6244 Depth=2
	s_or_b64 exec, exec, s[90:91]
	v_add_u32_e32 v2, 0xffffff81, v2
	v_mov_b32_e32 v5, 0xffffff82
	v_cndmask_b32_e32 v2, v2, v5, vcc
	v_lshrrev_b32_e32 v5, 23, v14
	v_add3_u32 v5, v4, v2, v5
	v_add_u32_e32 v4, 6, v5
	v_and_b32_e32 v2, 0xfffff, v15
	v_add_u32_e32 v14, v2, v14
	v_mov_b32_e32 v15, v51
	v_cmp_ne_u32_e32 vcc, 0, v4
                                        ; implicit-def: $vgpr2
	s_and_saveexec_b64 s[18:19], vcc
	s_xor_b64 s[18:19], exec, s[18:19]
; %bb.6704:                             ;   in Loop: Header=BB6_6244 Depth=2
	v_cmp_lt_u64_e32 vcc, s[58:59], v[14:15]
	v_add_u32_e32 v2, 7, v5
	v_cndmask_b32_e32 v2, v4, v2, vcc
	v_cndmask_b32_e64 v4, 0, 1, vcc
	v_lshrrev_b64 v[14:15], v4, v[14:15]
; %bb.6705:                             ;   in Loop: Header=BB6_6244 Depth=2
	s_andn2_saveexec_b64 s[18:19], s[18:19]
; %bb.6706:                             ;   in Loop: Header=BB6_6244 Depth=2
	v_bfe_u32 v2, v14, 23, 1
; %bb.6707:                             ;   in Loop: Header=BB6_6244 Depth=2
	s_or_b64 exec, exec, s[18:19]
	v_lshrrev_b64 v[4:5], 20, v[14:15]
	v_cmp_gt_i32_e32 vcc, 16, v2
	v_cndmask_b32_e32 v5, 0, v5, vcc
	v_cndmask_b32_e32 v4, 7, v4, vcc
	v_cmp_eq_u32_e32 vcc, 0, v2
	v_min_i32_e32 v2, 15, v2
	v_cmp_eq_u64_e64 s[18:19], 0, v[4:5]
	v_lshlrev_b32_e32 v2, 3, v2
	v_and_b32_e32 v2, 0xf8, v2
	v_and_or_b32 v2, v4, 7, v2
	s_and_b64 s[18:19], vcc, s[18:19]
	v_cndmask_b32_e64 v2, v2, 0, s[18:19]
	v_or_b32_e32 v42, v2, v1
.LBB6_6708:                             ;   in Loop: Header=BB6_6244 Depth=2
	s_or_b64 exec, exec, s[88:89]
                                        ; implicit-def: $vgpr1
.LBB6_6709:                             ;   in Loop: Header=BB6_6244 Depth=2
	s_andn2_saveexec_b64 s[18:19], s[78:79]
; %bb.6710:                             ;   in Loop: Header=BB6_6244 Depth=2
	v_or_b32_e32 v42, 0x7e, v1
; %bb.6711:                             ;   in Loop: Header=BB6_6244 Depth=2
	s_or_b64 exec, exec, s[18:19]
                                        ; implicit-def: $vgpr2
.LBB6_6712:                             ;   in Loop: Header=BB6_6244 Depth=2
	s_andn2_saveexec_b64 s[18:19], s[76:77]
; %bb.6713:                             ;   in Loop: Header=BB6_6244 Depth=2
	v_or_b32_sdwa v42, v2, s39 dst_sel:DWORD dst_unused:UNUSED_PAD src0_sel:BYTE_3 src1_sel:DWORD
; %bb.6714:                             ;   in Loop: Header=BB6_6244 Depth=2
	s_or_b64 exec, exec, s[18:19]
	v_lshrrev_b16_e32 v14, 8, v50
	v_cmp_ne_u16_e32 vcc, 0, v14
	v_mov_b32_e32 v1, 0
	s_and_saveexec_b64 s[18:19], vcc
	s_cbranch_execz .LBB6_6720
; %bb.6715:                             ;   in Loop: Header=BB6_6244 Depth=2
	v_cmp_ne_u16_e32 vcc, s50, v14
	v_bfrev_b32_e32 v1, 1
	s_and_saveexec_b64 s[76:77], vcc
	s_cbranch_execz .LBB6_6719
; %bb.6716:                             ;   in Loop: Header=BB6_6244 Depth=2
	v_and_b32_e32 v2, 0x7f, v14
	v_cmp_ne_u32_e32 vcc, s39, v2
	v_mov_b32_e32 v1, 0x7f800001
	s_and_saveexec_b64 s[78:79], vcc
	s_cbranch_execz .LBB6_6718
; %bb.6717:                             ;   in Loop: Header=BB6_6244 Depth=2
	v_and_b32_e32 v4, 7, v14
	v_ffbh_u32_e32 v1, v4
	v_min_u32_e32 v6, 32, v1
	v_subrev_u32_e32 v1, 28, v6
	v_lshrrev_b32_e32 v5, 3, v2
	v_cmp_gt_u32_e32 vcc, 8, v2
	v_lshlrev_b64 v[1:2], v1, v[14:15]
	v_sub_u32_e32 v2, 29, v6
	v_and_b32_e32 v1, 7, v1
	v_cndmask_b32_e32 v2, v5, v2, vcc
	v_cndmask_b32_e32 v1, v4, v1, vcc
	v_lshlrev_b32_e32 v4, 16, v50
	v_lshlrev_b32_e32 v1, 20, v1
	v_and_b32_e32 v4, 0x80000000, v4
	v_lshl_add_u32 v2, v2, 23, v62
	v_or3_b32 v1, v4, v2, v1
.LBB6_6718:                             ;   in Loop: Header=BB6_6244 Depth=2
	s_or_b64 exec, exec, s[78:79]
.LBB6_6719:                             ;   in Loop: Header=BB6_6244 Depth=2
	s_or_b64 exec, exec, s[76:77]
.LBB6_6720:                             ;   in Loop: Header=BB6_6244 Depth=2
	s_or_b64 exec, exec, s[18:19]
	v_mul_f32_e32 v2, v17, v1
	v_and_b32_e32 v50, 0x7f800000, v2
	v_cmp_ne_u64_e32 vcc, s[46:47], v[50:51]
                                        ; implicit-def: $vgpr1
                                        ; kill: killed $vgpr1
	s_and_saveexec_b64 s[18:19], vcc
	s_xor_b64 s[76:77], exec, s[18:19]
	s_cbranch_execz .LBB6_6734
; %bb.6721:                             ;   in Loop: Header=BB6_6244 Depth=2
	v_and_b32_e32 v50, 0x7fffffff, v2
	v_cmp_gt_u64_e32 vcc, s[56:57], v[50:51]
	v_and_b32_sdwa v1, v2, s50 dst_sel:DWORD dst_unused:UNUSED_PAD src0_sel:BYTE_3 src1_sel:DWORD
                                        ; implicit-def: $vgpr4
                                        ; kill: killed $vgpr4
	s_and_saveexec_b64 s[18:19], vcc
	s_xor_b64 s[78:79], exec, s[18:19]
	s_cbranch_execz .LBB6_6731
; %bb.6722:                             ;   in Loop: Header=BB6_6244 Depth=2
	v_mov_b32_e32 v4, 0
	v_cmp_ne_u32_e32 vcc, 0, v2
	buffer_store_dword v4, off, s[0:3], s33 offset:252 ; 4-byte Folded Spill
	s_and_saveexec_b64 s[88:89], vcc
	s_cbranch_execz .LBB6_6730
; %bb.6723:                             ;   in Loop: Header=BB6_6244 Depth=2
	v_and_b32_e32 v5, 0x7fffff, v2
	v_bfe_u32 v2, v2, 23, 8
	v_cmp_gt_u32_e64 s[18:19], s51, v2
	v_sub_u32_e32 v4, 0x79, v2
	v_cmp_eq_u32_e32 vcc, 0, v2
	v_cndmask_b32_e64 v4, 0, v4, s[18:19]
	v_mov_b32_e32 v9, 0x78
	v_or_b32_e32 v6, 0x800000, v5
	v_cndmask_b32_e32 v4, v4, v9, vcc
	v_cndmask_b32_e32 v50, v6, v5, vcc
	v_add_u32_e32 v5, 20, v4
	v_lshlrev_b64 v[5:6], v5, -1
	v_add_u32_e32 v9, 19, v4
	v_lshlrev_b64 v[14:15], v9, 1
	v_bfi_b32 v6, v6, 0, 0
	v_bfi_b32 v5, v5, 0, v50
	v_cmp_eq_u64_e64 s[18:19], v[5:6], v[14:15]
	v_lshrrev_b64 v[14:15], v4, v[50:51]
	v_mov_b32_e32 v16, v15
	v_mov_b32_e32 v15, v14
	s_and_saveexec_b64 s[90:91], s[18:19]
; %bb.6724:                             ;   in Loop: Header=BB6_6244 Depth=2
	v_bfe_u32 v5, v14, 20, 1
	v_add_co_u32_e64 v5, s[18:19], v14, v5
	v_add_co_u32_e64 v15, s[18:19], -1, v5
; %bb.6725:                             ;   in Loop: Header=BB6_6244 Depth=2
	s_or_b64 exec, exec, s[90:91]
	v_add_u32_e32 v2, 0xffffff81, v2
	v_mov_b32_e32 v5, 0xffffff82
	v_cndmask_b32_e32 v2, v2, v5, vcc
	v_lshrrev_b32_e32 v5, 23, v14
	v_add3_u32 v5, v4, v2, v5
	v_add_u32_e32 v4, 6, v5
	v_and_b32_e32 v2, 0xfffff, v15
	v_add_u32_e32 v50, v2, v14
	v_cmp_ne_u32_e32 vcc, 0, v4
                                        ; implicit-def: $vgpr14_vgpr15
                                        ; implicit-def: $vgpr2
	s_and_saveexec_b64 s[18:19], vcc
	s_xor_b64 s[18:19], exec, s[18:19]
; %bb.6726:                             ;   in Loop: Header=BB6_6244 Depth=2
	v_cmp_lt_u64_e32 vcc, s[58:59], v[50:51]
	v_add_u32_e32 v2, 7, v5
	v_cndmask_b32_e32 v2, v4, v2, vcc
	v_cndmask_b32_e64 v4, 0, 1, vcc
	v_lshrrev_b64 v[14:15], v4, v[50:51]
; %bb.6727:                             ;   in Loop: Header=BB6_6244 Depth=2
	s_andn2_saveexec_b64 s[18:19], s[18:19]
; %bb.6728:                             ;   in Loop: Header=BB6_6244 Depth=2
	v_mov_b32_e32 v14, v50
	v_bfe_u32 v2, v50, 23, 1
	v_mov_b32_e32 v15, v51
; %bb.6729:                             ;   in Loop: Header=BB6_6244 Depth=2
	s_or_b64 exec, exec, s[18:19]
	v_lshrrev_b64 v[4:5], 20, v[14:15]
	v_cmp_gt_i32_e32 vcc, 16, v2
	v_cndmask_b32_e32 v5, 0, v5, vcc
	v_cndmask_b32_e32 v4, 7, v4, vcc
	v_cmp_eq_u32_e32 vcc, 0, v2
	v_min_i32_e32 v2, 15, v2
	v_cmp_eq_u64_e64 s[18:19], 0, v[4:5]
	v_lshlrev_b32_e32 v2, 3, v2
	v_and_b32_e32 v2, 0xf8, v2
	v_and_or_b32 v2, v4, 7, v2
	s_and_b64 s[18:19], vcc, s[18:19]
	v_cndmask_b32_e64 v2, v2, 0, s[18:19]
	v_or_b32_e32 v1, v2, v1
	buffer_store_dword v1, off, s[0:3], s33 offset:252 ; 4-byte Folded Spill
.LBB6_6730:                             ;   in Loop: Header=BB6_6244 Depth=2
	s_or_b64 exec, exec, s[88:89]
                                        ; implicit-def: $vgpr1
.LBB6_6731:                             ;   in Loop: Header=BB6_6244 Depth=2
	s_andn2_saveexec_b64 s[18:19], s[78:79]
	s_cbranch_execz .LBB6_6733
; %bb.6732:                             ;   in Loop: Header=BB6_6244 Depth=2
	v_or_b32_e32 v1, 0x7e, v1
	buffer_store_dword v1, off, s[0:3], s33 offset:252 ; 4-byte Folded Spill
.LBB6_6733:                             ;   in Loop: Header=BB6_6244 Depth=2
	s_or_b64 exec, exec, s[18:19]
                                        ; implicit-def: $vgpr2
.LBB6_6734:                             ;   in Loop: Header=BB6_6244 Depth=2
	s_andn2_saveexec_b64 s[18:19], s[76:77]
	s_cbranch_execz .LBB6_6736
; %bb.6735:                             ;   in Loop: Header=BB6_6244 Depth=2
	v_or_b32_sdwa v1, v2, s39 dst_sel:DWORD dst_unused:UNUSED_PAD src0_sel:BYTE_3 src1_sel:DWORD
	buffer_store_dword v1, off, s[0:3], s33 offset:252 ; 4-byte Folded Spill
.LBB6_6736:                             ;   in Loop: Header=BB6_6244 Depth=2
	s_or_b64 exec, exec, s[18:19]
	v_lshrrev_b32_e32 v14, 16, v11
	v_cmp_ne_u16_sdwa s[76:77], v14, v51 src0_sel:BYTE_0 src1_sel:DWORD
	v_mov_b32_e32 v1, 0
	s_and_saveexec_b64 s[18:19], s[76:77]
	s_cbranch_execz .LBB6_6742
; %bb.6737:                             ;   in Loop: Header=BB6_6244 Depth=2
	v_cmp_ne_u16_sdwa s[78:79], v14, s50 src0_sel:BYTE_0 src1_sel:DWORD
	v_bfrev_b32_e32 v1, 1
	s_and_saveexec_b64 s[76:77], s[78:79]
	s_cbranch_execz .LBB6_6741
; %bb.6738:                             ;   in Loop: Header=BB6_6244 Depth=2
	v_bfe_u32 v2, v11, 16, 7
	v_cmp_ne_u32_e32 vcc, s39, v2
	v_mov_b32_e32 v1, 0x7f800001
	s_and_saveexec_b64 s[78:79], vcc
	s_cbranch_execz .LBB6_6740
; %bb.6739:                             ;   in Loop: Header=BB6_6244 Depth=2
	v_and_b32_e32 v4, 7, v14
	v_ffbh_u32_e32 v1, v4
	v_min_u32_e32 v6, 32, v1
	v_subrev_u32_e32 v1, 28, v6
	v_lshrrev_b32_e32 v5, 3, v2
	v_cmp_gt_u32_e32 vcc, 8, v2
	v_lshlrev_b64 v[1:2], v1, v[14:15]
	v_sub_u32_e32 v2, 29, v6
	v_and_b32_e32 v1, 7, v1
	v_cndmask_b32_e32 v2, v5, v2, vcc
	v_cndmask_b32_e32 v1, v4, v1, vcc
	v_lshlrev_b32_e32 v4, 24, v14
	v_lshlrev_b32_e32 v1, 20, v1
	v_and_b32_e32 v4, 0x80000000, v4
	v_lshl_add_u32 v2, v2, 23, v62
	v_or3_b32 v1, v4, v2, v1
.LBB6_6740:                             ;   in Loop: Header=BB6_6244 Depth=2
	s_or_b64 exec, exec, s[78:79]
.LBB6_6741:                             ;   in Loop: Header=BB6_6244 Depth=2
	s_or_b64 exec, exec, s[76:77]
.LBB6_6742:                             ;   in Loop: Header=BB6_6244 Depth=2
	s_or_b64 exec, exec, s[18:19]
	v_mul_f32_e32 v2, v17, v1
	v_and_b32_e32 v50, 0x7f800000, v2
	v_cmp_ne_u64_e32 vcc, s[46:47], v[50:51]
                                        ; implicit-def: $vgpr1
                                        ; kill: killed $vgpr1
	s_and_saveexec_b64 s[18:19], vcc
	s_xor_b64 s[76:77], exec, s[18:19]
	s_cbranch_execz .LBB6_6756
; %bb.6743:                             ;   in Loop: Header=BB6_6244 Depth=2
	v_and_b32_e32 v50, 0x7fffffff, v2
	v_cmp_gt_u64_e32 vcc, s[56:57], v[50:51]
	v_and_b32_sdwa v1, v2, s50 dst_sel:DWORD dst_unused:UNUSED_PAD src0_sel:BYTE_3 src1_sel:DWORD
                                        ; implicit-def: $vgpr4
                                        ; kill: killed $vgpr4
	s_and_saveexec_b64 s[18:19], vcc
	s_xor_b64 s[78:79], exec, s[18:19]
	s_cbranch_execz .LBB6_6753
; %bb.6744:                             ;   in Loop: Header=BB6_6244 Depth=2
	v_mov_b32_e32 v4, 0
	v_cmp_ne_u32_e32 vcc, 0, v2
	buffer_store_dword v4, off, s[0:3], s33 offset:272 ; 4-byte Folded Spill
	s_and_saveexec_b64 s[88:89], vcc
	s_cbranch_execz .LBB6_6752
; %bb.6745:                             ;   in Loop: Header=BB6_6244 Depth=2
	v_and_b32_e32 v5, 0x7fffff, v2
	v_bfe_u32 v2, v2, 23, 8
	v_cmp_gt_u32_e64 s[18:19], s51, v2
	v_sub_u32_e32 v4, 0x79, v2
	v_cmp_eq_u32_e32 vcc, 0, v2
	v_cndmask_b32_e64 v4, 0, v4, s[18:19]
	v_mov_b32_e32 v9, 0x78
	v_or_b32_e32 v6, 0x800000, v5
	v_cndmask_b32_e32 v4, v4, v9, vcc
	v_cndmask_b32_e32 v50, v6, v5, vcc
	v_add_u32_e32 v5, 20, v4
	v_lshlrev_b64 v[5:6], v5, -1
	v_add_u32_e32 v9, 19, v4
	v_lshlrev_b64 v[14:15], v9, 1
	v_bfi_b32 v6, v6, 0, 0
	v_bfi_b32 v5, v5, 0, v50
	v_cmp_eq_u64_e64 s[18:19], v[5:6], v[14:15]
	v_lshrrev_b64 v[14:15], v4, v[50:51]
	v_mov_b32_e32 v16, v15
	v_mov_b32_e32 v15, v14
	s_and_saveexec_b64 s[90:91], s[18:19]
; %bb.6746:                             ;   in Loop: Header=BB6_6244 Depth=2
	v_bfe_u32 v5, v14, 20, 1
	v_add_co_u32_e64 v5, s[18:19], v14, v5
	v_add_co_u32_e64 v15, s[18:19], -1, v5
; %bb.6747:                             ;   in Loop: Header=BB6_6244 Depth=2
	s_or_b64 exec, exec, s[90:91]
	v_add_u32_e32 v2, 0xffffff81, v2
	v_mov_b32_e32 v5, 0xffffff82
	v_cndmask_b32_e32 v2, v2, v5, vcc
	v_lshrrev_b32_e32 v5, 23, v14
	v_add3_u32 v5, v4, v2, v5
	v_add_u32_e32 v4, 6, v5
	v_and_b32_e32 v2, 0xfffff, v15
	v_add_u32_e32 v50, v2, v14
	v_cmp_ne_u32_e32 vcc, 0, v4
                                        ; implicit-def: $vgpr14_vgpr15
                                        ; implicit-def: $vgpr2
	s_and_saveexec_b64 s[18:19], vcc
	s_xor_b64 s[18:19], exec, s[18:19]
; %bb.6748:                             ;   in Loop: Header=BB6_6244 Depth=2
	v_cmp_lt_u64_e32 vcc, s[58:59], v[50:51]
	v_add_u32_e32 v2, 7, v5
	v_cndmask_b32_e32 v2, v4, v2, vcc
	v_cndmask_b32_e64 v4, 0, 1, vcc
	v_lshrrev_b64 v[14:15], v4, v[50:51]
; %bb.6749:                             ;   in Loop: Header=BB6_6244 Depth=2
	s_andn2_saveexec_b64 s[18:19], s[18:19]
; %bb.6750:                             ;   in Loop: Header=BB6_6244 Depth=2
	v_mov_b32_e32 v14, v50
	v_bfe_u32 v2, v50, 23, 1
	v_mov_b32_e32 v15, v51
; %bb.6751:                             ;   in Loop: Header=BB6_6244 Depth=2
	s_or_b64 exec, exec, s[18:19]
	v_lshrrev_b64 v[4:5], 20, v[14:15]
	v_cmp_gt_i32_e32 vcc, 16, v2
	v_cndmask_b32_e32 v5, 0, v5, vcc
	v_cndmask_b32_e32 v4, 7, v4, vcc
	v_cmp_eq_u32_e32 vcc, 0, v2
	v_min_i32_e32 v2, 15, v2
	v_cmp_eq_u64_e64 s[18:19], 0, v[4:5]
	v_lshlrev_b32_e32 v2, 3, v2
	v_and_b32_e32 v2, 0xf8, v2
	v_and_or_b32 v2, v4, 7, v2
	s_and_b64 s[18:19], vcc, s[18:19]
	v_cndmask_b32_e64 v2, v2, 0, s[18:19]
	v_or_b32_e32 v1, v2, v1
	buffer_store_dword v1, off, s[0:3], s33 offset:272 ; 4-byte Folded Spill
.LBB6_6752:                             ;   in Loop: Header=BB6_6244 Depth=2
	s_or_b64 exec, exec, s[88:89]
                                        ; implicit-def: $vgpr1
.LBB6_6753:                             ;   in Loop: Header=BB6_6244 Depth=2
	s_andn2_saveexec_b64 s[18:19], s[78:79]
	s_cbranch_execz .LBB6_6755
; %bb.6754:                             ;   in Loop: Header=BB6_6244 Depth=2
	v_or_b32_e32 v1, 0x7e, v1
	buffer_store_dword v1, off, s[0:3], s33 offset:272 ; 4-byte Folded Spill
.LBB6_6755:                             ;   in Loop: Header=BB6_6244 Depth=2
	s_or_b64 exec, exec, s[18:19]
                                        ; implicit-def: $vgpr2
.LBB6_6756:                             ;   in Loop: Header=BB6_6244 Depth=2
	s_andn2_saveexec_b64 s[18:19], s[76:77]
	s_cbranch_execz .LBB6_6758
; %bb.6757:                             ;   in Loop: Header=BB6_6244 Depth=2
	v_or_b32_sdwa v1, v2, s39 dst_sel:DWORD dst_unused:UNUSED_PAD src0_sel:BYTE_3 src1_sel:DWORD
	buffer_store_dword v1, off, s[0:3], s33 offset:272 ; 4-byte Folded Spill
.LBB6_6758:                             ;   in Loop: Header=BB6_6244 Depth=2
	s_or_b64 exec, exec, s[18:19]
	v_cmp_lt_u64_e32 vcc, s[60:61], v[10:11]
	v_mov_b32_e32 v1, 0
	s_and_saveexec_b64 s[18:19], vcc
	s_cbranch_execz .LBB6_6764
; %bb.6759:                             ;   in Loop: Header=BB6_6244 Depth=2
	v_lshrrev_b32_e32 v10, 24, v11
	v_cmp_ne_u32_e32 vcc, s50, v10
	v_bfrev_b32_e32 v1, 1
	s_and_saveexec_b64 s[76:77], vcc
	s_cbranch_execz .LBB6_6763
; %bb.6760:                             ;   in Loop: Header=BB6_6244 Depth=2
	v_bfe_u32 v2, v11, 24, 7
	v_cmp_ne_u32_e32 vcc, s39, v2
	v_mov_b32_e32 v1, 0x7f800001
	s_and_saveexec_b64 s[78:79], vcc
	s_cbranch_execz .LBB6_6762
; %bb.6761:                             ;   in Loop: Header=BB6_6244 Depth=2
	v_and_b32_e32 v4, 7, v10
	v_ffbh_u32_e32 v1, v4
	v_min_u32_e32 v6, 32, v1
	v_subrev_u32_e32 v1, 28, v6
	v_lshrrev_b32_e32 v5, 3, v2
	v_cmp_gt_u32_e32 vcc, 8, v2
	v_lshlrev_b64 v[1:2], v1, v[10:11]
	v_sub_u32_e32 v2, 29, v6
	v_and_b32_e32 v1, 7, v1
	v_cndmask_b32_e32 v2, v5, v2, vcc
	v_cndmask_b32_e32 v1, v4, v1, vcc
	v_lshlrev_b32_e32 v4, 24, v10
	v_lshlrev_b32_e32 v1, 20, v1
	v_and_b32_e32 v4, 0x80000000, v4
	v_lshl_add_u32 v2, v2, 23, v62
	v_or3_b32 v1, v4, v2, v1
.LBB6_6762:                             ;   in Loop: Header=BB6_6244 Depth=2
	s_or_b64 exec, exec, s[78:79]
.LBB6_6763:                             ;   in Loop: Header=BB6_6244 Depth=2
	s_or_b64 exec, exec, s[76:77]
.LBB6_6764:                             ;   in Loop: Header=BB6_6244 Depth=2
	s_or_b64 exec, exec, s[18:19]
	v_mul_f32_e32 v4, v17, v1
	v_and_b32_e32 v50, 0x7f800000, v4
	v_cmp_ne_u64_e32 vcc, s[46:47], v[50:51]
                                        ; implicit-def: $vgpr1
	s_and_saveexec_b64 s[18:19], vcc
	s_xor_b64 s[76:77], exec, s[18:19]
	s_cbranch_execz .LBB6_6778
; %bb.6765:                             ;   in Loop: Header=BB6_6244 Depth=2
	v_and_b32_e32 v50, 0x7fffffff, v4
	v_cmp_gt_u64_e32 vcc, s[56:57], v[50:51]
	v_and_b32_sdwa v2, v4, s50 dst_sel:DWORD dst_unused:UNUSED_PAD src0_sel:BYTE_3 src1_sel:DWORD
                                        ; implicit-def: $vgpr1
	s_and_saveexec_b64 s[18:19], vcc
	s_xor_b64 s[78:79], exec, s[18:19]
	s_cbranch_execz .LBB6_6775
; %bb.6766:                             ;   in Loop: Header=BB6_6244 Depth=2
	v_mov_b32_e32 v1, 0
	v_cmp_ne_u32_e32 vcc, 0, v4
	s_and_saveexec_b64 s[88:89], vcc
	s_cbranch_execz .LBB6_6774
; %bb.6767:                             ;   in Loop: Header=BB6_6244 Depth=2
	v_bfe_u32 v1, v4, 23, 8
	v_and_b32_e32 v5, 0x7fffff, v4
	v_cmp_gt_u32_e64 s[18:19], s51, v1
	v_sub_u32_e32 v4, 0x79, v1
	v_cmp_eq_u32_e32 vcc, 0, v1
	v_cndmask_b32_e64 v4, 0, v4, s[18:19]
	v_mov_b32_e32 v9, 0x78
	v_or_b32_e32 v6, 0x800000, v5
	v_cndmask_b32_e32 v4, v4, v9, vcc
	v_cndmask_b32_e32 v50, v6, v5, vcc
	v_add_u32_e32 v5, 20, v4
	v_lshlrev_b64 v[5:6], v5, -1
	v_add_u32_e32 v9, 19, v4
	v_lshlrev_b64 v[9:10], v9, 1
	v_bfi_b32 v6, v6, 0, 0
	v_bfi_b32 v5, v5, 0, v50
	v_cmp_eq_u64_e64 s[18:19], v[5:6], v[9:10]
	v_lshrrev_b64 v[10:11], v4, v[50:51]
	v_mov_b32_e32 v15, v11
	v_mov_b32_e32 v14, v10
	s_and_saveexec_b64 s[90:91], s[18:19]
; %bb.6768:                             ;   in Loop: Header=BB6_6244 Depth=2
	v_bfe_u32 v5, v10, 20, 1
	v_add_co_u32_e64 v5, s[18:19], v10, v5
	v_add_co_u32_e64 v14, s[18:19], -1, v5
; %bb.6769:                             ;   in Loop: Header=BB6_6244 Depth=2
	s_or_b64 exec, exec, s[90:91]
	v_add_u32_e32 v1, 0xffffff81, v1
	v_mov_b32_e32 v5, 0xffffff82
	v_cndmask_b32_e32 v1, v1, v5, vcc
	v_lshrrev_b32_e32 v5, 23, v10
	v_add3_u32 v5, v4, v1, v5
	v_add_u32_e32 v4, 6, v5
	v_and_b32_e32 v1, 0xfffff, v14
	v_add_u32_e32 v50, v1, v10
	v_cmp_ne_u32_e32 vcc, 0, v4
                                        ; implicit-def: $vgpr10_vgpr11
                                        ; implicit-def: $vgpr1
	s_and_saveexec_b64 s[18:19], vcc
	s_xor_b64 s[18:19], exec, s[18:19]
; %bb.6770:                             ;   in Loop: Header=BB6_6244 Depth=2
	v_cmp_lt_u64_e32 vcc, s[58:59], v[50:51]
	v_add_u32_e32 v1, 7, v5
	v_cndmask_b32_e32 v1, v4, v1, vcc
	v_cndmask_b32_e64 v4, 0, 1, vcc
	v_lshrrev_b64 v[10:11], v4, v[50:51]
; %bb.6771:                             ;   in Loop: Header=BB6_6244 Depth=2
	s_andn2_saveexec_b64 s[18:19], s[18:19]
; %bb.6772:                             ;   in Loop: Header=BB6_6244 Depth=2
	v_mov_b32_e32 v10, v50
	v_bfe_u32 v1, v50, 23, 1
	v_mov_b32_e32 v11, v51
; %bb.6773:                             ;   in Loop: Header=BB6_6244 Depth=2
	s_or_b64 exec, exec, s[18:19]
	v_lshrrev_b64 v[4:5], 20, v[10:11]
	v_cmp_gt_i32_e32 vcc, 16, v1
	v_cndmask_b32_e32 v5, 0, v5, vcc
	v_cndmask_b32_e32 v4, 7, v4, vcc
	v_cmp_eq_u32_e32 vcc, 0, v1
	v_min_i32_e32 v1, 15, v1
	v_cmp_eq_u64_e64 s[18:19], 0, v[4:5]
	v_lshlrev_b32_e32 v1, 3, v1
	v_and_b32_e32 v1, 0xf8, v1
	v_and_or_b32 v1, v4, 7, v1
	s_and_b64 s[18:19], vcc, s[18:19]
	v_cndmask_b32_e64 v1, v1, 0, s[18:19]
	v_or_b32_e32 v1, v1, v2
.LBB6_6774:                             ;   in Loop: Header=BB6_6244 Depth=2
	s_or_b64 exec, exec, s[88:89]
                                        ; implicit-def: $vgpr2
.LBB6_6775:                             ;   in Loop: Header=BB6_6244 Depth=2
	s_andn2_saveexec_b64 s[18:19], s[78:79]
; %bb.6776:                             ;   in Loop: Header=BB6_6244 Depth=2
	v_or_b32_e32 v1, 0x7e, v2
; %bb.6777:                             ;   in Loop: Header=BB6_6244 Depth=2
	s_or_b64 exec, exec, s[18:19]
                                        ; implicit-def: $vgpr4
.LBB6_6778:                             ;   in Loop: Header=BB6_6244 Depth=2
	s_andn2_saveexec_b64 s[18:19], s[76:77]
; %bb.6779:                             ;   in Loop: Header=BB6_6244 Depth=2
	v_or_b32_sdwa v1, v4, s39 dst_sel:DWORD dst_unused:UNUSED_PAD src0_sel:BYTE_3 src1_sel:DWORD
; %bb.6780:                             ;   in Loop: Header=BB6_6244 Depth=2
	s_or_b64 exec, exec, s[18:19]
	v_cmp_ne_u16_sdwa s[76:77], v12, v51 src0_sel:BYTE_0 src1_sel:DWORD
	v_mov_b32_e32 v2, 0
	s_and_saveexec_b64 s[18:19], s[76:77]
	s_cbranch_execz .LBB6_6786
; %bb.6781:                             ;   in Loop: Header=BB6_6244 Depth=2
	v_cmp_ne_u16_sdwa s[78:79], v12, s50 src0_sel:BYTE_0 src1_sel:DWORD
	v_bfrev_b32_e32 v2, 1
	s_and_saveexec_b64 s[76:77], s[78:79]
	s_cbranch_execz .LBB6_6785
; %bb.6782:                             ;   in Loop: Header=BB6_6244 Depth=2
	v_and_b32_e32 v4, 0x7f, v12
	v_cmp_ne_u32_e32 vcc, s39, v4
	v_mov_b32_e32 v2, 0x7f800001
	s_and_saveexec_b64 s[78:79], vcc
	s_cbranch_execz .LBB6_6784
; %bb.6783:                             ;   in Loop: Header=BB6_6244 Depth=2
	v_and_b32_e32 v2, 7, v12
	v_ffbh_u32_e32 v2, v2
	v_min_u32_e32 v2, 32, v2
	v_lshrrev_b32_e32 v5, 3, v4
	v_cmp_gt_u32_e32 vcc, 8, v4
	v_subrev_u32_e32 v4, 28, v2
	v_sub_u32_e32 v2, 29, v2
	v_cndmask_b32_e32 v4, 0, v4, vcc
	v_cndmask_b32_e32 v2, v5, v2, vcc
	v_lshlrev_b64 v[4:5], v4, v[12:13]
	v_lshlrev_b32_e32 v5, 24, v12
	v_lshlrev_b32_e32 v4, 20, v4
	v_and_b32_e32 v4, 0x700000, v4
	v_and_b32_e32 v5, 0x80000000, v5
	v_lshl_add_u32 v2, v2, 23, v62
	v_or3_b32 v2, v5, v2, v4
.LBB6_6784:                             ;   in Loop: Header=BB6_6244 Depth=2
	s_or_b64 exec, exec, s[78:79]
.LBB6_6785:                             ;   in Loop: Header=BB6_6244 Depth=2
	s_or_b64 exec, exec, s[76:77]
.LBB6_6786:                             ;   in Loop: Header=BB6_6244 Depth=2
	s_or_b64 exec, exec, s[18:19]
	v_mul_f32_e32 v4, v17, v2
	v_and_b32_e32 v50, 0x7f800000, v4
	v_cmp_ne_u64_e32 vcc, s[46:47], v[50:51]
                                        ; implicit-def: $vgpr48
	s_and_saveexec_b64 s[18:19], vcc
	s_xor_b64 s[76:77], exec, s[18:19]
	s_cbranch_execz .LBB6_6800
; %bb.6787:                             ;   in Loop: Header=BB6_6244 Depth=2
	v_and_b32_e32 v50, 0x7fffffff, v4
	v_cmp_gt_u64_e32 vcc, s[56:57], v[50:51]
	v_and_b32_sdwa v2, v4, s50 dst_sel:DWORD dst_unused:UNUSED_PAD src0_sel:BYTE_3 src1_sel:DWORD
                                        ; implicit-def: $vgpr48
	s_and_saveexec_b64 s[18:19], vcc
	s_xor_b64 s[78:79], exec, s[18:19]
	s_cbranch_execz .LBB6_6797
; %bb.6788:                             ;   in Loop: Header=BB6_6244 Depth=2
	v_mov_b32_e32 v48, 0
	v_cmp_ne_u32_e32 vcc, 0, v4
	s_and_saveexec_b64 s[88:89], vcc
	s_cbranch_execz .LBB6_6796
; %bb.6789:                             ;   in Loop: Header=BB6_6244 Depth=2
	v_and_b32_e32 v6, 0x7fffff, v4
	v_bfe_u32 v4, v4, 23, 8
	v_cmp_gt_u32_e64 s[18:19], s51, v4
	v_sub_u32_e32 v5, 0x79, v4
	v_cmp_eq_u32_e32 vcc, 0, v4
	v_cndmask_b32_e64 v5, 0, v5, s[18:19]
	v_mov_b32_e32 v10, 0x78
	v_or_b32_e32 v9, 0x800000, v6
	v_cndmask_b32_e32 v5, v5, v10, vcc
	v_cndmask_b32_e32 v50, v9, v6, vcc
	v_add_u32_e32 v6, 20, v5
	v_lshlrev_b64 v[9:10], v6, -1
	v_add_u32_e32 v6, 19, v5
	v_lshlrev_b64 v[14:15], v6, 1
	v_bfi_b32 v10, v10, 0, 0
	v_bfi_b32 v9, v9, 0, v50
	v_cmp_eq_u64_e64 s[18:19], v[9:10], v[14:15]
	v_lshrrev_b64 v[10:11], v5, v[50:51]
	v_mov_b32_e32 v15, v11
	v_mov_b32_e32 v14, v10
	s_and_saveexec_b64 s[90:91], s[18:19]
; %bb.6790:                             ;   in Loop: Header=BB6_6244 Depth=2
	v_bfe_u32 v6, v10, 20, 1
	v_add_co_u32_e64 v6, s[18:19], v10, v6
	v_add_co_u32_e64 v14, s[18:19], -1, v6
; %bb.6791:                             ;   in Loop: Header=BB6_6244 Depth=2
	s_or_b64 exec, exec, s[90:91]
	v_add_u32_e32 v4, 0xffffff81, v4
	v_mov_b32_e32 v6, 0xffffff82
	v_cndmask_b32_e32 v4, v4, v6, vcc
	v_lshrrev_b32_e32 v6, 23, v10
	v_add3_u32 v6, v5, v4, v6
	v_add_u32_e32 v5, 6, v6
	v_and_b32_e32 v4, 0xfffff, v14
	v_add_u32_e32 v50, v4, v10
	v_cmp_ne_u32_e32 vcc, 0, v5
                                        ; implicit-def: $vgpr10_vgpr11
                                        ; implicit-def: $vgpr4
	s_and_saveexec_b64 s[18:19], vcc
	s_xor_b64 s[18:19], exec, s[18:19]
; %bb.6792:                             ;   in Loop: Header=BB6_6244 Depth=2
	v_cmp_lt_u64_e32 vcc, s[58:59], v[50:51]
	v_add_u32_e32 v4, 7, v6
	v_cndmask_b32_e32 v4, v5, v4, vcc
	v_cndmask_b32_e64 v5, 0, 1, vcc
	v_lshrrev_b64 v[10:11], v5, v[50:51]
; %bb.6793:                             ;   in Loop: Header=BB6_6244 Depth=2
	s_andn2_saveexec_b64 s[18:19], s[18:19]
; %bb.6794:                             ;   in Loop: Header=BB6_6244 Depth=2
	v_mov_b32_e32 v10, v50
	v_bfe_u32 v4, v50, 23, 1
	v_mov_b32_e32 v11, v51
; %bb.6795:                             ;   in Loop: Header=BB6_6244 Depth=2
	s_or_b64 exec, exec, s[18:19]
	v_lshrrev_b64 v[5:6], 20, v[10:11]
	v_cmp_gt_i32_e32 vcc, 16, v4
	v_cndmask_b32_e32 v6, 0, v6, vcc
	v_cndmask_b32_e32 v5, 7, v5, vcc
	v_cmp_eq_u32_e32 vcc, 0, v4
	v_min_i32_e32 v4, 15, v4
	v_cmp_eq_u64_e64 s[18:19], 0, v[5:6]
	v_lshlrev_b32_e32 v4, 3, v4
	v_and_b32_e32 v4, 0xf8, v4
	v_and_or_b32 v4, v5, 7, v4
	s_and_b64 s[18:19], vcc, s[18:19]
	v_cndmask_b32_e64 v4, v4, 0, s[18:19]
	v_or_b32_e32 v48, v4, v2
.LBB6_6796:                             ;   in Loop: Header=BB6_6244 Depth=2
	s_or_b64 exec, exec, s[88:89]
                                        ; implicit-def: $vgpr2
.LBB6_6797:                             ;   in Loop: Header=BB6_6244 Depth=2
	s_andn2_saveexec_b64 s[18:19], s[78:79]
; %bb.6798:                             ;   in Loop: Header=BB6_6244 Depth=2
	v_or_b32_e32 v48, 0x7e, v2
; %bb.6799:                             ;   in Loop: Header=BB6_6244 Depth=2
	s_or_b64 exec, exec, s[18:19]
                                        ; implicit-def: $vgpr4
.LBB6_6800:                             ;   in Loop: Header=BB6_6244 Depth=2
	s_andn2_saveexec_b64 s[18:19], s[76:77]
; %bb.6801:                             ;   in Loop: Header=BB6_6244 Depth=2
	v_or_b32_sdwa v48, v4, s39 dst_sel:DWORD dst_unused:UNUSED_PAD src0_sel:BYTE_3 src1_sel:DWORD
; %bb.6802:                             ;   in Loop: Header=BB6_6244 Depth=2
	s_or_b64 exec, exec, s[18:19]
	v_lshrrev_b16_e32 v10, 8, v12
	v_cmp_ne_u16_e32 vcc, 0, v10
	v_mov_b32_e32 v2, 0
	s_and_saveexec_b64 s[18:19], vcc
	s_cbranch_execz .LBB6_6808
; %bb.6803:                             ;   in Loop: Header=BB6_6244 Depth=2
	v_cmp_ne_u16_e32 vcc, s50, v10
	v_bfrev_b32_e32 v2, 1
	s_and_saveexec_b64 s[76:77], vcc
	s_cbranch_execz .LBB6_6807
; %bb.6804:                             ;   in Loop: Header=BB6_6244 Depth=2
	v_and_b32_e32 v4, 0x7f, v10
	v_cmp_ne_u32_e32 vcc, s39, v4
	v_mov_b32_e32 v2, 0x7f800001
	s_and_saveexec_b64 s[78:79], vcc
	s_cbranch_execz .LBB6_6806
; %bb.6805:                             ;   in Loop: Header=BB6_6244 Depth=2
	v_and_b32_e32 v2, 7, v10
	v_lshrrev_b32_e32 v6, 3, v4
	v_cmp_gt_u32_e32 vcc, 8, v4
	v_ffbh_u32_e32 v4, v2
	v_min_u32_e32 v9, 32, v4
	v_subrev_u32_e32 v4, 28, v9
	v_lshlrev_b64 v[4:5], v4, v[10:11]
	v_sub_u32_e32 v5, 29, v9
	v_and_b32_e32 v4, 7, v4
	v_cndmask_b32_e32 v5, v6, v5, vcc
	v_cndmask_b32_e32 v2, v2, v4, vcc
	v_lshlrev_b32_e32 v4, 16, v12
	v_lshlrev_b32_e32 v2, 20, v2
	v_and_b32_e32 v4, 0x80000000, v4
	v_lshl_add_u32 v5, v5, 23, v62
	v_or3_b32 v2, v4, v5, v2
.LBB6_6806:                             ;   in Loop: Header=BB6_6244 Depth=2
	s_or_b64 exec, exec, s[78:79]
.LBB6_6807:                             ;   in Loop: Header=BB6_6244 Depth=2
	s_or_b64 exec, exec, s[76:77]
.LBB6_6808:                             ;   in Loop: Header=BB6_6244 Depth=2
	s_or_b64 exec, exec, s[18:19]
	v_mul_f32_e32 v4, v17, v2
	v_and_b32_e32 v50, 0x7f800000, v4
	v_cmp_ne_u64_e32 vcc, s[46:47], v[50:51]
                                        ; implicit-def: $vgpr2
                                        ; kill: killed $vgpr2
	s_and_saveexec_b64 s[18:19], vcc
	s_xor_b64 s[76:77], exec, s[18:19]
	s_cbranch_execz .LBB6_6822
; %bb.6809:                             ;   in Loop: Header=BB6_6244 Depth=2
	v_and_b32_e32 v50, 0x7fffffff, v4
	v_cmp_gt_u64_e32 vcc, s[56:57], v[50:51]
	v_and_b32_sdwa v2, v4, s50 dst_sel:DWORD dst_unused:UNUSED_PAD src0_sel:BYTE_3 src1_sel:DWORD
                                        ; implicit-def: $vgpr5
                                        ; kill: killed $vgpr5
	s_and_saveexec_b64 s[18:19], vcc
	s_xor_b64 s[78:79], exec, s[18:19]
	s_cbranch_execz .LBB6_6819
; %bb.6810:                             ;   in Loop: Header=BB6_6244 Depth=2
	v_mov_b32_e32 v5, 0
	v_cmp_ne_u32_e32 vcc, 0, v4
	buffer_store_dword v5, off, s[0:3], s33 offset:240 ; 4-byte Folded Spill
	s_and_saveexec_b64 s[88:89], vcc
	s_cbranch_execz .LBB6_6818
; %bb.6811:                             ;   in Loop: Header=BB6_6244 Depth=2
	v_and_b32_e32 v6, 0x7fffff, v4
	v_bfe_u32 v4, v4, 23, 8
	v_cmp_gt_u32_e64 s[18:19], s51, v4
	v_sub_u32_e32 v5, 0x79, v4
	v_cmp_eq_u32_e32 vcc, 0, v4
	v_cndmask_b32_e64 v5, 0, v5, s[18:19]
	v_mov_b32_e32 v10, 0x78
	v_or_b32_e32 v9, 0x800000, v6
	v_cndmask_b32_e32 v5, v5, v10, vcc
	v_cndmask_b32_e32 v50, v9, v6, vcc
	v_add_u32_e32 v6, 20, v5
	v_lshlrev_b64 v[9:10], v6, -1
	v_add_u32_e32 v6, 19, v5
	v_lshlrev_b64 v[14:15], v6, 1
	v_bfi_b32 v10, v10, 0, 0
	v_bfi_b32 v9, v9, 0, v50
	v_cmp_eq_u64_e64 s[18:19], v[9:10], v[14:15]
	v_lshrrev_b64 v[10:11], v5, v[50:51]
	v_mov_b32_e32 v15, v11
	v_mov_b32_e32 v14, v10
	s_and_saveexec_b64 s[90:91], s[18:19]
; %bb.6812:                             ;   in Loop: Header=BB6_6244 Depth=2
	v_bfe_u32 v6, v10, 20, 1
	v_add_co_u32_e64 v6, s[18:19], v10, v6
	v_add_co_u32_e64 v14, s[18:19], -1, v6
; %bb.6813:                             ;   in Loop: Header=BB6_6244 Depth=2
	s_or_b64 exec, exec, s[90:91]
	v_add_u32_e32 v4, 0xffffff81, v4
	v_mov_b32_e32 v6, 0xffffff82
	v_cndmask_b32_e32 v4, v4, v6, vcc
	v_lshrrev_b32_e32 v6, 23, v10
	v_add3_u32 v6, v5, v4, v6
	v_add_u32_e32 v5, 6, v6
	v_and_b32_e32 v4, 0xfffff, v14
	v_add_u32_e32 v50, v4, v10
	v_cmp_ne_u32_e32 vcc, 0, v5
                                        ; implicit-def: $vgpr10_vgpr11
                                        ; implicit-def: $vgpr4
	s_and_saveexec_b64 s[18:19], vcc
	s_xor_b64 s[18:19], exec, s[18:19]
; %bb.6814:                             ;   in Loop: Header=BB6_6244 Depth=2
	v_cmp_lt_u64_e32 vcc, s[58:59], v[50:51]
	v_add_u32_e32 v4, 7, v6
	v_cndmask_b32_e32 v4, v5, v4, vcc
	v_cndmask_b32_e64 v5, 0, 1, vcc
	v_lshrrev_b64 v[10:11], v5, v[50:51]
; %bb.6815:                             ;   in Loop: Header=BB6_6244 Depth=2
	s_andn2_saveexec_b64 s[18:19], s[18:19]
; %bb.6816:                             ;   in Loop: Header=BB6_6244 Depth=2
	v_mov_b32_e32 v10, v50
	v_bfe_u32 v4, v50, 23, 1
	v_mov_b32_e32 v11, v51
; %bb.6817:                             ;   in Loop: Header=BB6_6244 Depth=2
	s_or_b64 exec, exec, s[18:19]
	v_lshrrev_b64 v[5:6], 20, v[10:11]
	v_cmp_gt_i32_e32 vcc, 16, v4
	v_cndmask_b32_e32 v6, 0, v6, vcc
	v_cndmask_b32_e32 v5, 7, v5, vcc
	v_cmp_eq_u32_e32 vcc, 0, v4
	v_min_i32_e32 v4, 15, v4
	v_cmp_eq_u64_e64 s[18:19], 0, v[5:6]
	v_lshlrev_b32_e32 v4, 3, v4
	v_and_b32_e32 v4, 0xf8, v4
	v_and_or_b32 v4, v5, 7, v4
	s_and_b64 s[18:19], vcc, s[18:19]
	v_cndmask_b32_e64 v4, v4, 0, s[18:19]
	v_or_b32_e32 v2, v4, v2
	buffer_store_dword v2, off, s[0:3], s33 offset:240 ; 4-byte Folded Spill
.LBB6_6818:                             ;   in Loop: Header=BB6_6244 Depth=2
	s_or_b64 exec, exec, s[88:89]
                                        ; implicit-def: $vgpr2
.LBB6_6819:                             ;   in Loop: Header=BB6_6244 Depth=2
	s_andn2_saveexec_b64 s[18:19], s[78:79]
	s_cbranch_execz .LBB6_6821
; %bb.6820:                             ;   in Loop: Header=BB6_6244 Depth=2
	v_or_b32_e32 v2, 0x7e, v2
	buffer_store_dword v2, off, s[0:3], s33 offset:240 ; 4-byte Folded Spill
.LBB6_6821:                             ;   in Loop: Header=BB6_6244 Depth=2
	s_or_b64 exec, exec, s[18:19]
                                        ; implicit-def: $vgpr4
.LBB6_6822:                             ;   in Loop: Header=BB6_6244 Depth=2
	s_andn2_saveexec_b64 s[18:19], s[76:77]
	s_cbranch_execz .LBB6_6824
; %bb.6823:                             ;   in Loop: Header=BB6_6244 Depth=2
	v_or_b32_sdwa v2, v4, s39 dst_sel:DWORD dst_unused:UNUSED_PAD src0_sel:BYTE_3 src1_sel:DWORD
	buffer_store_dword v2, off, s[0:3], s33 offset:240 ; 4-byte Folded Spill
.LBB6_6824:                             ;   in Loop: Header=BB6_6244 Depth=2
	s_or_b64 exec, exec, s[18:19]
	v_lshrrev_b32_e32 v10, 16, v12
	v_cmp_ne_u16_sdwa s[76:77], v10, v51 src0_sel:BYTE_0 src1_sel:DWORD
	v_mov_b32_e32 v2, 0
	s_and_saveexec_b64 s[18:19], s[76:77]
	s_cbranch_execz .LBB6_6830
; %bb.6825:                             ;   in Loop: Header=BB6_6244 Depth=2
	v_cmp_ne_u16_sdwa s[78:79], v10, s50 src0_sel:BYTE_0 src1_sel:DWORD
	v_bfrev_b32_e32 v2, 1
	s_and_saveexec_b64 s[76:77], s[78:79]
	s_cbranch_execz .LBB6_6829
; %bb.6826:                             ;   in Loop: Header=BB6_6244 Depth=2
	v_bfe_u32 v4, v12, 16, 7
	v_cmp_ne_u32_e32 vcc, s39, v4
	v_mov_b32_e32 v2, 0x7f800001
	s_and_saveexec_b64 s[78:79], vcc
	s_cbranch_execz .LBB6_6828
; %bb.6827:                             ;   in Loop: Header=BB6_6244 Depth=2
	v_and_b32_e32 v2, 7, v10
	v_lshrrev_b32_e32 v6, 3, v4
	v_cmp_gt_u32_e32 vcc, 8, v4
	v_ffbh_u32_e32 v4, v2
	v_min_u32_e32 v9, 32, v4
	v_subrev_u32_e32 v4, 28, v9
	v_lshlrev_b64 v[4:5], v4, v[10:11]
	v_sub_u32_e32 v5, 29, v9
	v_and_b32_e32 v4, 7, v4
	v_cndmask_b32_e32 v5, v6, v5, vcc
	v_cndmask_b32_e32 v2, v2, v4, vcc
	v_lshlrev_b32_e32 v4, 24, v10
	v_lshlrev_b32_e32 v2, 20, v2
	v_and_b32_e32 v4, 0x80000000, v4
	v_lshl_add_u32 v5, v5, 23, v62
	v_or3_b32 v2, v4, v5, v2
.LBB6_6828:                             ;   in Loop: Header=BB6_6244 Depth=2
	s_or_b64 exec, exec, s[78:79]
.LBB6_6829:                             ;   in Loop: Header=BB6_6244 Depth=2
	s_or_b64 exec, exec, s[76:77]
.LBB6_6830:                             ;   in Loop: Header=BB6_6244 Depth=2
	s_or_b64 exec, exec, s[18:19]
	v_mul_f32_e32 v4, v17, v2
	v_and_b32_e32 v50, 0x7f800000, v4
	v_cmp_ne_u64_e32 vcc, s[46:47], v[50:51]
                                        ; implicit-def: $vgpr2
                                        ; kill: killed $vgpr2
	s_and_saveexec_b64 s[18:19], vcc
	s_xor_b64 s[76:77], exec, s[18:19]
	s_cbranch_execz .LBB6_6844
; %bb.6831:                             ;   in Loop: Header=BB6_6244 Depth=2
	v_and_b32_e32 v50, 0x7fffffff, v4
	v_cmp_gt_u64_e32 vcc, s[56:57], v[50:51]
	v_and_b32_sdwa v2, v4, s50 dst_sel:DWORD dst_unused:UNUSED_PAD src0_sel:BYTE_3 src1_sel:DWORD
                                        ; implicit-def: $vgpr5
                                        ; kill: killed $vgpr5
	s_and_saveexec_b64 s[18:19], vcc
	s_xor_b64 s[78:79], exec, s[18:19]
	s_cbranch_execz .LBB6_6841
; %bb.6832:                             ;   in Loop: Header=BB6_6244 Depth=2
	v_mov_b32_e32 v5, 0
	v_cmp_ne_u32_e32 vcc, 0, v4
	buffer_store_dword v5, off, s[0:3], s33 offset:260 ; 4-byte Folded Spill
	s_and_saveexec_b64 s[88:89], vcc
	s_cbranch_execz .LBB6_6840
; %bb.6833:                             ;   in Loop: Header=BB6_6244 Depth=2
	v_and_b32_e32 v6, 0x7fffff, v4
	v_bfe_u32 v4, v4, 23, 8
	v_cmp_gt_u32_e64 s[18:19], s51, v4
	v_sub_u32_e32 v5, 0x79, v4
	v_cmp_eq_u32_e32 vcc, 0, v4
	v_cndmask_b32_e64 v5, 0, v5, s[18:19]
	v_mov_b32_e32 v10, 0x78
	v_or_b32_e32 v9, 0x800000, v6
	v_cndmask_b32_e32 v5, v5, v10, vcc
	v_cndmask_b32_e32 v50, v9, v6, vcc
	v_add_u32_e32 v6, 20, v5
	v_lshlrev_b64 v[9:10], v6, -1
	v_add_u32_e32 v6, 19, v5
	v_lshlrev_b64 v[14:15], v6, 1
	v_bfi_b32 v10, v10, 0, 0
	v_bfi_b32 v9, v9, 0, v50
	v_cmp_eq_u64_e64 s[18:19], v[9:10], v[14:15]
	v_lshrrev_b64 v[10:11], v5, v[50:51]
	v_mov_b32_e32 v15, v11
	v_mov_b32_e32 v14, v10
	s_and_saveexec_b64 s[90:91], s[18:19]
; %bb.6834:                             ;   in Loop: Header=BB6_6244 Depth=2
	v_bfe_u32 v6, v10, 20, 1
	v_add_co_u32_e64 v6, s[18:19], v10, v6
	v_add_co_u32_e64 v14, s[18:19], -1, v6
; %bb.6835:                             ;   in Loop: Header=BB6_6244 Depth=2
	s_or_b64 exec, exec, s[90:91]
	v_add_u32_e32 v4, 0xffffff81, v4
	v_mov_b32_e32 v6, 0xffffff82
	v_cndmask_b32_e32 v4, v4, v6, vcc
	v_lshrrev_b32_e32 v6, 23, v10
	v_add3_u32 v6, v5, v4, v6
	v_add_u32_e32 v5, 6, v6
	v_and_b32_e32 v4, 0xfffff, v14
	v_add_u32_e32 v50, v4, v10
	v_cmp_ne_u32_e32 vcc, 0, v5
                                        ; implicit-def: $vgpr10_vgpr11
                                        ; implicit-def: $vgpr4
	s_and_saveexec_b64 s[18:19], vcc
	s_xor_b64 s[18:19], exec, s[18:19]
; %bb.6836:                             ;   in Loop: Header=BB6_6244 Depth=2
	v_cmp_lt_u64_e32 vcc, s[58:59], v[50:51]
	v_add_u32_e32 v4, 7, v6
	v_cndmask_b32_e32 v4, v5, v4, vcc
	v_cndmask_b32_e64 v5, 0, 1, vcc
	v_lshrrev_b64 v[10:11], v5, v[50:51]
; %bb.6837:                             ;   in Loop: Header=BB6_6244 Depth=2
	s_andn2_saveexec_b64 s[18:19], s[18:19]
; %bb.6838:                             ;   in Loop: Header=BB6_6244 Depth=2
	v_mov_b32_e32 v10, v50
	v_bfe_u32 v4, v50, 23, 1
	v_mov_b32_e32 v11, v51
; %bb.6839:                             ;   in Loop: Header=BB6_6244 Depth=2
	s_or_b64 exec, exec, s[18:19]
	v_lshrrev_b64 v[5:6], 20, v[10:11]
	v_cmp_gt_i32_e32 vcc, 16, v4
	v_cndmask_b32_e32 v6, 0, v6, vcc
	v_cndmask_b32_e32 v5, 7, v5, vcc
	v_cmp_eq_u32_e32 vcc, 0, v4
	v_min_i32_e32 v4, 15, v4
	v_cmp_eq_u64_e64 s[18:19], 0, v[5:6]
	v_lshlrev_b32_e32 v4, 3, v4
	v_and_b32_e32 v4, 0xf8, v4
	v_and_or_b32 v4, v5, 7, v4
	s_and_b64 s[18:19], vcc, s[18:19]
	v_cndmask_b32_e64 v4, v4, 0, s[18:19]
	v_or_b32_e32 v2, v4, v2
	buffer_store_dword v2, off, s[0:3], s33 offset:260 ; 4-byte Folded Spill
.LBB6_6840:                             ;   in Loop: Header=BB6_6244 Depth=2
	s_or_b64 exec, exec, s[88:89]
                                        ; implicit-def: $vgpr2
.LBB6_6841:                             ;   in Loop: Header=BB6_6244 Depth=2
	s_andn2_saveexec_b64 s[18:19], s[78:79]
	s_cbranch_execz .LBB6_6843
; %bb.6842:                             ;   in Loop: Header=BB6_6244 Depth=2
	v_or_b32_e32 v2, 0x7e, v2
	buffer_store_dword v2, off, s[0:3], s33 offset:260 ; 4-byte Folded Spill
.LBB6_6843:                             ;   in Loop: Header=BB6_6244 Depth=2
	s_or_b64 exec, exec, s[18:19]
                                        ; implicit-def: $vgpr4
.LBB6_6844:                             ;   in Loop: Header=BB6_6244 Depth=2
	s_andn2_saveexec_b64 s[18:19], s[76:77]
	s_cbranch_execz .LBB6_6846
; %bb.6845:                             ;   in Loop: Header=BB6_6244 Depth=2
	v_or_b32_sdwa v2, v4, s39 dst_sel:DWORD dst_unused:UNUSED_PAD src0_sel:BYTE_3 src1_sel:DWORD
	buffer_store_dword v2, off, s[0:3], s33 offset:260 ; 4-byte Folded Spill
.LBB6_6846:                             ;   in Loop: Header=BB6_6244 Depth=2
	s_or_b64 exec, exec, s[18:19]
	v_cmp_lt_u32_e32 vcc, s61, v12
	v_mov_b32_e32 v2, 0
	s_and_saveexec_b64 s[18:19], vcc
	s_cbranch_execz .LBB6_6852
; %bb.6847:                             ;   in Loop: Header=BB6_6244 Depth=2
	v_lshrrev_b32_e32 v10, 24, v12
	v_cmp_ne_u32_e32 vcc, s50, v10
	v_bfrev_b32_e32 v2, 1
	s_and_saveexec_b64 s[76:77], vcc
	s_cbranch_execz .LBB6_6851
; %bb.6848:                             ;   in Loop: Header=BB6_6244 Depth=2
	v_bfe_u32 v4, v12, 24, 7
	v_cmp_ne_u32_e32 vcc, s39, v4
	v_mov_b32_e32 v2, 0x7f800001
	s_and_saveexec_b64 s[78:79], vcc
	s_cbranch_execz .LBB6_6850
; %bb.6849:                             ;   in Loop: Header=BB6_6244 Depth=2
	v_and_b32_e32 v2, 7, v10
	v_lshrrev_b32_e32 v6, 3, v4
	v_cmp_gt_u32_e32 vcc, 8, v4
	v_ffbh_u32_e32 v4, v2
	v_min_u32_e32 v9, 32, v4
	v_subrev_u32_e32 v4, 28, v9
	v_lshlrev_b64 v[4:5], v4, v[10:11]
	v_sub_u32_e32 v5, 29, v9
	v_and_b32_e32 v4, 7, v4
	v_cndmask_b32_e32 v5, v6, v5, vcc
	v_cndmask_b32_e32 v2, v2, v4, vcc
	v_lshlrev_b32_e32 v4, 24, v10
	v_lshlrev_b32_e32 v2, 20, v2
	v_and_b32_e32 v4, 0x80000000, v4
	v_lshl_add_u32 v5, v5, 23, v62
	v_or3_b32 v2, v4, v5, v2
.LBB6_6850:                             ;   in Loop: Header=BB6_6244 Depth=2
	s_or_b64 exec, exec, s[78:79]
.LBB6_6851:                             ;   in Loop: Header=BB6_6244 Depth=2
	s_or_b64 exec, exec, s[76:77]
.LBB6_6852:                             ;   in Loop: Header=BB6_6244 Depth=2
	s_or_b64 exec, exec, s[18:19]
	v_mul_f32_e32 v4, v17, v2
	v_and_b32_e32 v50, 0x7f800000, v4
	v_cmp_ne_u64_e32 vcc, s[46:47], v[50:51]
                                        ; implicit-def: $vgpr2
                                        ; kill: killed $vgpr2
	s_and_saveexec_b64 s[18:19], vcc
	s_xor_b64 s[76:77], exec, s[18:19]
	s_cbranch_execz .LBB6_6866
; %bb.6853:                             ;   in Loop: Header=BB6_6244 Depth=2
	v_and_b32_e32 v50, 0x7fffffff, v4
	v_cmp_gt_u64_e32 vcc, s[56:57], v[50:51]
	v_and_b32_sdwa v2, v4, s50 dst_sel:DWORD dst_unused:UNUSED_PAD src0_sel:BYTE_3 src1_sel:DWORD
                                        ; implicit-def: $vgpr5
                                        ; kill: killed $vgpr5
	s_and_saveexec_b64 s[18:19], vcc
	s_xor_b64 s[78:79], exec, s[18:19]
	s_cbranch_execz .LBB6_6863
; %bb.6854:                             ;   in Loop: Header=BB6_6244 Depth=2
	v_mov_b32_e32 v5, 0
	v_cmp_ne_u32_e32 vcc, 0, v4
	buffer_store_dword v5, off, s[0:3], s33 offset:276 ; 4-byte Folded Spill
	s_and_saveexec_b64 s[88:89], vcc
	s_cbranch_execz .LBB6_6862
; %bb.6855:                             ;   in Loop: Header=BB6_6244 Depth=2
	v_and_b32_e32 v6, 0x7fffff, v4
	v_bfe_u32 v4, v4, 23, 8
	v_cmp_gt_u32_e64 s[18:19], s51, v4
	v_sub_u32_e32 v5, 0x79, v4
	v_cmp_eq_u32_e32 vcc, 0, v4
	v_cndmask_b32_e64 v5, 0, v5, s[18:19]
	v_mov_b32_e32 v10, 0x78
	v_or_b32_e32 v9, 0x800000, v6
	v_cndmask_b32_e32 v5, v5, v10, vcc
	v_cndmask_b32_e32 v50, v9, v6, vcc
	v_add_u32_e32 v6, 20, v5
	v_lshlrev_b64 v[9:10], v6, -1
	v_add_u32_e32 v6, 19, v5
	v_lshlrev_b64 v[14:15], v6, 1
	v_bfi_b32 v10, v10, 0, 0
	v_bfi_b32 v9, v9, 0, v50
	v_cmp_eq_u64_e64 s[18:19], v[9:10], v[14:15]
	v_lshrrev_b64 v[10:11], v5, v[50:51]
	v_mov_b32_e32 v15, v11
	v_mov_b32_e32 v14, v10
	s_and_saveexec_b64 s[90:91], s[18:19]
; %bb.6856:                             ;   in Loop: Header=BB6_6244 Depth=2
	v_bfe_u32 v6, v10, 20, 1
	v_add_co_u32_e64 v6, s[18:19], v10, v6
	v_add_co_u32_e64 v14, s[18:19], -1, v6
; %bb.6857:                             ;   in Loop: Header=BB6_6244 Depth=2
	s_or_b64 exec, exec, s[90:91]
	v_add_u32_e32 v4, 0xffffff81, v4
	v_mov_b32_e32 v6, 0xffffff82
	v_cndmask_b32_e32 v4, v4, v6, vcc
	v_lshrrev_b32_e32 v6, 23, v10
	v_add3_u32 v6, v5, v4, v6
	v_add_u32_e32 v5, 6, v6
	v_and_b32_e32 v4, 0xfffff, v14
	v_add_u32_e32 v50, v4, v10
	v_cmp_ne_u32_e32 vcc, 0, v5
                                        ; implicit-def: $vgpr10_vgpr11
                                        ; implicit-def: $vgpr4
	s_and_saveexec_b64 s[18:19], vcc
	s_xor_b64 s[18:19], exec, s[18:19]
; %bb.6858:                             ;   in Loop: Header=BB6_6244 Depth=2
	v_cmp_lt_u64_e32 vcc, s[58:59], v[50:51]
	v_add_u32_e32 v4, 7, v6
	v_cndmask_b32_e32 v4, v5, v4, vcc
	v_cndmask_b32_e64 v5, 0, 1, vcc
	v_lshrrev_b64 v[10:11], v5, v[50:51]
; %bb.6859:                             ;   in Loop: Header=BB6_6244 Depth=2
	s_andn2_saveexec_b64 s[18:19], s[18:19]
; %bb.6860:                             ;   in Loop: Header=BB6_6244 Depth=2
	v_mov_b32_e32 v10, v50
	v_bfe_u32 v4, v50, 23, 1
	v_mov_b32_e32 v11, v51
; %bb.6861:                             ;   in Loop: Header=BB6_6244 Depth=2
	s_or_b64 exec, exec, s[18:19]
	v_lshrrev_b64 v[5:6], 20, v[10:11]
	v_cmp_gt_i32_e32 vcc, 16, v4
	v_cndmask_b32_e32 v6, 0, v6, vcc
	v_cndmask_b32_e32 v5, 7, v5, vcc
	v_cmp_eq_u32_e32 vcc, 0, v4
	v_min_i32_e32 v4, 15, v4
	v_cmp_eq_u64_e64 s[18:19], 0, v[5:6]
	v_lshlrev_b32_e32 v4, 3, v4
	v_and_b32_e32 v4, 0xf8, v4
	v_and_or_b32 v4, v5, 7, v4
	s_and_b64 s[18:19], vcc, s[18:19]
	v_cndmask_b32_e64 v4, v4, 0, s[18:19]
	v_or_b32_e32 v2, v4, v2
	buffer_store_dword v2, off, s[0:3], s33 offset:276 ; 4-byte Folded Spill
.LBB6_6862:                             ;   in Loop: Header=BB6_6244 Depth=2
	s_or_b64 exec, exec, s[88:89]
                                        ; implicit-def: $vgpr2
.LBB6_6863:                             ;   in Loop: Header=BB6_6244 Depth=2
	s_andn2_saveexec_b64 s[18:19], s[78:79]
	s_cbranch_execz .LBB6_6865
; %bb.6864:                             ;   in Loop: Header=BB6_6244 Depth=2
	v_or_b32_e32 v2, 0x7e, v2
	buffer_store_dword v2, off, s[0:3], s33 offset:276 ; 4-byte Folded Spill
.LBB6_6865:                             ;   in Loop: Header=BB6_6244 Depth=2
	s_or_b64 exec, exec, s[18:19]
                                        ; implicit-def: $vgpr4
.LBB6_6866:                             ;   in Loop: Header=BB6_6244 Depth=2
	s_andn2_saveexec_b64 s[18:19], s[76:77]
	s_cbranch_execz .LBB6_6868
; %bb.6867:                             ;   in Loop: Header=BB6_6244 Depth=2
	v_or_b32_sdwa v2, v4, s39 dst_sel:DWORD dst_unused:UNUSED_PAD src0_sel:BYTE_3 src1_sel:DWORD
	buffer_store_dword v2, off, s[0:3], s33 offset:276 ; 4-byte Folded Spill
.LBB6_6868:                             ;   in Loop: Header=BB6_6244 Depth=2
	s_or_b64 exec, exec, s[18:19]
	v_mov_b32_e32 v50, v13
	v_cmp_ne_u16_sdwa s[76:77], v13, v51 src0_sel:BYTE_0 src1_sel:DWORD
	v_mov_b32_e32 v2, 0
	s_and_saveexec_b64 s[18:19], s[76:77]
	s_cbranch_execz .LBB6_6874
; %bb.6869:                             ;   in Loop: Header=BB6_6244 Depth=2
	v_cmp_ne_u16_sdwa s[78:79], v13, s50 src0_sel:BYTE_0 src1_sel:DWORD
	v_bfrev_b32_e32 v2, 1
	s_and_saveexec_b64 s[76:77], s[78:79]
	s_cbranch_execz .LBB6_6873
; %bb.6870:                             ;   in Loop: Header=BB6_6244 Depth=2
	v_and_b32_e32 v4, 0x7f, v13
	v_cmp_ne_u32_e32 vcc, s39, v4
	v_mov_b32_e32 v2, 0x7f800001
	s_and_saveexec_b64 s[78:79], vcc
	s_cbranch_execz .LBB6_6872
; %bb.6871:                             ;   in Loop: Header=BB6_6244 Depth=2
	v_and_b32_e32 v2, 7, v13
	v_ffbh_u32_e32 v2, v2
	v_min_u32_e32 v2, 32, v2
	v_lshrrev_b32_e32 v5, 3, v4
	v_cmp_gt_u32_e32 vcc, 8, v4
	v_subrev_u32_e32 v4, 28, v2
	v_sub_u32_e32 v2, 29, v2
	v_cndmask_b32_e32 v4, 0, v4, vcc
	v_cndmask_b32_e32 v2, v5, v2, vcc
	v_lshlrev_b64 v[4:5], v4, v[50:51]
	v_lshlrev_b32_e32 v5, 24, v50
	v_lshlrev_b32_e32 v4, 20, v4
	v_and_b32_e32 v4, 0x700000, v4
	v_and_b32_e32 v5, 0x80000000, v5
	v_lshl_add_u32 v2, v2, 23, v62
	v_or3_b32 v2, v5, v2, v4
.LBB6_6872:                             ;   in Loop: Header=BB6_6244 Depth=2
	s_or_b64 exec, exec, s[78:79]
.LBB6_6873:                             ;   in Loop: Header=BB6_6244 Depth=2
	s_or_b64 exec, exec, s[76:77]
.LBB6_6874:                             ;   in Loop: Header=BB6_6244 Depth=2
	s_or_b64 exec, exec, s[18:19]
	v_mul_f32_e32 v4, v17, v2
	v_and_b32_e32 v5, 0x7f800000, v4
	v_mov_b32_e32 v6, v51
	v_cmp_ne_u64_e32 vcc, s[46:47], v[5:6]
                                        ; implicit-def: $vgpr35
	s_and_saveexec_b64 s[18:19], vcc
	s_xor_b64 s[76:77], exec, s[18:19]
	s_cbranch_execz .LBB6_6888
; %bb.6875:                             ;   in Loop: Header=BB6_6244 Depth=2
	v_and_b32_e32 v5, 0x7fffffff, v4
	v_mov_b32_e32 v6, v51
	v_cmp_gt_u64_e32 vcc, s[56:57], v[5:6]
	v_and_b32_sdwa v2, v4, s50 dst_sel:DWORD dst_unused:UNUSED_PAD src0_sel:BYTE_3 src1_sel:DWORD
                                        ; implicit-def: $vgpr35
	s_and_saveexec_b64 s[18:19], vcc
	s_xor_b64 s[78:79], exec, s[18:19]
	s_cbranch_execz .LBB6_6885
; %bb.6876:                             ;   in Loop: Header=BB6_6244 Depth=2
	v_mov_b32_e32 v35, 0
	v_cmp_ne_u32_e32 vcc, 0, v4
	s_and_saveexec_b64 s[88:89], vcc
	s_cbranch_execz .LBB6_6884
; %bb.6877:                             ;   in Loop: Header=BB6_6244 Depth=2
	v_and_b32_e32 v6, 0x7fffff, v4
	v_bfe_u32 v4, v4, 23, 8
	v_cmp_gt_u32_e64 s[18:19], s51, v4
	v_sub_u32_e32 v5, 0x79, v4
	v_cmp_eq_u32_e32 vcc, 0, v4
	v_cndmask_b32_e64 v5, 0, v5, s[18:19]
	v_mov_b32_e32 v10, 0x78
	v_or_b32_e32 v9, 0x800000, v6
	v_cndmask_b32_e32 v5, v5, v10, vcc
	v_cndmask_b32_e32 v9, v9, v6, vcc
	v_add_u32_e32 v6, 20, v5
	v_mov_b32_e32 v10, v51
	v_lshlrev_b64 v[14:15], v6, -1
	v_add_u32_e32 v6, 19, v5
	v_lshlrev_b64 v[18:19], v6, 1
	v_lshrrev_b64 v[10:11], v5, v[9:10]
	v_bfi_b32 v15, v15, 0, 0
	v_bfi_b32 v14, v14, 0, v9
	v_cmp_eq_u64_e64 s[18:19], v[14:15], v[18:19]
	v_mov_b32_e32 v15, v11
	v_mov_b32_e32 v14, v10
	s_and_saveexec_b64 s[90:91], s[18:19]
; %bb.6878:                             ;   in Loop: Header=BB6_6244 Depth=2
	v_bfe_u32 v6, v10, 20, 1
	v_add_co_u32_e64 v6, s[18:19], v10, v6
	v_add_co_u32_e64 v14, s[18:19], -1, v6
; %bb.6879:                             ;   in Loop: Header=BB6_6244 Depth=2
	s_or_b64 exec, exec, s[90:91]
	v_add_u32_e32 v4, 0xffffff81, v4
	v_mov_b32_e32 v6, 0xffffff82
	v_cndmask_b32_e32 v4, v4, v6, vcc
	v_lshrrev_b32_e32 v6, 23, v10
	v_add3_u32 v6, v5, v4, v6
	v_add_u32_e32 v5, 6, v6
	v_and_b32_e32 v4, 0xfffff, v14
	v_add_u32_e32 v10, v4, v10
	v_mov_b32_e32 v11, v51
	v_cmp_ne_u32_e32 vcc, 0, v5
                                        ; implicit-def: $vgpr4
	s_and_saveexec_b64 s[18:19], vcc
	s_xor_b64 s[18:19], exec, s[18:19]
; %bb.6880:                             ;   in Loop: Header=BB6_6244 Depth=2
	v_cmp_lt_u64_e32 vcc, s[58:59], v[10:11]
	v_add_u32_e32 v4, 7, v6
	v_cndmask_b32_e32 v4, v5, v4, vcc
	v_cndmask_b32_e64 v5, 0, 1, vcc
	v_lshrrev_b64 v[10:11], v5, v[10:11]
; %bb.6881:                             ;   in Loop: Header=BB6_6244 Depth=2
	s_andn2_saveexec_b64 s[18:19], s[18:19]
; %bb.6882:                             ;   in Loop: Header=BB6_6244 Depth=2
	v_bfe_u32 v4, v10, 23, 1
; %bb.6883:                             ;   in Loop: Header=BB6_6244 Depth=2
	s_or_b64 exec, exec, s[18:19]
	v_lshrrev_b64 v[5:6], 20, v[10:11]
	v_cmp_gt_i32_e32 vcc, 16, v4
	v_cndmask_b32_e32 v6, 0, v6, vcc
	v_cndmask_b32_e32 v5, 7, v5, vcc
	v_cmp_eq_u32_e32 vcc, 0, v4
	v_min_i32_e32 v4, 15, v4
	v_cmp_eq_u64_e64 s[18:19], 0, v[5:6]
	v_lshlrev_b32_e32 v4, 3, v4
	v_and_b32_e32 v4, 0xf8, v4
	v_and_or_b32 v4, v5, 7, v4
	s_and_b64 s[18:19], vcc, s[18:19]
	v_cndmask_b32_e64 v4, v4, 0, s[18:19]
	v_or_b32_e32 v35, v4, v2
.LBB6_6884:                             ;   in Loop: Header=BB6_6244 Depth=2
	s_or_b64 exec, exec, s[88:89]
                                        ; implicit-def: $vgpr2
.LBB6_6885:                             ;   in Loop: Header=BB6_6244 Depth=2
	s_andn2_saveexec_b64 s[18:19], s[78:79]
; %bb.6886:                             ;   in Loop: Header=BB6_6244 Depth=2
	v_or_b32_e32 v35, 0x7e, v2
; %bb.6887:                             ;   in Loop: Header=BB6_6244 Depth=2
	s_or_b64 exec, exec, s[18:19]
                                        ; implicit-def: $vgpr4
.LBB6_6888:                             ;   in Loop: Header=BB6_6244 Depth=2
	s_andn2_saveexec_b64 s[18:19], s[76:77]
; %bb.6889:                             ;   in Loop: Header=BB6_6244 Depth=2
	v_or_b32_sdwa v35, v4, s39 dst_sel:DWORD dst_unused:UNUSED_PAD src0_sel:BYTE_3 src1_sel:DWORD
; %bb.6890:                             ;   in Loop: Header=BB6_6244 Depth=2
	s_or_b64 exec, exec, s[18:19]
	v_lshrrev_b16_e32 v10, 8, v50
	v_cmp_ne_u16_e32 vcc, 0, v10
	v_mov_b32_e32 v2, 0
	s_and_saveexec_b64 s[18:19], vcc
	s_cbranch_execz .LBB6_6896
; %bb.6891:                             ;   in Loop: Header=BB6_6244 Depth=2
	v_cmp_ne_u16_e32 vcc, s50, v10
	v_bfrev_b32_e32 v2, 1
	s_and_saveexec_b64 s[76:77], vcc
	s_cbranch_execz .LBB6_6895
; %bb.6892:                             ;   in Loop: Header=BB6_6244 Depth=2
	v_and_b32_e32 v4, 0x7f, v10
	v_cmp_ne_u32_e32 vcc, s39, v4
	v_mov_b32_e32 v2, 0x7f800001
	s_and_saveexec_b64 s[78:79], vcc
	s_cbranch_execz .LBB6_6894
; %bb.6893:                             ;   in Loop: Header=BB6_6244 Depth=2
	v_and_b32_e32 v2, 7, v10
	v_lshrrev_b32_e32 v6, 3, v4
	v_cmp_gt_u32_e32 vcc, 8, v4
	v_ffbh_u32_e32 v4, v2
	v_min_u32_e32 v9, 32, v4
	v_subrev_u32_e32 v4, 28, v9
	v_lshlrev_b64 v[4:5], v4, v[10:11]
	v_sub_u32_e32 v5, 29, v9
	v_and_b32_e32 v4, 7, v4
	v_cndmask_b32_e32 v5, v6, v5, vcc
	v_cndmask_b32_e32 v2, v2, v4, vcc
	v_lshlrev_b32_e32 v4, 16, v50
	v_lshlrev_b32_e32 v2, 20, v2
	v_and_b32_e32 v4, 0x80000000, v4
	v_lshl_add_u32 v5, v5, 23, v62
	v_or3_b32 v2, v4, v5, v2
.LBB6_6894:                             ;   in Loop: Header=BB6_6244 Depth=2
	s_or_b64 exec, exec, s[78:79]
.LBB6_6895:                             ;   in Loop: Header=BB6_6244 Depth=2
	s_or_b64 exec, exec, s[76:77]
.LBB6_6896:                             ;   in Loop: Header=BB6_6244 Depth=2
	s_or_b64 exec, exec, s[18:19]
	v_mul_f32_e32 v4, v17, v2
	v_and_b32_e32 v50, 0x7f800000, v4
	v_cmp_ne_u64_e32 vcc, s[46:47], v[50:51]
                                        ; implicit-def: $vgpr2
                                        ; kill: killed $vgpr2
	s_and_saveexec_b64 s[18:19], vcc
	s_xor_b64 s[76:77], exec, s[18:19]
	s_cbranch_execz .LBB6_6910
; %bb.6897:                             ;   in Loop: Header=BB6_6244 Depth=2
	v_and_b32_e32 v50, 0x7fffffff, v4
	v_cmp_gt_u64_e32 vcc, s[56:57], v[50:51]
	v_and_b32_sdwa v2, v4, s50 dst_sel:DWORD dst_unused:UNUSED_PAD src0_sel:BYTE_3 src1_sel:DWORD
                                        ; implicit-def: $vgpr5
                                        ; kill: killed $vgpr5
	s_and_saveexec_b64 s[18:19], vcc
	s_xor_b64 s[78:79], exec, s[18:19]
	s_cbranch_execz .LBB6_6907
; %bb.6898:                             ;   in Loop: Header=BB6_6244 Depth=2
	v_mov_b32_e32 v5, 0
	v_cmp_ne_u32_e32 vcc, 0, v4
	buffer_store_dword v5, off, s[0:3], s33 offset:224 ; 4-byte Folded Spill
	s_and_saveexec_b64 s[88:89], vcc
	s_cbranch_execz .LBB6_6906
; %bb.6899:                             ;   in Loop: Header=BB6_6244 Depth=2
	v_and_b32_e32 v6, 0x7fffff, v4
	v_bfe_u32 v4, v4, 23, 8
	v_cmp_gt_u32_e64 s[18:19], s51, v4
	v_sub_u32_e32 v5, 0x79, v4
	v_cmp_eq_u32_e32 vcc, 0, v4
	v_cndmask_b32_e64 v5, 0, v5, s[18:19]
	v_mov_b32_e32 v10, 0x78
	v_or_b32_e32 v9, 0x800000, v6
	v_cndmask_b32_e32 v5, v5, v10, vcc
	v_cndmask_b32_e32 v50, v9, v6, vcc
	v_add_u32_e32 v6, 20, v5
	v_lshlrev_b64 v[9:10], v6, -1
	v_add_u32_e32 v6, 19, v5
	v_lshlrev_b64 v[14:15], v6, 1
	v_bfi_b32 v10, v10, 0, 0
	v_bfi_b32 v9, v9, 0, v50
	v_cmp_eq_u64_e64 s[18:19], v[9:10], v[14:15]
	v_lshrrev_b64 v[10:11], v5, v[50:51]
	v_mov_b32_e32 v15, v11
	v_mov_b32_e32 v14, v10
	s_and_saveexec_b64 s[90:91], s[18:19]
; %bb.6900:                             ;   in Loop: Header=BB6_6244 Depth=2
	v_bfe_u32 v6, v10, 20, 1
	v_add_co_u32_e64 v6, s[18:19], v10, v6
	v_add_co_u32_e64 v14, s[18:19], -1, v6
; %bb.6901:                             ;   in Loop: Header=BB6_6244 Depth=2
	s_or_b64 exec, exec, s[90:91]
	v_add_u32_e32 v4, 0xffffff81, v4
	v_mov_b32_e32 v6, 0xffffff82
	v_cndmask_b32_e32 v4, v4, v6, vcc
	v_lshrrev_b32_e32 v6, 23, v10
	v_add3_u32 v6, v5, v4, v6
	v_add_u32_e32 v5, 6, v6
	v_and_b32_e32 v4, 0xfffff, v14
	v_add_u32_e32 v50, v4, v10
	v_cmp_ne_u32_e32 vcc, 0, v5
                                        ; implicit-def: $vgpr10_vgpr11
                                        ; implicit-def: $vgpr4
	s_and_saveexec_b64 s[18:19], vcc
	s_xor_b64 s[18:19], exec, s[18:19]
; %bb.6902:                             ;   in Loop: Header=BB6_6244 Depth=2
	v_cmp_lt_u64_e32 vcc, s[58:59], v[50:51]
	v_add_u32_e32 v4, 7, v6
	v_cndmask_b32_e32 v4, v5, v4, vcc
	v_cndmask_b32_e64 v5, 0, 1, vcc
	v_lshrrev_b64 v[10:11], v5, v[50:51]
; %bb.6903:                             ;   in Loop: Header=BB6_6244 Depth=2
	s_andn2_saveexec_b64 s[18:19], s[18:19]
; %bb.6904:                             ;   in Loop: Header=BB6_6244 Depth=2
	v_mov_b32_e32 v10, v50
	v_bfe_u32 v4, v50, 23, 1
	v_mov_b32_e32 v11, v51
; %bb.6905:                             ;   in Loop: Header=BB6_6244 Depth=2
	s_or_b64 exec, exec, s[18:19]
	v_lshrrev_b64 v[5:6], 20, v[10:11]
	v_cmp_gt_i32_e32 vcc, 16, v4
	v_cndmask_b32_e32 v6, 0, v6, vcc
	v_cndmask_b32_e32 v5, 7, v5, vcc
	v_cmp_eq_u32_e32 vcc, 0, v4
	v_min_i32_e32 v4, 15, v4
	v_cmp_eq_u64_e64 s[18:19], 0, v[5:6]
	v_lshlrev_b32_e32 v4, 3, v4
	v_and_b32_e32 v4, 0xf8, v4
	v_and_or_b32 v4, v5, 7, v4
	s_and_b64 s[18:19], vcc, s[18:19]
	v_cndmask_b32_e64 v4, v4, 0, s[18:19]
	v_or_b32_e32 v2, v4, v2
	buffer_store_dword v2, off, s[0:3], s33 offset:224 ; 4-byte Folded Spill
.LBB6_6906:                             ;   in Loop: Header=BB6_6244 Depth=2
	s_or_b64 exec, exec, s[88:89]
                                        ; implicit-def: $vgpr2
.LBB6_6907:                             ;   in Loop: Header=BB6_6244 Depth=2
	s_andn2_saveexec_b64 s[18:19], s[78:79]
	s_cbranch_execz .LBB6_6909
; %bb.6908:                             ;   in Loop: Header=BB6_6244 Depth=2
	v_or_b32_e32 v2, 0x7e, v2
	buffer_store_dword v2, off, s[0:3], s33 offset:224 ; 4-byte Folded Spill
.LBB6_6909:                             ;   in Loop: Header=BB6_6244 Depth=2
	s_or_b64 exec, exec, s[18:19]
                                        ; implicit-def: $vgpr4
.LBB6_6910:                             ;   in Loop: Header=BB6_6244 Depth=2
	s_andn2_saveexec_b64 s[18:19], s[76:77]
	s_cbranch_execz .LBB6_6912
; %bb.6911:                             ;   in Loop: Header=BB6_6244 Depth=2
	v_or_b32_sdwa v2, v4, s39 dst_sel:DWORD dst_unused:UNUSED_PAD src0_sel:BYTE_3 src1_sel:DWORD
	buffer_store_dword v2, off, s[0:3], s33 offset:224 ; 4-byte Folded Spill
.LBB6_6912:                             ;   in Loop: Header=BB6_6244 Depth=2
	s_or_b64 exec, exec, s[18:19]
	v_lshrrev_b32_e32 v10, 16, v13
	v_cmp_ne_u16_sdwa s[76:77], v10, v51 src0_sel:BYTE_0 src1_sel:DWORD
	v_mov_b32_e32 v2, 0
	s_and_saveexec_b64 s[18:19], s[76:77]
	s_cbranch_execz .LBB6_6918
; %bb.6913:                             ;   in Loop: Header=BB6_6244 Depth=2
	v_cmp_ne_u16_sdwa s[78:79], v10, s50 src0_sel:BYTE_0 src1_sel:DWORD
	v_bfrev_b32_e32 v2, 1
	s_and_saveexec_b64 s[76:77], s[78:79]
	s_cbranch_execz .LBB6_6917
; %bb.6914:                             ;   in Loop: Header=BB6_6244 Depth=2
	v_bfe_u32 v4, v13, 16, 7
	v_cmp_ne_u32_e32 vcc, s39, v4
	v_mov_b32_e32 v2, 0x7f800001
	s_and_saveexec_b64 s[78:79], vcc
	s_cbranch_execz .LBB6_6916
; %bb.6915:                             ;   in Loop: Header=BB6_6244 Depth=2
	v_and_b32_e32 v2, 7, v10
	v_lshrrev_b32_e32 v6, 3, v4
	v_cmp_gt_u32_e32 vcc, 8, v4
	v_ffbh_u32_e32 v4, v2
	v_min_u32_e32 v9, 32, v4
	v_subrev_u32_e32 v4, 28, v9
	v_lshlrev_b64 v[4:5], v4, v[10:11]
	v_sub_u32_e32 v5, 29, v9
	v_and_b32_e32 v4, 7, v4
	v_cndmask_b32_e32 v5, v6, v5, vcc
	v_cndmask_b32_e32 v2, v2, v4, vcc
	v_lshlrev_b32_e32 v4, 24, v10
	v_lshlrev_b32_e32 v2, 20, v2
	v_and_b32_e32 v4, 0x80000000, v4
	v_lshl_add_u32 v5, v5, 23, v62
	v_or3_b32 v2, v4, v5, v2
.LBB6_6916:                             ;   in Loop: Header=BB6_6244 Depth=2
	s_or_b64 exec, exec, s[78:79]
.LBB6_6917:                             ;   in Loop: Header=BB6_6244 Depth=2
	s_or_b64 exec, exec, s[76:77]
.LBB6_6918:                             ;   in Loop: Header=BB6_6244 Depth=2
	s_or_b64 exec, exec, s[18:19]
	v_mul_f32_e32 v4, v17, v2
	v_and_b32_e32 v50, 0x7f800000, v4
	v_cmp_ne_u64_e32 vcc, s[46:47], v[50:51]
                                        ; implicit-def: $vgpr2
                                        ; kill: killed $vgpr2
	s_and_saveexec_b64 s[18:19], vcc
	s_xor_b64 s[76:77], exec, s[18:19]
	s_cbranch_execz .LBB6_6932
; %bb.6919:                             ;   in Loop: Header=BB6_6244 Depth=2
	v_and_b32_e32 v50, 0x7fffffff, v4
	v_cmp_gt_u64_e32 vcc, s[56:57], v[50:51]
	v_and_b32_sdwa v2, v4, s50 dst_sel:DWORD dst_unused:UNUSED_PAD src0_sel:BYTE_3 src1_sel:DWORD
                                        ; implicit-def: $vgpr5
                                        ; kill: killed $vgpr5
	s_and_saveexec_b64 s[18:19], vcc
	s_xor_b64 s[78:79], exec, s[18:19]
	s_cbranch_execz .LBB6_6929
; %bb.6920:                             ;   in Loop: Header=BB6_6244 Depth=2
	v_mov_b32_e32 v5, 0
	v_cmp_ne_u32_e32 vcc, 0, v4
	buffer_store_dword v5, off, s[0:3], s33 offset:244 ; 4-byte Folded Spill
	s_and_saveexec_b64 s[88:89], vcc
	s_cbranch_execz .LBB6_6928
; %bb.6921:                             ;   in Loop: Header=BB6_6244 Depth=2
	v_and_b32_e32 v6, 0x7fffff, v4
	v_bfe_u32 v4, v4, 23, 8
	v_cmp_gt_u32_e64 s[18:19], s51, v4
	v_sub_u32_e32 v5, 0x79, v4
	v_cmp_eq_u32_e32 vcc, 0, v4
	v_cndmask_b32_e64 v5, 0, v5, s[18:19]
	v_mov_b32_e32 v10, 0x78
	v_or_b32_e32 v9, 0x800000, v6
	v_cndmask_b32_e32 v5, v5, v10, vcc
	v_cndmask_b32_e32 v50, v9, v6, vcc
	v_add_u32_e32 v6, 20, v5
	v_lshlrev_b64 v[9:10], v6, -1
	v_add_u32_e32 v6, 19, v5
	v_lshlrev_b64 v[14:15], v6, 1
	v_bfi_b32 v10, v10, 0, 0
	v_bfi_b32 v9, v9, 0, v50
	v_cmp_eq_u64_e64 s[18:19], v[9:10], v[14:15]
	v_lshrrev_b64 v[10:11], v5, v[50:51]
	v_mov_b32_e32 v15, v11
	v_mov_b32_e32 v14, v10
	s_and_saveexec_b64 s[90:91], s[18:19]
; %bb.6922:                             ;   in Loop: Header=BB6_6244 Depth=2
	v_bfe_u32 v6, v10, 20, 1
	v_add_co_u32_e64 v6, s[18:19], v10, v6
	v_add_co_u32_e64 v14, s[18:19], -1, v6
; %bb.6923:                             ;   in Loop: Header=BB6_6244 Depth=2
	s_or_b64 exec, exec, s[90:91]
	v_add_u32_e32 v4, 0xffffff81, v4
	v_mov_b32_e32 v6, 0xffffff82
	v_cndmask_b32_e32 v4, v4, v6, vcc
	v_lshrrev_b32_e32 v6, 23, v10
	v_add3_u32 v6, v5, v4, v6
	v_add_u32_e32 v5, 6, v6
	v_and_b32_e32 v4, 0xfffff, v14
	v_add_u32_e32 v50, v4, v10
	v_cmp_ne_u32_e32 vcc, 0, v5
                                        ; implicit-def: $vgpr10_vgpr11
                                        ; implicit-def: $vgpr4
	s_and_saveexec_b64 s[18:19], vcc
	s_xor_b64 s[18:19], exec, s[18:19]
; %bb.6924:                             ;   in Loop: Header=BB6_6244 Depth=2
	v_cmp_lt_u64_e32 vcc, s[58:59], v[50:51]
	v_add_u32_e32 v4, 7, v6
	v_cndmask_b32_e32 v4, v5, v4, vcc
	v_cndmask_b32_e64 v5, 0, 1, vcc
	v_lshrrev_b64 v[10:11], v5, v[50:51]
; %bb.6925:                             ;   in Loop: Header=BB6_6244 Depth=2
	s_andn2_saveexec_b64 s[18:19], s[18:19]
; %bb.6926:                             ;   in Loop: Header=BB6_6244 Depth=2
	v_mov_b32_e32 v10, v50
	v_bfe_u32 v4, v50, 23, 1
	v_mov_b32_e32 v11, v51
; %bb.6927:                             ;   in Loop: Header=BB6_6244 Depth=2
	s_or_b64 exec, exec, s[18:19]
	v_lshrrev_b64 v[5:6], 20, v[10:11]
	v_cmp_gt_i32_e32 vcc, 16, v4
	v_cndmask_b32_e32 v6, 0, v6, vcc
	v_cndmask_b32_e32 v5, 7, v5, vcc
	v_cmp_eq_u32_e32 vcc, 0, v4
	v_min_i32_e32 v4, 15, v4
	v_cmp_eq_u64_e64 s[18:19], 0, v[5:6]
	v_lshlrev_b32_e32 v4, 3, v4
	v_and_b32_e32 v4, 0xf8, v4
	v_and_or_b32 v4, v5, 7, v4
	s_and_b64 s[18:19], vcc, s[18:19]
	v_cndmask_b32_e64 v4, v4, 0, s[18:19]
	v_or_b32_e32 v2, v4, v2
	buffer_store_dword v2, off, s[0:3], s33 offset:244 ; 4-byte Folded Spill
.LBB6_6928:                             ;   in Loop: Header=BB6_6244 Depth=2
	s_or_b64 exec, exec, s[88:89]
                                        ; implicit-def: $vgpr2
.LBB6_6929:                             ;   in Loop: Header=BB6_6244 Depth=2
	s_andn2_saveexec_b64 s[18:19], s[78:79]
	s_cbranch_execz .LBB6_6931
; %bb.6930:                             ;   in Loop: Header=BB6_6244 Depth=2
	v_or_b32_e32 v2, 0x7e, v2
	buffer_store_dword v2, off, s[0:3], s33 offset:244 ; 4-byte Folded Spill
.LBB6_6931:                             ;   in Loop: Header=BB6_6244 Depth=2
	s_or_b64 exec, exec, s[18:19]
                                        ; implicit-def: $vgpr4
.LBB6_6932:                             ;   in Loop: Header=BB6_6244 Depth=2
	s_andn2_saveexec_b64 s[18:19], s[76:77]
	s_cbranch_execz .LBB6_6934
; %bb.6933:                             ;   in Loop: Header=BB6_6244 Depth=2
	v_or_b32_sdwa v2, v4, s39 dst_sel:DWORD dst_unused:UNUSED_PAD src0_sel:BYTE_3 src1_sel:DWORD
	buffer_store_dword v2, off, s[0:3], s33 offset:244 ; 4-byte Folded Spill
.LBB6_6934:                             ;   in Loop: Header=BB6_6244 Depth=2
	s_or_b64 exec, exec, s[18:19]
	v_cmp_lt_u64_e32 vcc, s[60:61], v[12:13]
	v_mov_b32_e32 v2, 0
	s_and_saveexec_b64 s[18:19], vcc
	s_cbranch_execz .LBB6_6940
; %bb.6935:                             ;   in Loop: Header=BB6_6244 Depth=2
	v_lshrrev_b32_e32 v10, 24, v13
	v_cmp_ne_u32_e32 vcc, s50, v10
	v_bfrev_b32_e32 v2, 1
	s_and_saveexec_b64 s[76:77], vcc
	s_cbranch_execz .LBB6_6939
; %bb.6936:                             ;   in Loop: Header=BB6_6244 Depth=2
	v_bfe_u32 v4, v13, 24, 7
	v_cmp_ne_u32_e32 vcc, s39, v4
	v_mov_b32_e32 v2, 0x7f800001
	s_and_saveexec_b64 s[78:79], vcc
	s_cbranch_execz .LBB6_6938
; %bb.6937:                             ;   in Loop: Header=BB6_6244 Depth=2
	v_and_b32_e32 v2, 7, v10
	v_lshrrev_b32_e32 v6, 3, v4
	v_cmp_gt_u32_e32 vcc, 8, v4
	v_ffbh_u32_e32 v4, v2
	v_min_u32_e32 v9, 32, v4
	v_subrev_u32_e32 v4, 28, v9
	v_lshlrev_b64 v[4:5], v4, v[10:11]
	v_sub_u32_e32 v5, 29, v9
	v_and_b32_e32 v4, 7, v4
	v_cndmask_b32_e32 v5, v6, v5, vcc
	v_cndmask_b32_e32 v2, v2, v4, vcc
	v_lshlrev_b32_e32 v4, 24, v10
	v_lshlrev_b32_e32 v2, 20, v2
	v_and_b32_e32 v4, 0x80000000, v4
	v_lshl_add_u32 v5, v5, 23, v62
	v_or3_b32 v2, v4, v5, v2
.LBB6_6938:                             ;   in Loop: Header=BB6_6244 Depth=2
	s_or_b64 exec, exec, s[78:79]
.LBB6_6939:                             ;   in Loop: Header=BB6_6244 Depth=2
	s_or_b64 exec, exec, s[76:77]
.LBB6_6940:                             ;   in Loop: Header=BB6_6244 Depth=2
	s_or_b64 exec, exec, s[18:19]
	v_mul_f32_e32 v4, v17, v2
	v_and_b32_e32 v50, 0x7f800000, v4
	v_cmp_ne_u64_e32 vcc, s[46:47], v[50:51]
                                        ; implicit-def: $vgpr2
                                        ; kill: killed $vgpr2
	s_and_saveexec_b64 s[18:19], vcc
	s_xor_b64 s[76:77], exec, s[18:19]
	s_cbranch_execz .LBB6_6954
; %bb.6941:                             ;   in Loop: Header=BB6_6244 Depth=2
	v_and_b32_e32 v50, 0x7fffffff, v4
	v_cmp_gt_u64_e32 vcc, s[56:57], v[50:51]
	v_and_b32_sdwa v2, v4, s50 dst_sel:DWORD dst_unused:UNUSED_PAD src0_sel:BYTE_3 src1_sel:DWORD
                                        ; implicit-def: $vgpr5
                                        ; kill: killed $vgpr5
	s_and_saveexec_b64 s[18:19], vcc
	s_xor_b64 s[78:79], exec, s[18:19]
	s_cbranch_execz .LBB6_6951
; %bb.6942:                             ;   in Loop: Header=BB6_6244 Depth=2
	v_mov_b32_e32 v5, 0
	v_cmp_ne_u32_e32 vcc, 0, v4
	buffer_store_dword v5, off, s[0:3], s33 offset:264 ; 4-byte Folded Spill
	s_and_saveexec_b64 s[88:89], vcc
	s_cbranch_execz .LBB6_6950
; %bb.6943:                             ;   in Loop: Header=BB6_6244 Depth=2
	v_and_b32_e32 v6, 0x7fffff, v4
	v_bfe_u32 v4, v4, 23, 8
	v_cmp_gt_u32_e64 s[18:19], s51, v4
	v_sub_u32_e32 v5, 0x79, v4
	v_cmp_eq_u32_e32 vcc, 0, v4
	v_cndmask_b32_e64 v5, 0, v5, s[18:19]
	v_mov_b32_e32 v10, 0x78
	v_or_b32_e32 v9, 0x800000, v6
	v_cndmask_b32_e32 v5, v5, v10, vcc
	v_cndmask_b32_e32 v50, v9, v6, vcc
	v_add_u32_e32 v6, 20, v5
	v_lshlrev_b64 v[9:10], v6, -1
	v_add_u32_e32 v6, 19, v5
	v_lshlrev_b64 v[11:12], v6, 1
	v_bfi_b32 v10, v10, 0, 0
	v_bfi_b32 v9, v9, 0, v50
	v_cmp_eq_u64_e64 s[18:19], v[9:10], v[11:12]
	v_lshrrev_b64 v[10:11], v5, v[50:51]
	v_mov_b32_e32 v12, v11
	v_mov_b32_e32 v11, v10
	s_and_saveexec_b64 s[90:91], s[18:19]
; %bb.6944:                             ;   in Loop: Header=BB6_6244 Depth=2
	v_bfe_u32 v6, v10, 20, 1
	v_add_co_u32_e64 v6, s[18:19], v10, v6
	v_add_co_u32_e64 v11, s[18:19], -1, v6
; %bb.6945:                             ;   in Loop: Header=BB6_6244 Depth=2
	s_or_b64 exec, exec, s[90:91]
	v_add_u32_e32 v4, 0xffffff81, v4
	v_mov_b32_e32 v6, 0xffffff82
	v_cndmask_b32_e32 v4, v4, v6, vcc
	v_lshrrev_b32_e32 v6, 23, v10
	v_add3_u32 v6, v5, v4, v6
	v_add_u32_e32 v5, 6, v6
	v_and_b32_e32 v4, 0xfffff, v11
	v_add_u32_e32 v50, v4, v10
	v_cmp_ne_u32_e32 vcc, 0, v5
                                        ; implicit-def: $vgpr10_vgpr11
                                        ; implicit-def: $vgpr4
	s_and_saveexec_b64 s[18:19], vcc
	s_xor_b64 s[18:19], exec, s[18:19]
; %bb.6946:                             ;   in Loop: Header=BB6_6244 Depth=2
	v_cmp_lt_u64_e32 vcc, s[58:59], v[50:51]
	v_add_u32_e32 v4, 7, v6
	v_cndmask_b32_e32 v4, v5, v4, vcc
	v_cndmask_b32_e64 v5, 0, 1, vcc
	v_lshrrev_b64 v[10:11], v5, v[50:51]
; %bb.6947:                             ;   in Loop: Header=BB6_6244 Depth=2
	s_andn2_saveexec_b64 s[18:19], s[18:19]
; %bb.6948:                             ;   in Loop: Header=BB6_6244 Depth=2
	v_mov_b32_e32 v10, v50
	v_bfe_u32 v4, v50, 23, 1
	v_mov_b32_e32 v11, v51
; %bb.6949:                             ;   in Loop: Header=BB6_6244 Depth=2
	s_or_b64 exec, exec, s[18:19]
	v_lshrrev_b64 v[5:6], 20, v[10:11]
	v_cmp_gt_i32_e32 vcc, 16, v4
	v_cndmask_b32_e32 v6, 0, v6, vcc
	v_cndmask_b32_e32 v5, 7, v5, vcc
	v_cmp_eq_u32_e32 vcc, 0, v4
	v_min_i32_e32 v4, 15, v4
	v_cmp_eq_u64_e64 s[18:19], 0, v[5:6]
	v_lshlrev_b32_e32 v4, 3, v4
	v_and_b32_e32 v4, 0xf8, v4
	v_and_or_b32 v4, v5, 7, v4
	s_and_b64 s[18:19], vcc, s[18:19]
	v_cndmask_b32_e64 v4, v4, 0, s[18:19]
	v_or_b32_e32 v2, v4, v2
	buffer_store_dword v2, off, s[0:3], s33 offset:264 ; 4-byte Folded Spill
.LBB6_6950:                             ;   in Loop: Header=BB6_6244 Depth=2
	s_or_b64 exec, exec, s[88:89]
                                        ; implicit-def: $vgpr2
.LBB6_6951:                             ;   in Loop: Header=BB6_6244 Depth=2
	s_andn2_saveexec_b64 s[18:19], s[78:79]
	s_cbranch_execz .LBB6_6953
; %bb.6952:                             ;   in Loop: Header=BB6_6244 Depth=2
	v_or_b32_e32 v2, 0x7e, v2
	buffer_store_dword v2, off, s[0:3], s33 offset:264 ; 4-byte Folded Spill
.LBB6_6953:                             ;   in Loop: Header=BB6_6244 Depth=2
	s_or_b64 exec, exec, s[18:19]
                                        ; implicit-def: $vgpr4
.LBB6_6954:                             ;   in Loop: Header=BB6_6244 Depth=2
	s_andn2_saveexec_b64 s[18:19], s[76:77]
	s_cbranch_execz .LBB6_6956
; %bb.6955:                             ;   in Loop: Header=BB6_6244 Depth=2
	v_or_b32_sdwa v2, v4, s39 dst_sel:DWORD dst_unused:UNUSED_PAD src0_sel:BYTE_3 src1_sel:DWORD
	buffer_store_dword v2, off, s[0:3], s33 offset:264 ; 4-byte Folded Spill
.LBB6_6956:                             ;   in Loop: Header=BB6_6244 Depth=2
	s_or_b64 exec, exec, s[18:19]
	global_load_dwordx4 v[10:13], v[44:45], off offset:2048 glc slc
	v_mov_b32_e32 v2, 0
	s_waitcnt vmcnt(0)
	v_cmp_ne_u16_sdwa s[76:77], v10, v51 src0_sel:BYTE_0 src1_sel:DWORD
	s_and_saveexec_b64 s[18:19], s[76:77]
	s_cbranch_execz .LBB6_6962
; %bb.6957:                             ;   in Loop: Header=BB6_6244 Depth=2
	v_cmp_ne_u16_sdwa s[78:79], v10, s50 src0_sel:BYTE_0 src1_sel:DWORD
	v_bfrev_b32_e32 v2, 1
	s_and_saveexec_b64 s[76:77], s[78:79]
	s_cbranch_execz .LBB6_6961
; %bb.6958:                             ;   in Loop: Header=BB6_6244 Depth=2
	v_and_b32_e32 v4, 0x7f, v10
	v_cmp_ne_u32_e32 vcc, s39, v4
	v_mov_b32_e32 v2, 0x7f800001
	s_and_saveexec_b64 s[78:79], vcc
	s_cbranch_execz .LBB6_6960
; %bb.6959:                             ;   in Loop: Header=BB6_6244 Depth=2
	v_and_b32_e32 v2, 7, v10
	v_ffbh_u32_e32 v2, v2
	v_min_u32_e32 v2, 32, v2
	v_lshrrev_b32_e32 v5, 3, v4
	v_cmp_gt_u32_e32 vcc, 8, v4
	v_subrev_u32_e32 v4, 28, v2
	v_sub_u32_e32 v2, 29, v2
	v_cndmask_b32_e32 v4, 0, v4, vcc
	v_cndmask_b32_e32 v2, v5, v2, vcc
	v_lshlrev_b64 v[4:5], v4, v[10:11]
	v_lshlrev_b32_e32 v5, 24, v10
	v_lshlrev_b32_e32 v4, 20, v4
	v_and_b32_e32 v4, 0x700000, v4
	v_and_b32_e32 v5, 0x80000000, v5
	v_lshl_add_u32 v2, v2, 23, v62
	v_or3_b32 v2, v5, v2, v4
.LBB6_6960:                             ;   in Loop: Header=BB6_6244 Depth=2
	s_or_b64 exec, exec, s[78:79]
.LBB6_6961:                             ;   in Loop: Header=BB6_6244 Depth=2
	s_or_b64 exec, exec, s[76:77]
.LBB6_6962:                             ;   in Loop: Header=BB6_6244 Depth=2
	s_or_b64 exec, exec, s[18:19]
	v_mul_f32_e32 v4, v17, v2
	v_and_b32_e32 v50, 0x7f800000, v4
	v_cmp_ne_u64_e32 vcc, s[46:47], v[50:51]
                                        ; implicit-def: $vgpr5
	s_and_saveexec_b64 s[18:19], vcc
	s_xor_b64 s[76:77], exec, s[18:19]
	s_cbranch_execz .LBB6_6976
; %bb.6963:                             ;   in Loop: Header=BB6_6244 Depth=2
	v_and_b32_e32 v50, 0x7fffffff, v4
	v_cmp_gt_u64_e32 vcc, s[56:57], v[50:51]
	v_and_b32_sdwa v2, v4, s50 dst_sel:DWORD dst_unused:UNUSED_PAD src0_sel:BYTE_3 src1_sel:DWORD
                                        ; implicit-def: $vgpr5
	s_and_saveexec_b64 s[18:19], vcc
	s_xor_b64 s[78:79], exec, s[18:19]
	s_cbranch_execz .LBB6_6973
; %bb.6964:                             ;   in Loop: Header=BB6_6244 Depth=2
	v_mov_b32_e32 v5, 0
	v_cmp_ne_u32_e32 vcc, 0, v4
	s_and_saveexec_b64 s[88:89], vcc
	s_cbranch_execz .LBB6_6972
; %bb.6965:                             ;   in Loop: Header=BB6_6244 Depth=2
	v_and_b32_e32 v6, 0x7fffff, v4
	v_bfe_u32 v4, v4, 23, 8
	v_cmp_gt_u32_e64 s[18:19], s51, v4
	v_sub_u32_e32 v5, 0x79, v4
	v_cmp_eq_u32_e32 vcc, 0, v4
	v_cndmask_b32_e64 v5, 0, v5, s[18:19]
	v_mov_b32_e32 v14, 0x78
	v_or_b32_e32 v9, 0x800000, v6
	v_cndmask_b32_e32 v5, v5, v14, vcc
	v_cndmask_b32_e32 v50, v9, v6, vcc
	v_add_u32_e32 v6, 20, v5
	v_lshlrev_b64 v[14:15], v6, -1
	v_add_u32_e32 v6, 19, v5
	v_lshlrev_b64 v[18:19], v6, 1
	v_bfi_b32 v15, v15, 0, 0
	v_bfi_b32 v14, v14, 0, v50
	v_cmp_eq_u64_e64 s[18:19], v[14:15], v[18:19]
	v_lshrrev_b64 v[14:15], v5, v[50:51]
	v_mov_b32_e32 v16, v15
	v_mov_b32_e32 v15, v14
	s_and_saveexec_b64 s[90:91], s[18:19]
; %bb.6966:                             ;   in Loop: Header=BB6_6244 Depth=2
	v_bfe_u32 v6, v14, 20, 1
	v_add_co_u32_e64 v6, s[18:19], v14, v6
	v_add_co_u32_e64 v15, s[18:19], -1, v6
; %bb.6967:                             ;   in Loop: Header=BB6_6244 Depth=2
	s_or_b64 exec, exec, s[90:91]
	v_add_u32_e32 v4, 0xffffff81, v4
	v_mov_b32_e32 v6, 0xffffff82
	v_cndmask_b32_e32 v4, v4, v6, vcc
	v_lshrrev_b32_e32 v6, 23, v14
	v_add3_u32 v6, v5, v4, v6
	v_add_u32_e32 v5, 6, v6
	v_and_b32_e32 v4, 0xfffff, v15
	v_add_u32_e32 v50, v4, v14
	v_cmp_ne_u32_e32 vcc, 0, v5
                                        ; implicit-def: $vgpr14_vgpr15
                                        ; implicit-def: $vgpr4
	s_and_saveexec_b64 s[18:19], vcc
	s_xor_b64 s[18:19], exec, s[18:19]
; %bb.6968:                             ;   in Loop: Header=BB6_6244 Depth=2
	v_cmp_lt_u64_e32 vcc, s[58:59], v[50:51]
	v_add_u32_e32 v4, 7, v6
	v_cndmask_b32_e32 v4, v5, v4, vcc
	v_cndmask_b32_e64 v5, 0, 1, vcc
	v_lshrrev_b64 v[14:15], v5, v[50:51]
; %bb.6969:                             ;   in Loop: Header=BB6_6244 Depth=2
	s_andn2_saveexec_b64 s[18:19], s[18:19]
; %bb.6970:                             ;   in Loop: Header=BB6_6244 Depth=2
	v_mov_b32_e32 v14, v50
	v_bfe_u32 v4, v50, 23, 1
	v_mov_b32_e32 v15, v51
; %bb.6971:                             ;   in Loop: Header=BB6_6244 Depth=2
	s_or_b64 exec, exec, s[18:19]
	v_lshrrev_b64 v[5:6], 20, v[14:15]
	v_cmp_gt_i32_e32 vcc, 16, v4
	v_cndmask_b32_e32 v6, 0, v6, vcc
	v_cndmask_b32_e32 v5, 7, v5, vcc
	v_cmp_eq_u32_e32 vcc, 0, v4
	v_min_i32_e32 v4, 15, v4
	v_cmp_eq_u64_e64 s[18:19], 0, v[5:6]
	v_lshlrev_b32_e32 v4, 3, v4
	v_and_b32_e32 v4, 0xf8, v4
	v_and_or_b32 v4, v5, 7, v4
	s_and_b64 s[18:19], vcc, s[18:19]
	v_cndmask_b32_e64 v4, v4, 0, s[18:19]
	v_or_b32_e32 v5, v4, v2
.LBB6_6972:                             ;   in Loop: Header=BB6_6244 Depth=2
	s_or_b64 exec, exec, s[88:89]
                                        ; implicit-def: $vgpr2
.LBB6_6973:                             ;   in Loop: Header=BB6_6244 Depth=2
	s_andn2_saveexec_b64 s[18:19], s[78:79]
; %bb.6974:                             ;   in Loop: Header=BB6_6244 Depth=2
	v_or_b32_e32 v5, 0x7e, v2
; %bb.6975:                             ;   in Loop: Header=BB6_6244 Depth=2
	s_or_b64 exec, exec, s[18:19]
                                        ; implicit-def: $vgpr4
.LBB6_6976:                             ;   in Loop: Header=BB6_6244 Depth=2
	s_andn2_saveexec_b64 s[18:19], s[76:77]
; %bb.6977:                             ;   in Loop: Header=BB6_6244 Depth=2
	v_or_b32_sdwa v5, v4, s39 dst_sel:DWORD dst_unused:UNUSED_PAD src0_sel:BYTE_3 src1_sel:DWORD
; %bb.6978:                             ;   in Loop: Header=BB6_6244 Depth=2
	s_or_b64 exec, exec, s[18:19]
	v_lshrrev_b16_e32 v14, 8, v10
	v_cmp_ne_u16_e32 vcc, 0, v14
	v_mov_b32_e32 v2, 0
	s_and_saveexec_b64 s[18:19], vcc
	s_cbranch_execz .LBB6_6984
; %bb.6979:                             ;   in Loop: Header=BB6_6244 Depth=2
	v_cmp_ne_u16_e32 vcc, s50, v14
	v_bfrev_b32_e32 v2, 1
	s_and_saveexec_b64 s[76:77], vcc
	s_cbranch_execz .LBB6_6983
; %bb.6980:                             ;   in Loop: Header=BB6_6244 Depth=2
	v_and_b32_e32 v4, 0x7f, v14
	v_cmp_ne_u32_e32 vcc, s39, v4
	v_mov_b32_e32 v2, 0x7f800001
	s_and_saveexec_b64 s[78:79], vcc
	s_cbranch_execz .LBB6_6982
; %bb.6981:                             ;   in Loop: Header=BB6_6244 Depth=2
	v_and_b32_e32 v2, 7, v14
	v_lshrrev_b32_e32 v6, 3, v4
	v_cmp_gt_u32_e32 vcc, 8, v4
	v_ffbh_u32_e32 v4, v2
	v_min_u32_e32 v4, 32, v4
	v_subrev_u32_e32 v9, 28, v4
	v_lshlrev_b64 v[14:15], v9, v[14:15]
	v_sub_u32_e32 v4, 29, v4
	v_and_b32_e32 v9, 7, v14
	v_cndmask_b32_e32 v4, v6, v4, vcc
	v_cndmask_b32_e32 v2, v2, v9, vcc
	v_lshlrev_b32_e32 v6, 16, v10
	v_lshlrev_b32_e32 v2, 20, v2
	v_and_b32_e32 v6, 0x80000000, v6
	v_lshl_add_u32 v4, v4, 23, v62
	v_or3_b32 v2, v6, v4, v2
.LBB6_6982:                             ;   in Loop: Header=BB6_6244 Depth=2
	s_or_b64 exec, exec, s[78:79]
.LBB6_6983:                             ;   in Loop: Header=BB6_6244 Depth=2
	s_or_b64 exec, exec, s[76:77]
.LBB6_6984:                             ;   in Loop: Header=BB6_6244 Depth=2
	s_or_b64 exec, exec, s[18:19]
	v_mul_f32_e32 v4, v17, v2
	v_and_b32_e32 v50, 0x7f800000, v4
	v_cmp_ne_u64_e32 vcc, s[46:47], v[50:51]
                                        ; implicit-def: $vgpr2
                                        ; kill: killed $vgpr2
	s_and_saveexec_b64 s[18:19], vcc
	s_xor_b64 s[76:77], exec, s[18:19]
	s_cbranch_execz .LBB6_6998
; %bb.6985:                             ;   in Loop: Header=BB6_6244 Depth=2
	v_and_b32_e32 v50, 0x7fffffff, v4
	v_cmp_gt_u64_e32 vcc, s[56:57], v[50:51]
	v_and_b32_sdwa v2, v4, s50 dst_sel:DWORD dst_unused:UNUSED_PAD src0_sel:BYTE_3 src1_sel:DWORD
                                        ; implicit-def: $vgpr6
                                        ; kill: killed $vgpr6
	s_and_saveexec_b64 s[18:19], vcc
	s_xor_b64 s[78:79], exec, s[18:19]
	s_cbranch_execz .LBB6_6995
; %bb.6986:                             ;   in Loop: Header=BB6_6244 Depth=2
	v_mov_b32_e32 v6, 0
	v_cmp_ne_u32_e32 vcc, 0, v4
	buffer_store_dword v6, off, s[0:3], s33 offset:208 ; 4-byte Folded Spill
	s_and_saveexec_b64 s[88:89], vcc
	s_cbranch_execz .LBB6_6994
; %bb.6987:                             ;   in Loop: Header=BB6_6244 Depth=2
	v_and_b32_e32 v9, 0x7fffff, v4
	v_bfe_u32 v4, v4, 23, 8
	v_cmp_gt_u32_e64 s[18:19], s51, v4
	v_sub_u32_e32 v6, 0x79, v4
	v_cmp_eq_u32_e32 vcc, 0, v4
	v_cndmask_b32_e64 v6, 0, v6, s[18:19]
	v_mov_b32_e32 v15, 0x78
	v_or_b32_e32 v14, 0x800000, v9
	v_cndmask_b32_e32 v6, v6, v15, vcc
	v_cndmask_b32_e32 v50, v14, v9, vcc
	v_add_u32_e32 v9, 20, v6
	v_lshlrev_b64 v[14:15], v9, -1
	v_add_u32_e32 v9, 19, v6
	v_lshlrev_b64 v[18:19], v9, 1
	v_bfi_b32 v15, v15, 0, 0
	v_bfi_b32 v14, v14, 0, v50
	v_cmp_eq_u64_e64 s[18:19], v[14:15], v[18:19]
	v_lshrrev_b64 v[14:15], v6, v[50:51]
	v_mov_b32_e32 v16, v15
	v_mov_b32_e32 v15, v14
	s_and_saveexec_b64 s[90:91], s[18:19]
; %bb.6988:                             ;   in Loop: Header=BB6_6244 Depth=2
	v_bfe_u32 v9, v14, 20, 1
	v_add_co_u32_e64 v9, s[18:19], v14, v9
	v_add_co_u32_e64 v15, s[18:19], -1, v9
; %bb.6989:                             ;   in Loop: Header=BB6_6244 Depth=2
	s_or_b64 exec, exec, s[90:91]
	v_add_u32_e32 v4, 0xffffff81, v4
	v_mov_b32_e32 v9, 0xffffff82
	v_cndmask_b32_e32 v4, v4, v9, vcc
	v_lshrrev_b32_e32 v9, 23, v14
	v_add3_u32 v9, v6, v4, v9
	v_add_u32_e32 v6, 6, v9
	v_and_b32_e32 v4, 0xfffff, v15
	v_add_u32_e32 v50, v4, v14
	v_cmp_ne_u32_e32 vcc, 0, v6
                                        ; implicit-def: $vgpr14_vgpr15
                                        ; implicit-def: $vgpr4
	s_and_saveexec_b64 s[18:19], vcc
	s_xor_b64 s[18:19], exec, s[18:19]
; %bb.6990:                             ;   in Loop: Header=BB6_6244 Depth=2
	v_cmp_lt_u64_e32 vcc, s[58:59], v[50:51]
	v_add_u32_e32 v4, 7, v9
	v_cndmask_b32_e32 v4, v6, v4, vcc
	v_cndmask_b32_e64 v6, 0, 1, vcc
	v_lshrrev_b64 v[14:15], v6, v[50:51]
; %bb.6991:                             ;   in Loop: Header=BB6_6244 Depth=2
	s_andn2_saveexec_b64 s[18:19], s[18:19]
; %bb.6992:                             ;   in Loop: Header=BB6_6244 Depth=2
	v_mov_b32_e32 v14, v50
	v_bfe_u32 v4, v50, 23, 1
	v_mov_b32_e32 v15, v51
; %bb.6993:                             ;   in Loop: Header=BB6_6244 Depth=2
	s_or_b64 exec, exec, s[18:19]
	v_lshrrev_b64 v[14:15], 20, v[14:15]
	v_cmp_gt_i32_e32 vcc, 16, v4
	v_cndmask_b32_e32 v15, 0, v15, vcc
	v_cndmask_b32_e32 v14, 7, v14, vcc
	v_cmp_eq_u32_e32 vcc, 0, v4
	v_min_i32_e32 v4, 15, v4
	v_cmp_eq_u64_e64 s[18:19], 0, v[14:15]
	v_lshlrev_b32_e32 v4, 3, v4
	v_and_b32_e32 v4, 0xf8, v4
	v_and_or_b32 v4, v14, 7, v4
	s_and_b64 s[18:19], vcc, s[18:19]
	v_cndmask_b32_e64 v4, v4, 0, s[18:19]
	v_or_b32_e32 v2, v4, v2
	buffer_store_dword v2, off, s[0:3], s33 offset:208 ; 4-byte Folded Spill
.LBB6_6994:                             ;   in Loop: Header=BB6_6244 Depth=2
	s_or_b64 exec, exec, s[88:89]
                                        ; implicit-def: $vgpr2
.LBB6_6995:                             ;   in Loop: Header=BB6_6244 Depth=2
	s_andn2_saveexec_b64 s[18:19], s[78:79]
	s_cbranch_execz .LBB6_6997
; %bb.6996:                             ;   in Loop: Header=BB6_6244 Depth=2
	v_or_b32_e32 v2, 0x7e, v2
	buffer_store_dword v2, off, s[0:3], s33 offset:208 ; 4-byte Folded Spill
.LBB6_6997:                             ;   in Loop: Header=BB6_6244 Depth=2
	s_or_b64 exec, exec, s[18:19]
                                        ; implicit-def: $vgpr4
.LBB6_6998:                             ;   in Loop: Header=BB6_6244 Depth=2
	s_andn2_saveexec_b64 s[18:19], s[76:77]
	s_cbranch_execz .LBB6_7000
; %bb.6999:                             ;   in Loop: Header=BB6_6244 Depth=2
	v_or_b32_sdwa v2, v4, s39 dst_sel:DWORD dst_unused:UNUSED_PAD src0_sel:BYTE_3 src1_sel:DWORD
	buffer_store_dword v2, off, s[0:3], s33 offset:208 ; 4-byte Folded Spill
.LBB6_7000:                             ;   in Loop: Header=BB6_6244 Depth=2
	s_or_b64 exec, exec, s[18:19]
	v_lshrrev_b32_e32 v14, 16, v10
	v_cmp_ne_u16_sdwa s[76:77], v14, v51 src0_sel:BYTE_0 src1_sel:DWORD
	v_mov_b32_e32 v2, 0
	s_and_saveexec_b64 s[18:19], s[76:77]
	s_cbranch_execz .LBB6_7006
; %bb.7001:                             ;   in Loop: Header=BB6_6244 Depth=2
	v_cmp_ne_u16_sdwa s[78:79], v14, s50 src0_sel:BYTE_0 src1_sel:DWORD
	v_bfrev_b32_e32 v2, 1
	s_and_saveexec_b64 s[76:77], s[78:79]
	s_cbranch_execz .LBB6_7005
; %bb.7002:                             ;   in Loop: Header=BB6_6244 Depth=2
	v_bfe_u32 v4, v10, 16, 7
	v_cmp_ne_u32_e32 vcc, s39, v4
	v_mov_b32_e32 v2, 0x7f800001
	s_and_saveexec_b64 s[78:79], vcc
	s_cbranch_execz .LBB6_7004
; %bb.7003:                             ;   in Loop: Header=BB6_6244 Depth=2
	v_and_b32_e32 v2, 7, v14
	v_lshrrev_b32_e32 v6, 3, v4
	v_cmp_gt_u32_e32 vcc, 8, v4
	v_ffbh_u32_e32 v4, v2
	v_min_u32_e32 v4, 32, v4
	v_subrev_u32_e32 v9, 28, v4
	v_lshlrev_b64 v[15:16], v9, v[14:15]
	v_sub_u32_e32 v4, 29, v4
	v_and_b32_e32 v9, 7, v15
	v_cndmask_b32_e32 v4, v6, v4, vcc
	v_cndmask_b32_e32 v2, v2, v9, vcc
	v_lshlrev_b32_e32 v6, 24, v14
	v_lshlrev_b32_e32 v2, 20, v2
	v_and_b32_e32 v6, 0x80000000, v6
	v_lshl_add_u32 v4, v4, 23, v62
	v_or3_b32 v2, v6, v4, v2
.LBB6_7004:                             ;   in Loop: Header=BB6_6244 Depth=2
	s_or_b64 exec, exec, s[78:79]
.LBB6_7005:                             ;   in Loop: Header=BB6_6244 Depth=2
	s_or_b64 exec, exec, s[76:77]
.LBB6_7006:                             ;   in Loop: Header=BB6_6244 Depth=2
	s_or_b64 exec, exec, s[18:19]
	v_mul_f32_e32 v4, v17, v2
	v_and_b32_e32 v50, 0x7f800000, v4
	v_cmp_ne_u64_e32 vcc, s[46:47], v[50:51]
                                        ; implicit-def: $vgpr2
                                        ; kill: killed $vgpr2
	s_and_saveexec_b64 s[18:19], vcc
	s_xor_b64 s[76:77], exec, s[18:19]
	s_cbranch_execz .LBB6_7020
; %bb.7007:                             ;   in Loop: Header=BB6_6244 Depth=2
	v_and_b32_e32 v50, 0x7fffffff, v4
	v_cmp_gt_u64_e32 vcc, s[56:57], v[50:51]
	v_and_b32_sdwa v2, v4, s50 dst_sel:DWORD dst_unused:UNUSED_PAD src0_sel:BYTE_3 src1_sel:DWORD
                                        ; implicit-def: $vgpr6
                                        ; kill: killed $vgpr6
	s_and_saveexec_b64 s[18:19], vcc
	s_xor_b64 s[78:79], exec, s[18:19]
	s_cbranch_execz .LBB6_7017
; %bb.7008:                             ;   in Loop: Header=BB6_6244 Depth=2
	v_mov_b32_e32 v6, 0
	v_cmp_ne_u32_e32 vcc, 0, v4
	buffer_store_dword v6, off, s[0:3], s33 offset:228 ; 4-byte Folded Spill
	s_and_saveexec_b64 s[88:89], vcc
	s_cbranch_execz .LBB6_7016
; %bb.7009:                             ;   in Loop: Header=BB6_6244 Depth=2
	v_and_b32_e32 v9, 0x7fffff, v4
	v_bfe_u32 v4, v4, 23, 8
	v_cmp_gt_u32_e64 s[18:19], s51, v4
	v_sub_u32_e32 v6, 0x79, v4
	v_cmp_eq_u32_e32 vcc, 0, v4
	v_cndmask_b32_e64 v6, 0, v6, s[18:19]
	v_mov_b32_e32 v15, 0x78
	v_or_b32_e32 v14, 0x800000, v9
	v_cndmask_b32_e32 v6, v6, v15, vcc
	v_cndmask_b32_e32 v50, v14, v9, vcc
	v_add_u32_e32 v9, 20, v6
	v_lshlrev_b64 v[14:15], v9, -1
	v_add_u32_e32 v9, 19, v6
	v_lshlrev_b64 v[18:19], v9, 1
	v_bfi_b32 v15, v15, 0, 0
	v_bfi_b32 v14, v14, 0, v50
	v_cmp_eq_u64_e64 s[18:19], v[14:15], v[18:19]
	v_lshrrev_b64 v[14:15], v6, v[50:51]
	v_mov_b32_e32 v16, v15
	v_mov_b32_e32 v15, v14
	s_and_saveexec_b64 s[90:91], s[18:19]
; %bb.7010:                             ;   in Loop: Header=BB6_6244 Depth=2
	v_bfe_u32 v9, v14, 20, 1
	v_add_co_u32_e64 v9, s[18:19], v14, v9
	v_add_co_u32_e64 v15, s[18:19], -1, v9
; %bb.7011:                             ;   in Loop: Header=BB6_6244 Depth=2
	s_or_b64 exec, exec, s[90:91]
	v_add_u32_e32 v4, 0xffffff81, v4
	v_mov_b32_e32 v9, 0xffffff82
	v_cndmask_b32_e32 v4, v4, v9, vcc
	v_lshrrev_b32_e32 v9, 23, v14
	v_add3_u32 v9, v6, v4, v9
	v_add_u32_e32 v6, 6, v9
	v_and_b32_e32 v4, 0xfffff, v15
	v_add_u32_e32 v50, v4, v14
	v_cmp_ne_u32_e32 vcc, 0, v6
                                        ; implicit-def: $vgpr14_vgpr15
                                        ; implicit-def: $vgpr4
	s_and_saveexec_b64 s[18:19], vcc
	s_xor_b64 s[18:19], exec, s[18:19]
; %bb.7012:                             ;   in Loop: Header=BB6_6244 Depth=2
	v_cmp_lt_u64_e32 vcc, s[58:59], v[50:51]
	v_add_u32_e32 v4, 7, v9
	v_cndmask_b32_e32 v4, v6, v4, vcc
	v_cndmask_b32_e64 v6, 0, 1, vcc
	v_lshrrev_b64 v[14:15], v6, v[50:51]
; %bb.7013:                             ;   in Loop: Header=BB6_6244 Depth=2
	s_andn2_saveexec_b64 s[18:19], s[18:19]
; %bb.7014:                             ;   in Loop: Header=BB6_6244 Depth=2
	v_mov_b32_e32 v14, v50
	v_bfe_u32 v4, v50, 23, 1
	v_mov_b32_e32 v15, v51
; %bb.7015:                             ;   in Loop: Header=BB6_6244 Depth=2
	s_or_b64 exec, exec, s[18:19]
	v_lshrrev_b64 v[14:15], 20, v[14:15]
	v_cmp_gt_i32_e32 vcc, 16, v4
	v_cndmask_b32_e32 v15, 0, v15, vcc
	v_cndmask_b32_e32 v14, 7, v14, vcc
	v_cmp_eq_u32_e32 vcc, 0, v4
	v_min_i32_e32 v4, 15, v4
	v_cmp_eq_u64_e64 s[18:19], 0, v[14:15]
	v_lshlrev_b32_e32 v4, 3, v4
	v_and_b32_e32 v4, 0xf8, v4
	v_and_or_b32 v4, v14, 7, v4
	s_and_b64 s[18:19], vcc, s[18:19]
	v_cndmask_b32_e64 v4, v4, 0, s[18:19]
	v_or_b32_e32 v2, v4, v2
	buffer_store_dword v2, off, s[0:3], s33 offset:228 ; 4-byte Folded Spill
.LBB6_7016:                             ;   in Loop: Header=BB6_6244 Depth=2
	s_or_b64 exec, exec, s[88:89]
                                        ; implicit-def: $vgpr2
.LBB6_7017:                             ;   in Loop: Header=BB6_6244 Depth=2
	s_andn2_saveexec_b64 s[18:19], s[78:79]
	s_cbranch_execz .LBB6_7019
; %bb.7018:                             ;   in Loop: Header=BB6_6244 Depth=2
	v_or_b32_e32 v2, 0x7e, v2
	buffer_store_dword v2, off, s[0:3], s33 offset:228 ; 4-byte Folded Spill
.LBB6_7019:                             ;   in Loop: Header=BB6_6244 Depth=2
	s_or_b64 exec, exec, s[18:19]
                                        ; implicit-def: $vgpr4
.LBB6_7020:                             ;   in Loop: Header=BB6_6244 Depth=2
	s_andn2_saveexec_b64 s[18:19], s[76:77]
	s_cbranch_execz .LBB6_7022
; %bb.7021:                             ;   in Loop: Header=BB6_6244 Depth=2
	v_or_b32_sdwa v2, v4, s39 dst_sel:DWORD dst_unused:UNUSED_PAD src0_sel:BYTE_3 src1_sel:DWORD
	buffer_store_dword v2, off, s[0:3], s33 offset:228 ; 4-byte Folded Spill
.LBB6_7022:                             ;   in Loop: Header=BB6_6244 Depth=2
	s_or_b64 exec, exec, s[18:19]
	v_cmp_lt_u32_e32 vcc, s61, v10
	v_mov_b32_e32 v2, 0
	s_and_saveexec_b64 s[18:19], vcc
	s_cbranch_execz .LBB6_7028
; %bb.7023:                             ;   in Loop: Header=BB6_6244 Depth=2
	v_lshrrev_b32_e32 v14, 24, v10
	v_cmp_ne_u32_e32 vcc, s50, v14
	v_bfrev_b32_e32 v2, 1
	s_and_saveexec_b64 s[76:77], vcc
	s_cbranch_execz .LBB6_7027
; %bb.7024:                             ;   in Loop: Header=BB6_6244 Depth=2
	v_bfe_u32 v4, v10, 24, 7
	v_cmp_ne_u32_e32 vcc, s39, v4
	v_mov_b32_e32 v2, 0x7f800001
	s_and_saveexec_b64 s[78:79], vcc
	s_cbranch_execz .LBB6_7026
; %bb.7025:                             ;   in Loop: Header=BB6_6244 Depth=2
	v_and_b32_e32 v2, 7, v14
	v_lshrrev_b32_e32 v6, 3, v4
	v_cmp_gt_u32_e32 vcc, 8, v4
	v_ffbh_u32_e32 v4, v2
	v_min_u32_e32 v4, 32, v4
	v_subrev_u32_e32 v9, 28, v4
	v_lshlrev_b64 v[15:16], v9, v[14:15]
	v_sub_u32_e32 v4, 29, v4
	v_and_b32_e32 v9, 7, v15
	v_cndmask_b32_e32 v4, v6, v4, vcc
	v_cndmask_b32_e32 v2, v2, v9, vcc
	v_lshlrev_b32_e32 v6, 24, v14
	v_lshlrev_b32_e32 v2, 20, v2
	v_and_b32_e32 v6, 0x80000000, v6
	v_lshl_add_u32 v4, v4, 23, v62
	v_or3_b32 v2, v6, v4, v2
.LBB6_7026:                             ;   in Loop: Header=BB6_6244 Depth=2
	s_or_b64 exec, exec, s[78:79]
.LBB6_7027:                             ;   in Loop: Header=BB6_6244 Depth=2
	s_or_b64 exec, exec, s[76:77]
.LBB6_7028:                             ;   in Loop: Header=BB6_6244 Depth=2
	s_or_b64 exec, exec, s[18:19]
	v_mul_f32_e32 v4, v17, v2
	v_and_b32_e32 v50, 0x7f800000, v4
	v_cmp_ne_u64_e32 vcc, s[46:47], v[50:51]
                                        ; implicit-def: $vgpr2
                                        ; kill: killed $vgpr2
	s_and_saveexec_b64 s[18:19], vcc
	s_xor_b64 s[76:77], exec, s[18:19]
	s_cbranch_execz .LBB6_7042
; %bb.7029:                             ;   in Loop: Header=BB6_6244 Depth=2
	v_and_b32_e32 v50, 0x7fffffff, v4
	v_cmp_gt_u64_e32 vcc, s[56:57], v[50:51]
	v_and_b32_sdwa v2, v4, s50 dst_sel:DWORD dst_unused:UNUSED_PAD src0_sel:BYTE_3 src1_sel:DWORD
                                        ; implicit-def: $vgpr6
                                        ; kill: killed $vgpr6
	s_and_saveexec_b64 s[18:19], vcc
	s_xor_b64 s[78:79], exec, s[18:19]
	s_cbranch_execz .LBB6_7039
; %bb.7030:                             ;   in Loop: Header=BB6_6244 Depth=2
	v_mov_b32_e32 v6, 0
	v_cmp_ne_u32_e32 vcc, 0, v4
	buffer_store_dword v6, off, s[0:3], s33 offset:248 ; 4-byte Folded Spill
	s_and_saveexec_b64 s[88:89], vcc
	s_cbranch_execz .LBB6_7038
; %bb.7031:                             ;   in Loop: Header=BB6_6244 Depth=2
	v_and_b32_e32 v9, 0x7fffff, v4
	v_bfe_u32 v4, v4, 23, 8
	v_cmp_gt_u32_e64 s[18:19], s51, v4
	v_sub_u32_e32 v6, 0x79, v4
	v_cmp_eq_u32_e32 vcc, 0, v4
	v_cndmask_b32_e64 v6, 0, v6, s[18:19]
	v_mov_b32_e32 v15, 0x78
	v_or_b32_e32 v14, 0x800000, v9
	v_cndmask_b32_e32 v6, v6, v15, vcc
	v_cndmask_b32_e32 v50, v14, v9, vcc
	v_add_u32_e32 v9, 20, v6
	v_lshlrev_b64 v[14:15], v9, -1
	v_add_u32_e32 v9, 19, v6
	v_lshlrev_b64 v[18:19], v9, 1
	v_bfi_b32 v15, v15, 0, 0
	v_bfi_b32 v14, v14, 0, v50
	v_cmp_eq_u64_e64 s[18:19], v[14:15], v[18:19]
	v_lshrrev_b64 v[14:15], v6, v[50:51]
	v_mov_b32_e32 v16, v15
	v_mov_b32_e32 v15, v14
	s_and_saveexec_b64 s[90:91], s[18:19]
; %bb.7032:                             ;   in Loop: Header=BB6_6244 Depth=2
	v_bfe_u32 v9, v14, 20, 1
	v_add_co_u32_e64 v9, s[18:19], v14, v9
	v_add_co_u32_e64 v15, s[18:19], -1, v9
; %bb.7033:                             ;   in Loop: Header=BB6_6244 Depth=2
	s_or_b64 exec, exec, s[90:91]
	v_add_u32_e32 v4, 0xffffff81, v4
	v_mov_b32_e32 v9, 0xffffff82
	v_cndmask_b32_e32 v4, v4, v9, vcc
	v_lshrrev_b32_e32 v9, 23, v14
	v_add3_u32 v9, v6, v4, v9
	v_add_u32_e32 v6, 6, v9
	v_and_b32_e32 v4, 0xfffff, v15
	v_add_u32_e32 v50, v4, v14
	v_cmp_ne_u32_e32 vcc, 0, v6
                                        ; implicit-def: $vgpr14_vgpr15
                                        ; implicit-def: $vgpr4
	s_and_saveexec_b64 s[18:19], vcc
	s_xor_b64 s[18:19], exec, s[18:19]
; %bb.7034:                             ;   in Loop: Header=BB6_6244 Depth=2
	v_cmp_lt_u64_e32 vcc, s[58:59], v[50:51]
	v_add_u32_e32 v4, 7, v9
	v_cndmask_b32_e32 v4, v6, v4, vcc
	v_cndmask_b32_e64 v6, 0, 1, vcc
	v_lshrrev_b64 v[14:15], v6, v[50:51]
; %bb.7035:                             ;   in Loop: Header=BB6_6244 Depth=2
	s_andn2_saveexec_b64 s[18:19], s[18:19]
; %bb.7036:                             ;   in Loop: Header=BB6_6244 Depth=2
	v_mov_b32_e32 v14, v50
	v_bfe_u32 v4, v50, 23, 1
	v_mov_b32_e32 v15, v51
; %bb.7037:                             ;   in Loop: Header=BB6_6244 Depth=2
	s_or_b64 exec, exec, s[18:19]
	v_lshrrev_b64 v[14:15], 20, v[14:15]
	v_cmp_gt_i32_e32 vcc, 16, v4
	v_cndmask_b32_e32 v15, 0, v15, vcc
	v_cndmask_b32_e32 v14, 7, v14, vcc
	v_cmp_eq_u32_e32 vcc, 0, v4
	v_min_i32_e32 v4, 15, v4
	v_cmp_eq_u64_e64 s[18:19], 0, v[14:15]
	v_lshlrev_b32_e32 v4, 3, v4
	v_and_b32_e32 v4, 0xf8, v4
	v_and_or_b32 v4, v14, 7, v4
	s_and_b64 s[18:19], vcc, s[18:19]
	v_cndmask_b32_e64 v4, v4, 0, s[18:19]
	v_or_b32_e32 v2, v4, v2
	buffer_store_dword v2, off, s[0:3], s33 offset:248 ; 4-byte Folded Spill
.LBB6_7038:                             ;   in Loop: Header=BB6_6244 Depth=2
	s_or_b64 exec, exec, s[88:89]
                                        ; implicit-def: $vgpr2
.LBB6_7039:                             ;   in Loop: Header=BB6_6244 Depth=2
	s_andn2_saveexec_b64 s[18:19], s[78:79]
	s_cbranch_execz .LBB6_7041
; %bb.7040:                             ;   in Loop: Header=BB6_6244 Depth=2
	v_or_b32_e32 v2, 0x7e, v2
	buffer_store_dword v2, off, s[0:3], s33 offset:248 ; 4-byte Folded Spill
.LBB6_7041:                             ;   in Loop: Header=BB6_6244 Depth=2
	s_or_b64 exec, exec, s[18:19]
                                        ; implicit-def: $vgpr4
.LBB6_7042:                             ;   in Loop: Header=BB6_6244 Depth=2
	s_andn2_saveexec_b64 s[18:19], s[76:77]
	s_cbranch_execz .LBB6_7044
; %bb.7043:                             ;   in Loop: Header=BB6_6244 Depth=2
	v_or_b32_sdwa v2, v4, s39 dst_sel:DWORD dst_unused:UNUSED_PAD src0_sel:BYTE_3 src1_sel:DWORD
	buffer_store_dword v2, off, s[0:3], s33 offset:248 ; 4-byte Folded Spill
.LBB6_7044:                             ;   in Loop: Header=BB6_6244 Depth=2
	s_or_b64 exec, exec, s[18:19]
	v_mov_b32_e32 v50, v11
	v_cmp_ne_u16_sdwa s[76:77], v11, v51 src0_sel:BYTE_0 src1_sel:DWORD
	v_mov_b32_e32 v2, 0
	s_and_saveexec_b64 s[18:19], s[76:77]
	s_cbranch_execz .LBB6_7050
; %bb.7045:                             ;   in Loop: Header=BB6_6244 Depth=2
	v_cmp_ne_u16_sdwa s[78:79], v11, s50 src0_sel:BYTE_0 src1_sel:DWORD
	v_bfrev_b32_e32 v2, 1
	s_and_saveexec_b64 s[76:77], s[78:79]
	s_cbranch_execz .LBB6_7049
; %bb.7046:                             ;   in Loop: Header=BB6_6244 Depth=2
	v_and_b32_e32 v4, 0x7f, v11
	v_cmp_ne_u32_e32 vcc, s39, v4
	v_mov_b32_e32 v2, 0x7f800001
	s_and_saveexec_b64 s[78:79], vcc
	s_cbranch_execz .LBB6_7048
; %bb.7047:                             ;   in Loop: Header=BB6_6244 Depth=2
	v_and_b32_e32 v2, 7, v11
	v_ffbh_u32_e32 v2, v2
	v_min_u32_e32 v2, 32, v2
	v_lshrrev_b32_e32 v6, 3, v4
	v_cmp_gt_u32_e32 vcc, 8, v4
	v_subrev_u32_e32 v4, 28, v2
	v_cndmask_b32_e32 v4, 0, v4, vcc
	v_lshlrev_b64 v[14:15], v4, v[50:51]
	v_sub_u32_e32 v2, 29, v2
	v_cndmask_b32_e32 v2, v6, v2, vcc
	v_lshlrev_b32_e32 v4, 20, v14
	v_lshlrev_b32_e32 v6, 24, v50
	v_and_b32_e32 v4, 0x700000, v4
	v_and_b32_e32 v6, 0x80000000, v6
	v_lshl_add_u32 v2, v2, 23, v62
	v_or3_b32 v2, v6, v2, v4
.LBB6_7048:                             ;   in Loop: Header=BB6_6244 Depth=2
	s_or_b64 exec, exec, s[78:79]
.LBB6_7049:                             ;   in Loop: Header=BB6_6244 Depth=2
	s_or_b64 exec, exec, s[76:77]
.LBB6_7050:                             ;   in Loop: Header=BB6_6244 Depth=2
	s_or_b64 exec, exec, s[18:19]
	v_mul_f32_e32 v4, v17, v2
	v_and_b32_e32 v14, 0x7f800000, v4
	v_mov_b32_e32 v15, v51
	v_cmp_ne_u64_e32 vcc, s[46:47], v[14:15]
                                        ; implicit-def: $vgpr61
	s_and_saveexec_b64 s[18:19], vcc
	s_xor_b64 s[76:77], exec, s[18:19]
	s_cbranch_execz .LBB6_7064
; %bb.7051:                             ;   in Loop: Header=BB6_6244 Depth=2
	v_and_b32_e32 v14, 0x7fffffff, v4
	v_mov_b32_e32 v15, v51
	v_cmp_gt_u64_e32 vcc, s[56:57], v[14:15]
	v_and_b32_sdwa v2, v4, s50 dst_sel:DWORD dst_unused:UNUSED_PAD src0_sel:BYTE_3 src1_sel:DWORD
                                        ; implicit-def: $vgpr61
	s_and_saveexec_b64 s[18:19], vcc
	s_xor_b64 s[78:79], exec, s[18:19]
	s_cbranch_execz .LBB6_7061
; %bb.7052:                             ;   in Loop: Header=BB6_6244 Depth=2
	v_mov_b32_e32 v61, 0
	v_cmp_ne_u32_e32 vcc, 0, v4
	s_and_saveexec_b64 s[88:89], vcc
	s_cbranch_execz .LBB6_7060
; %bb.7053:                             ;   in Loop: Header=BB6_6244 Depth=2
	v_and_b32_e32 v9, 0x7fffff, v4
	v_bfe_u32 v4, v4, 23, 8
	v_cmp_gt_u32_e64 s[18:19], s51, v4
	v_sub_u32_e32 v6, 0x79, v4
	v_cmp_eq_u32_e32 vcc, 0, v4
	v_cndmask_b32_e64 v6, 0, v6, s[18:19]
	v_mov_b32_e32 v15, 0x78
	v_or_b32_e32 v14, 0x800000, v9
	v_cndmask_b32_e32 v6, v6, v15, vcc
	v_cndmask_b32_e32 v14, v14, v9, vcc
	v_add_u32_e32 v9, 20, v6
	v_lshlrev_b64 v[18:19], v9, -1
	v_mov_b32_e32 v15, v51
	v_add_u32_e32 v9, 19, v6
	v_bfi_b32 v18, v18, 0, v14
	v_lshlrev_b64 v[20:21], v9, 1
	v_lshrrev_b64 v[14:15], v6, v[14:15]
	v_bfi_b32 v19, v19, 0, 0
	v_cmp_eq_u64_e64 s[18:19], v[18:19], v[20:21]
	v_mov_b32_e32 v16, v15
	v_mov_b32_e32 v15, v14
	s_and_saveexec_b64 s[90:91], s[18:19]
; %bb.7054:                             ;   in Loop: Header=BB6_6244 Depth=2
	v_bfe_u32 v9, v14, 20, 1
	v_add_co_u32_e64 v9, s[18:19], v14, v9
	v_add_co_u32_e64 v15, s[18:19], -1, v9
; %bb.7055:                             ;   in Loop: Header=BB6_6244 Depth=2
	s_or_b64 exec, exec, s[90:91]
	v_add_u32_e32 v4, 0xffffff81, v4
	v_mov_b32_e32 v9, 0xffffff82
	v_cndmask_b32_e32 v4, v4, v9, vcc
	v_lshrrev_b32_e32 v9, 23, v14
	v_add3_u32 v9, v6, v4, v9
	v_add_u32_e32 v6, 6, v9
	v_and_b32_e32 v4, 0xfffff, v15
	v_add_u32_e32 v14, v4, v14
	v_mov_b32_e32 v15, v51
	v_cmp_ne_u32_e32 vcc, 0, v6
                                        ; implicit-def: $vgpr4
	s_and_saveexec_b64 s[18:19], vcc
	s_xor_b64 s[18:19], exec, s[18:19]
; %bb.7056:                             ;   in Loop: Header=BB6_6244 Depth=2
	v_cmp_lt_u64_e32 vcc, s[58:59], v[14:15]
	v_add_u32_e32 v4, 7, v9
	v_cndmask_b32_e32 v4, v6, v4, vcc
	v_cndmask_b32_e64 v6, 0, 1, vcc
	v_lshrrev_b64 v[14:15], v6, v[14:15]
; %bb.7057:                             ;   in Loop: Header=BB6_6244 Depth=2
	s_andn2_saveexec_b64 s[18:19], s[18:19]
; %bb.7058:                             ;   in Loop: Header=BB6_6244 Depth=2
	v_bfe_u32 v4, v14, 23, 1
; %bb.7059:                             ;   in Loop: Header=BB6_6244 Depth=2
	s_or_b64 exec, exec, s[18:19]
	v_lshrrev_b64 v[14:15], 20, v[14:15]
	v_cmp_gt_i32_e32 vcc, 16, v4
	v_cndmask_b32_e32 v15, 0, v15, vcc
	v_cndmask_b32_e32 v14, 7, v14, vcc
	v_cmp_eq_u32_e32 vcc, 0, v4
	v_min_i32_e32 v4, 15, v4
	v_cmp_eq_u64_e64 s[18:19], 0, v[14:15]
	v_lshlrev_b32_e32 v4, 3, v4
	v_and_b32_e32 v4, 0xf8, v4
	v_and_or_b32 v4, v14, 7, v4
	s_and_b64 s[18:19], vcc, s[18:19]
	v_cndmask_b32_e64 v4, v4, 0, s[18:19]
	v_or_b32_e32 v61, v4, v2
.LBB6_7060:                             ;   in Loop: Header=BB6_6244 Depth=2
	s_or_b64 exec, exec, s[88:89]
                                        ; implicit-def: $vgpr2
.LBB6_7061:                             ;   in Loop: Header=BB6_6244 Depth=2
	s_andn2_saveexec_b64 s[18:19], s[78:79]
; %bb.7062:                             ;   in Loop: Header=BB6_6244 Depth=2
	v_or_b32_e32 v61, 0x7e, v2
; %bb.7063:                             ;   in Loop: Header=BB6_6244 Depth=2
	s_or_b64 exec, exec, s[18:19]
                                        ; implicit-def: $vgpr4
.LBB6_7064:                             ;   in Loop: Header=BB6_6244 Depth=2
	s_andn2_saveexec_b64 s[18:19], s[76:77]
; %bb.7065:                             ;   in Loop: Header=BB6_6244 Depth=2
	v_or_b32_sdwa v61, v4, s39 dst_sel:DWORD dst_unused:UNUSED_PAD src0_sel:BYTE_3 src1_sel:DWORD
; %bb.7066:                             ;   in Loop: Header=BB6_6244 Depth=2
	s_or_b64 exec, exec, s[18:19]
	v_lshrrev_b16_e32 v14, 8, v50
	v_cmp_ne_u16_e32 vcc, 0, v14
	v_mov_b32_e32 v2, 0
	s_and_saveexec_b64 s[18:19], vcc
	s_cbranch_execz .LBB6_7072
; %bb.7067:                             ;   in Loop: Header=BB6_6244 Depth=2
	v_cmp_ne_u16_e32 vcc, s50, v14
	v_bfrev_b32_e32 v2, 1
	s_and_saveexec_b64 s[76:77], vcc
	s_cbranch_execz .LBB6_7071
; %bb.7068:                             ;   in Loop: Header=BB6_6244 Depth=2
	v_and_b32_e32 v4, 0x7f, v14
	v_cmp_ne_u32_e32 vcc, s39, v4
	v_mov_b32_e32 v2, 0x7f800001
	s_and_saveexec_b64 s[78:79], vcc
	s_cbranch_execz .LBB6_7070
; %bb.7069:                             ;   in Loop: Header=BB6_6244 Depth=2
	v_and_b32_e32 v2, 7, v14
	v_lshrrev_b32_e32 v6, 3, v4
	v_cmp_gt_u32_e32 vcc, 8, v4
	v_ffbh_u32_e32 v4, v2
	v_min_u32_e32 v4, 32, v4
	v_subrev_u32_e32 v9, 28, v4
	v_lshlrev_b64 v[14:15], v9, v[14:15]
	v_sub_u32_e32 v4, 29, v4
	v_and_b32_e32 v9, 7, v14
	v_cndmask_b32_e32 v4, v6, v4, vcc
	v_cndmask_b32_e32 v2, v2, v9, vcc
	v_lshlrev_b32_e32 v6, 16, v50
	v_lshlrev_b32_e32 v2, 20, v2
	v_and_b32_e32 v6, 0x80000000, v6
	v_lshl_add_u32 v4, v4, 23, v62
	v_or3_b32 v2, v6, v4, v2
.LBB6_7070:                             ;   in Loop: Header=BB6_6244 Depth=2
	s_or_b64 exec, exec, s[78:79]
.LBB6_7071:                             ;   in Loop: Header=BB6_6244 Depth=2
	s_or_b64 exec, exec, s[76:77]
.LBB6_7072:                             ;   in Loop: Header=BB6_6244 Depth=2
	s_or_b64 exec, exec, s[18:19]
	v_mul_f32_e32 v4, v17, v2
	v_and_b32_e32 v50, 0x7f800000, v4
	v_cmp_ne_u64_e32 vcc, s[46:47], v[50:51]
                                        ; implicit-def: $vgpr2
                                        ; kill: killed $vgpr2
	s_and_saveexec_b64 s[18:19], vcc
	s_xor_b64 s[76:77], exec, s[18:19]
	s_cbranch_execz .LBB6_7086
; %bb.7073:                             ;   in Loop: Header=BB6_6244 Depth=2
	v_and_b32_e32 v50, 0x7fffffff, v4
	v_cmp_gt_u64_e32 vcc, s[56:57], v[50:51]
	v_and_b32_sdwa v2, v4, s50 dst_sel:DWORD dst_unused:UNUSED_PAD src0_sel:BYTE_3 src1_sel:DWORD
                                        ; implicit-def: $vgpr6
                                        ; kill: killed $vgpr6
	s_and_saveexec_b64 s[18:19], vcc
	s_xor_b64 s[78:79], exec, s[18:19]
	s_cbranch_execz .LBB6_7083
; %bb.7074:                             ;   in Loop: Header=BB6_6244 Depth=2
	v_mov_b32_e32 v6, 0
	v_cmp_ne_u32_e32 vcc, 0, v4
	buffer_store_dword v6, off, s[0:3], s33 offset:192 ; 4-byte Folded Spill
	s_and_saveexec_b64 s[88:89], vcc
	s_cbranch_execz .LBB6_7082
; %bb.7075:                             ;   in Loop: Header=BB6_6244 Depth=2
	v_and_b32_e32 v9, 0x7fffff, v4
	v_bfe_u32 v4, v4, 23, 8
	v_cmp_gt_u32_e64 s[18:19], s51, v4
	v_sub_u32_e32 v6, 0x79, v4
	v_cmp_eq_u32_e32 vcc, 0, v4
	v_cndmask_b32_e64 v6, 0, v6, s[18:19]
	v_mov_b32_e32 v15, 0x78
	v_or_b32_e32 v14, 0x800000, v9
	v_cndmask_b32_e32 v6, v6, v15, vcc
	v_cndmask_b32_e32 v50, v14, v9, vcc
	v_add_u32_e32 v9, 20, v6
	v_lshlrev_b64 v[14:15], v9, -1
	v_add_u32_e32 v9, 19, v6
	v_lshlrev_b64 v[18:19], v9, 1
	v_bfi_b32 v15, v15, 0, 0
	v_bfi_b32 v14, v14, 0, v50
	v_cmp_eq_u64_e64 s[18:19], v[14:15], v[18:19]
	v_lshrrev_b64 v[14:15], v6, v[50:51]
	v_mov_b32_e32 v16, v15
	v_mov_b32_e32 v15, v14
	s_and_saveexec_b64 s[90:91], s[18:19]
; %bb.7076:                             ;   in Loop: Header=BB6_6244 Depth=2
	v_bfe_u32 v9, v14, 20, 1
	v_add_co_u32_e64 v9, s[18:19], v14, v9
	v_add_co_u32_e64 v15, s[18:19], -1, v9
; %bb.7077:                             ;   in Loop: Header=BB6_6244 Depth=2
	s_or_b64 exec, exec, s[90:91]
	v_add_u32_e32 v4, 0xffffff81, v4
	v_mov_b32_e32 v9, 0xffffff82
	v_cndmask_b32_e32 v4, v4, v9, vcc
	v_lshrrev_b32_e32 v9, 23, v14
	v_add3_u32 v9, v6, v4, v9
	v_add_u32_e32 v6, 6, v9
	v_and_b32_e32 v4, 0xfffff, v15
	v_add_u32_e32 v50, v4, v14
	v_cmp_ne_u32_e32 vcc, 0, v6
                                        ; implicit-def: $vgpr14_vgpr15
                                        ; implicit-def: $vgpr4
	s_and_saveexec_b64 s[18:19], vcc
	s_xor_b64 s[18:19], exec, s[18:19]
; %bb.7078:                             ;   in Loop: Header=BB6_6244 Depth=2
	v_cmp_lt_u64_e32 vcc, s[58:59], v[50:51]
	v_add_u32_e32 v4, 7, v9
	v_cndmask_b32_e32 v4, v6, v4, vcc
	v_cndmask_b32_e64 v6, 0, 1, vcc
	v_lshrrev_b64 v[14:15], v6, v[50:51]
; %bb.7079:                             ;   in Loop: Header=BB6_6244 Depth=2
	s_andn2_saveexec_b64 s[18:19], s[18:19]
; %bb.7080:                             ;   in Loop: Header=BB6_6244 Depth=2
	v_mov_b32_e32 v14, v50
	v_bfe_u32 v4, v50, 23, 1
	v_mov_b32_e32 v15, v51
; %bb.7081:                             ;   in Loop: Header=BB6_6244 Depth=2
	s_or_b64 exec, exec, s[18:19]
	v_lshrrev_b64 v[14:15], 20, v[14:15]
	v_cmp_gt_i32_e32 vcc, 16, v4
	v_cndmask_b32_e32 v15, 0, v15, vcc
	v_cndmask_b32_e32 v14, 7, v14, vcc
	v_cmp_eq_u32_e32 vcc, 0, v4
	v_min_i32_e32 v4, 15, v4
	v_cmp_eq_u64_e64 s[18:19], 0, v[14:15]
	v_lshlrev_b32_e32 v4, 3, v4
	v_and_b32_e32 v4, 0xf8, v4
	v_and_or_b32 v4, v14, 7, v4
	s_and_b64 s[18:19], vcc, s[18:19]
	v_cndmask_b32_e64 v4, v4, 0, s[18:19]
	v_or_b32_e32 v2, v4, v2
	buffer_store_dword v2, off, s[0:3], s33 offset:192 ; 4-byte Folded Spill
.LBB6_7082:                             ;   in Loop: Header=BB6_6244 Depth=2
	s_or_b64 exec, exec, s[88:89]
                                        ; implicit-def: $vgpr2
.LBB6_7083:                             ;   in Loop: Header=BB6_6244 Depth=2
	s_andn2_saveexec_b64 s[18:19], s[78:79]
	s_cbranch_execz .LBB6_7085
; %bb.7084:                             ;   in Loop: Header=BB6_6244 Depth=2
	v_or_b32_e32 v2, 0x7e, v2
	buffer_store_dword v2, off, s[0:3], s33 offset:192 ; 4-byte Folded Spill
.LBB6_7085:                             ;   in Loop: Header=BB6_6244 Depth=2
	s_or_b64 exec, exec, s[18:19]
                                        ; implicit-def: $vgpr4
.LBB6_7086:                             ;   in Loop: Header=BB6_6244 Depth=2
	s_andn2_saveexec_b64 s[18:19], s[76:77]
	s_cbranch_execz .LBB6_7088
; %bb.7087:                             ;   in Loop: Header=BB6_6244 Depth=2
	v_or_b32_sdwa v2, v4, s39 dst_sel:DWORD dst_unused:UNUSED_PAD src0_sel:BYTE_3 src1_sel:DWORD
	buffer_store_dword v2, off, s[0:3], s33 offset:192 ; 4-byte Folded Spill
.LBB6_7088:                             ;   in Loop: Header=BB6_6244 Depth=2
	s_or_b64 exec, exec, s[18:19]
	v_lshrrev_b32_e32 v14, 16, v11
	v_cmp_ne_u16_sdwa s[76:77], v14, v51 src0_sel:BYTE_0 src1_sel:DWORD
	v_mov_b32_e32 v2, 0
	s_and_saveexec_b64 s[18:19], s[76:77]
	s_cbranch_execz .LBB6_7094
; %bb.7089:                             ;   in Loop: Header=BB6_6244 Depth=2
	v_cmp_ne_u16_sdwa s[78:79], v14, s50 src0_sel:BYTE_0 src1_sel:DWORD
	v_bfrev_b32_e32 v2, 1
	s_and_saveexec_b64 s[76:77], s[78:79]
	s_cbranch_execz .LBB6_7093
; %bb.7090:                             ;   in Loop: Header=BB6_6244 Depth=2
	v_bfe_u32 v4, v11, 16, 7
	v_cmp_ne_u32_e32 vcc, s39, v4
	v_mov_b32_e32 v2, 0x7f800001
	s_and_saveexec_b64 s[78:79], vcc
	s_cbranch_execz .LBB6_7092
; %bb.7091:                             ;   in Loop: Header=BB6_6244 Depth=2
	v_and_b32_e32 v2, 7, v14
	v_lshrrev_b32_e32 v6, 3, v4
	v_cmp_gt_u32_e32 vcc, 8, v4
	v_ffbh_u32_e32 v4, v2
	v_min_u32_e32 v4, 32, v4
	v_subrev_u32_e32 v9, 28, v4
	v_lshlrev_b64 v[15:16], v9, v[14:15]
	v_sub_u32_e32 v4, 29, v4
	v_and_b32_e32 v9, 7, v15
	v_cndmask_b32_e32 v4, v6, v4, vcc
	v_cndmask_b32_e32 v2, v2, v9, vcc
	v_lshlrev_b32_e32 v6, 24, v14
	v_lshlrev_b32_e32 v2, 20, v2
	v_and_b32_e32 v6, 0x80000000, v6
	v_lshl_add_u32 v4, v4, 23, v62
	v_or3_b32 v2, v6, v4, v2
.LBB6_7092:                             ;   in Loop: Header=BB6_6244 Depth=2
	s_or_b64 exec, exec, s[78:79]
.LBB6_7093:                             ;   in Loop: Header=BB6_6244 Depth=2
	s_or_b64 exec, exec, s[76:77]
.LBB6_7094:                             ;   in Loop: Header=BB6_6244 Depth=2
	s_or_b64 exec, exec, s[18:19]
	v_mul_f32_e32 v4, v17, v2
	v_and_b32_e32 v50, 0x7f800000, v4
	v_cmp_ne_u64_e32 vcc, s[46:47], v[50:51]
                                        ; implicit-def: $vgpr2
                                        ; kill: killed $vgpr2
	s_and_saveexec_b64 s[18:19], vcc
	s_xor_b64 s[76:77], exec, s[18:19]
	s_cbranch_execz .LBB6_7108
; %bb.7095:                             ;   in Loop: Header=BB6_6244 Depth=2
	v_and_b32_e32 v50, 0x7fffffff, v4
	v_cmp_gt_u64_e32 vcc, s[56:57], v[50:51]
	v_and_b32_sdwa v2, v4, s50 dst_sel:DWORD dst_unused:UNUSED_PAD src0_sel:BYTE_3 src1_sel:DWORD
                                        ; implicit-def: $vgpr6
                                        ; kill: killed $vgpr6
	s_and_saveexec_b64 s[18:19], vcc
	s_xor_b64 s[78:79], exec, s[18:19]
	s_cbranch_execz .LBB6_7105
; %bb.7096:                             ;   in Loop: Header=BB6_6244 Depth=2
	v_mov_b32_e32 v6, 0
	v_cmp_ne_u32_e32 vcc, 0, v4
	buffer_store_dword v6, off, s[0:3], s33 offset:212 ; 4-byte Folded Spill
	s_and_saveexec_b64 s[88:89], vcc
	s_cbranch_execz .LBB6_7104
; %bb.7097:                             ;   in Loop: Header=BB6_6244 Depth=2
	v_and_b32_e32 v9, 0x7fffff, v4
	v_bfe_u32 v4, v4, 23, 8
	v_cmp_gt_u32_e64 s[18:19], s51, v4
	v_sub_u32_e32 v6, 0x79, v4
	v_cmp_eq_u32_e32 vcc, 0, v4
	v_cndmask_b32_e64 v6, 0, v6, s[18:19]
	v_mov_b32_e32 v15, 0x78
	v_or_b32_e32 v14, 0x800000, v9
	v_cndmask_b32_e32 v6, v6, v15, vcc
	v_cndmask_b32_e32 v50, v14, v9, vcc
	v_add_u32_e32 v9, 20, v6
	v_lshlrev_b64 v[14:15], v9, -1
	v_add_u32_e32 v9, 19, v6
	v_lshlrev_b64 v[18:19], v9, 1
	v_bfi_b32 v15, v15, 0, 0
	v_bfi_b32 v14, v14, 0, v50
	v_cmp_eq_u64_e64 s[18:19], v[14:15], v[18:19]
	v_lshrrev_b64 v[14:15], v6, v[50:51]
	v_mov_b32_e32 v16, v15
	v_mov_b32_e32 v15, v14
	s_and_saveexec_b64 s[90:91], s[18:19]
; %bb.7098:                             ;   in Loop: Header=BB6_6244 Depth=2
	v_bfe_u32 v9, v14, 20, 1
	v_add_co_u32_e64 v9, s[18:19], v14, v9
	v_add_co_u32_e64 v15, s[18:19], -1, v9
; %bb.7099:                             ;   in Loop: Header=BB6_6244 Depth=2
	s_or_b64 exec, exec, s[90:91]
	v_add_u32_e32 v4, 0xffffff81, v4
	v_mov_b32_e32 v9, 0xffffff82
	v_cndmask_b32_e32 v4, v4, v9, vcc
	v_lshrrev_b32_e32 v9, 23, v14
	v_add3_u32 v9, v6, v4, v9
	v_add_u32_e32 v6, 6, v9
	v_and_b32_e32 v4, 0xfffff, v15
	v_add_u32_e32 v50, v4, v14
	v_cmp_ne_u32_e32 vcc, 0, v6
                                        ; implicit-def: $vgpr14_vgpr15
                                        ; implicit-def: $vgpr4
	s_and_saveexec_b64 s[18:19], vcc
	s_xor_b64 s[18:19], exec, s[18:19]
; %bb.7100:                             ;   in Loop: Header=BB6_6244 Depth=2
	v_cmp_lt_u64_e32 vcc, s[58:59], v[50:51]
	v_add_u32_e32 v4, 7, v9
	v_cndmask_b32_e32 v4, v6, v4, vcc
	v_cndmask_b32_e64 v6, 0, 1, vcc
	v_lshrrev_b64 v[14:15], v6, v[50:51]
; %bb.7101:                             ;   in Loop: Header=BB6_6244 Depth=2
	s_andn2_saveexec_b64 s[18:19], s[18:19]
; %bb.7102:                             ;   in Loop: Header=BB6_6244 Depth=2
	v_mov_b32_e32 v14, v50
	v_bfe_u32 v4, v50, 23, 1
	v_mov_b32_e32 v15, v51
; %bb.7103:                             ;   in Loop: Header=BB6_6244 Depth=2
	s_or_b64 exec, exec, s[18:19]
	v_lshrrev_b64 v[14:15], 20, v[14:15]
	v_cmp_gt_i32_e32 vcc, 16, v4
	v_cndmask_b32_e32 v15, 0, v15, vcc
	v_cndmask_b32_e32 v14, 7, v14, vcc
	v_cmp_eq_u32_e32 vcc, 0, v4
	v_min_i32_e32 v4, 15, v4
	v_cmp_eq_u64_e64 s[18:19], 0, v[14:15]
	v_lshlrev_b32_e32 v4, 3, v4
	v_and_b32_e32 v4, 0xf8, v4
	v_and_or_b32 v4, v14, 7, v4
	s_and_b64 s[18:19], vcc, s[18:19]
	v_cndmask_b32_e64 v4, v4, 0, s[18:19]
	v_or_b32_e32 v2, v4, v2
	buffer_store_dword v2, off, s[0:3], s33 offset:212 ; 4-byte Folded Spill
.LBB6_7104:                             ;   in Loop: Header=BB6_6244 Depth=2
	s_or_b64 exec, exec, s[88:89]
                                        ; implicit-def: $vgpr2
.LBB6_7105:                             ;   in Loop: Header=BB6_6244 Depth=2
	s_andn2_saveexec_b64 s[18:19], s[78:79]
	s_cbranch_execz .LBB6_7107
; %bb.7106:                             ;   in Loop: Header=BB6_6244 Depth=2
	v_or_b32_e32 v2, 0x7e, v2
	buffer_store_dword v2, off, s[0:3], s33 offset:212 ; 4-byte Folded Spill
.LBB6_7107:                             ;   in Loop: Header=BB6_6244 Depth=2
	s_or_b64 exec, exec, s[18:19]
                                        ; implicit-def: $vgpr4
.LBB6_7108:                             ;   in Loop: Header=BB6_6244 Depth=2
	s_andn2_saveexec_b64 s[18:19], s[76:77]
	s_cbranch_execz .LBB6_7110
; %bb.7109:                             ;   in Loop: Header=BB6_6244 Depth=2
	v_or_b32_sdwa v2, v4, s39 dst_sel:DWORD dst_unused:UNUSED_PAD src0_sel:BYTE_3 src1_sel:DWORD
	buffer_store_dword v2, off, s[0:3], s33 offset:212 ; 4-byte Folded Spill
.LBB6_7110:                             ;   in Loop: Header=BB6_6244 Depth=2
	s_or_b64 exec, exec, s[18:19]
	v_cmp_lt_u64_e32 vcc, s[60:61], v[10:11]
	v_mov_b32_e32 v2, 0
	s_and_saveexec_b64 s[18:19], vcc
	s_cbranch_execz .LBB6_7116
; %bb.7111:                             ;   in Loop: Header=BB6_6244 Depth=2
	v_lshrrev_b32_e32 v10, 24, v11
	v_cmp_ne_u32_e32 vcc, s50, v10
	v_bfrev_b32_e32 v2, 1
	s_and_saveexec_b64 s[76:77], vcc
	s_cbranch_execz .LBB6_7115
; %bb.7112:                             ;   in Loop: Header=BB6_6244 Depth=2
	v_bfe_u32 v4, v11, 24, 7
	v_cmp_ne_u32_e32 vcc, s39, v4
	v_mov_b32_e32 v2, 0x7f800001
	s_and_saveexec_b64 s[78:79], vcc
	s_cbranch_execz .LBB6_7114
; %bb.7113:                             ;   in Loop: Header=BB6_6244 Depth=2
	v_and_b32_e32 v2, 7, v10
	v_lshrrev_b32_e32 v6, 3, v4
	v_cmp_gt_u32_e32 vcc, 8, v4
	v_ffbh_u32_e32 v4, v2
	v_min_u32_e32 v4, 32, v4
	v_subrev_u32_e32 v9, 28, v4
	v_lshlrev_b64 v[14:15], v9, v[10:11]
	v_sub_u32_e32 v4, 29, v4
	v_and_b32_e32 v9, 7, v14
	v_cndmask_b32_e32 v4, v6, v4, vcc
	v_cndmask_b32_e32 v2, v2, v9, vcc
	v_lshlrev_b32_e32 v6, 24, v10
	v_lshlrev_b32_e32 v2, 20, v2
	v_and_b32_e32 v6, 0x80000000, v6
	v_lshl_add_u32 v4, v4, 23, v62
	v_or3_b32 v2, v6, v4, v2
.LBB6_7114:                             ;   in Loop: Header=BB6_6244 Depth=2
	s_or_b64 exec, exec, s[78:79]
.LBB6_7115:                             ;   in Loop: Header=BB6_6244 Depth=2
	s_or_b64 exec, exec, s[76:77]
.LBB6_7116:                             ;   in Loop: Header=BB6_6244 Depth=2
	s_or_b64 exec, exec, s[18:19]
	v_mul_f32_e32 v4, v17, v2
	v_and_b32_e32 v50, 0x7f800000, v4
	v_cmp_ne_u64_e32 vcc, s[46:47], v[50:51]
                                        ; implicit-def: $vgpr2
                                        ; kill: killed $vgpr2
	s_and_saveexec_b64 s[18:19], vcc
	s_xor_b64 s[76:77], exec, s[18:19]
	s_cbranch_execz .LBB6_7130
; %bb.7117:                             ;   in Loop: Header=BB6_6244 Depth=2
	v_and_b32_e32 v50, 0x7fffffff, v4
	v_cmp_gt_u64_e32 vcc, s[56:57], v[50:51]
	v_and_b32_sdwa v2, v4, s50 dst_sel:DWORD dst_unused:UNUSED_PAD src0_sel:BYTE_3 src1_sel:DWORD
                                        ; implicit-def: $vgpr6
                                        ; kill: killed $vgpr6
	s_and_saveexec_b64 s[18:19], vcc
	s_xor_b64 s[78:79], exec, s[18:19]
	s_cbranch_execz .LBB6_7127
; %bb.7118:                             ;   in Loop: Header=BB6_6244 Depth=2
	v_mov_b32_e32 v6, 0
	v_cmp_ne_u32_e32 vcc, 0, v4
	buffer_store_dword v6, off, s[0:3], s33 offset:232 ; 4-byte Folded Spill
	s_and_saveexec_b64 s[88:89], vcc
	s_cbranch_execz .LBB6_7126
; %bb.7119:                             ;   in Loop: Header=BB6_6244 Depth=2
	v_and_b32_e32 v9, 0x7fffff, v4
	v_bfe_u32 v4, v4, 23, 8
	v_cmp_gt_u32_e64 s[18:19], s51, v4
	v_sub_u32_e32 v6, 0x79, v4
	v_cmp_eq_u32_e32 vcc, 0, v4
	v_cndmask_b32_e64 v6, 0, v6, s[18:19]
	v_mov_b32_e32 v11, 0x78
	v_or_b32_e32 v10, 0x800000, v9
	v_cndmask_b32_e32 v6, v6, v11, vcc
	v_cndmask_b32_e32 v50, v10, v9, vcc
	v_add_u32_e32 v9, 20, v6
	v_lshlrev_b64 v[9:10], v9, -1
	v_add_u32_e32 v11, 19, v6
	v_lshlrev_b64 v[14:15], v11, 1
	v_bfi_b32 v10, v10, 0, 0
	v_bfi_b32 v9, v9, 0, v50
	v_cmp_eq_u64_e64 s[18:19], v[9:10], v[14:15]
	v_lshrrev_b64 v[10:11], v6, v[50:51]
	v_mov_b32_e32 v15, v11
	v_mov_b32_e32 v14, v10
	s_and_saveexec_b64 s[90:91], s[18:19]
; %bb.7120:                             ;   in Loop: Header=BB6_6244 Depth=2
	v_bfe_u32 v9, v10, 20, 1
	v_add_co_u32_e64 v9, s[18:19], v10, v9
	v_add_co_u32_e64 v14, s[18:19], -1, v9
; %bb.7121:                             ;   in Loop: Header=BB6_6244 Depth=2
	s_or_b64 exec, exec, s[90:91]
	v_add_u32_e32 v4, 0xffffff81, v4
	v_mov_b32_e32 v9, 0xffffff82
	v_cndmask_b32_e32 v4, v4, v9, vcc
	v_lshrrev_b32_e32 v9, 23, v10
	v_add3_u32 v9, v6, v4, v9
	v_add_u32_e32 v6, 6, v9
	v_and_b32_e32 v4, 0xfffff, v14
	v_add_u32_e32 v50, v4, v10
	v_cmp_ne_u32_e32 vcc, 0, v6
                                        ; implicit-def: $vgpr10_vgpr11
                                        ; implicit-def: $vgpr4
	s_and_saveexec_b64 s[18:19], vcc
	s_xor_b64 s[18:19], exec, s[18:19]
; %bb.7122:                             ;   in Loop: Header=BB6_6244 Depth=2
	v_cmp_lt_u64_e32 vcc, s[58:59], v[50:51]
	v_add_u32_e32 v4, 7, v9
	v_cndmask_b32_e32 v4, v6, v4, vcc
	v_cndmask_b32_e64 v6, 0, 1, vcc
	v_lshrrev_b64 v[10:11], v6, v[50:51]
; %bb.7123:                             ;   in Loop: Header=BB6_6244 Depth=2
	s_andn2_saveexec_b64 s[18:19], s[18:19]
; %bb.7124:                             ;   in Loop: Header=BB6_6244 Depth=2
	v_mov_b32_e32 v10, v50
	v_bfe_u32 v4, v50, 23, 1
	v_mov_b32_e32 v11, v51
; %bb.7125:                             ;   in Loop: Header=BB6_6244 Depth=2
	s_or_b64 exec, exec, s[18:19]
	v_lshrrev_b64 v[9:10], 20, v[10:11]
	v_cmp_gt_i32_e32 vcc, 16, v4
	v_cndmask_b32_e32 v10, 0, v10, vcc
	v_cndmask_b32_e32 v9, 7, v9, vcc
	v_cmp_eq_u32_e32 vcc, 0, v4
	v_min_i32_e32 v4, 15, v4
	v_cmp_eq_u64_e64 s[18:19], 0, v[9:10]
	v_lshlrev_b32_e32 v4, 3, v4
	v_and_b32_e32 v4, 0xf8, v4
	v_and_or_b32 v4, v9, 7, v4
	s_and_b64 s[18:19], vcc, s[18:19]
	v_cndmask_b32_e64 v4, v4, 0, s[18:19]
	v_or_b32_e32 v2, v4, v2
	buffer_store_dword v2, off, s[0:3], s33 offset:232 ; 4-byte Folded Spill
.LBB6_7126:                             ;   in Loop: Header=BB6_6244 Depth=2
	s_or_b64 exec, exec, s[88:89]
                                        ; implicit-def: $vgpr2
.LBB6_7127:                             ;   in Loop: Header=BB6_6244 Depth=2
	s_andn2_saveexec_b64 s[18:19], s[78:79]
	s_cbranch_execz .LBB6_7129
; %bb.7128:                             ;   in Loop: Header=BB6_6244 Depth=2
	v_or_b32_e32 v2, 0x7e, v2
	buffer_store_dword v2, off, s[0:3], s33 offset:232 ; 4-byte Folded Spill
.LBB6_7129:                             ;   in Loop: Header=BB6_6244 Depth=2
	s_or_b64 exec, exec, s[18:19]
                                        ; implicit-def: $vgpr4
.LBB6_7130:                             ;   in Loop: Header=BB6_6244 Depth=2
	s_andn2_saveexec_b64 s[18:19], s[76:77]
	s_cbranch_execz .LBB6_7132
; %bb.7131:                             ;   in Loop: Header=BB6_6244 Depth=2
	v_or_b32_sdwa v2, v4, s39 dst_sel:DWORD dst_unused:UNUSED_PAD src0_sel:BYTE_3 src1_sel:DWORD
	buffer_store_dword v2, off, s[0:3], s33 offset:232 ; 4-byte Folded Spill
.LBB6_7132:                             ;   in Loop: Header=BB6_6244 Depth=2
	s_or_b64 exec, exec, s[18:19]
	v_cmp_ne_u16_sdwa s[76:77], v12, v51 src0_sel:BYTE_0 src1_sel:DWORD
	v_mov_b32_e32 v2, 0
	s_and_saveexec_b64 s[18:19], s[76:77]
	s_cbranch_execz .LBB6_7138
; %bb.7133:                             ;   in Loop: Header=BB6_6244 Depth=2
	v_cmp_ne_u16_sdwa s[78:79], v12, s50 src0_sel:BYTE_0 src1_sel:DWORD
	v_bfrev_b32_e32 v2, 1
	s_and_saveexec_b64 s[76:77], s[78:79]
	s_cbranch_execz .LBB6_7137
; %bb.7134:                             ;   in Loop: Header=BB6_6244 Depth=2
	v_and_b32_e32 v4, 0x7f, v12
	v_cmp_ne_u32_e32 vcc, s39, v4
	v_mov_b32_e32 v2, 0x7f800001
	s_and_saveexec_b64 s[78:79], vcc
	s_cbranch_execz .LBB6_7136
; %bb.7135:                             ;   in Loop: Header=BB6_6244 Depth=2
	v_and_b32_e32 v2, 7, v12
	v_ffbh_u32_e32 v2, v2
	v_min_u32_e32 v2, 32, v2
	v_lshrrev_b32_e32 v6, 3, v4
	v_cmp_gt_u32_e32 vcc, 8, v4
	v_subrev_u32_e32 v4, 28, v2
	v_cndmask_b32_e32 v4, 0, v4, vcc
	v_lshlrev_b64 v[9:10], v4, v[12:13]
	v_sub_u32_e32 v2, 29, v2
	v_cndmask_b32_e32 v2, v6, v2, vcc
	v_lshlrev_b32_e32 v4, 20, v9
	v_lshlrev_b32_e32 v6, 24, v12
	v_and_b32_e32 v4, 0x700000, v4
	v_and_b32_e32 v6, 0x80000000, v6
	v_lshl_add_u32 v2, v2, 23, v62
	v_or3_b32 v2, v6, v2, v4
.LBB6_7136:                             ;   in Loop: Header=BB6_6244 Depth=2
	s_or_b64 exec, exec, s[78:79]
.LBB6_7137:                             ;   in Loop: Header=BB6_6244 Depth=2
	s_or_b64 exec, exec, s[76:77]
.LBB6_7138:                             ;   in Loop: Header=BB6_6244 Depth=2
	s_or_b64 exec, exec, s[18:19]
	v_mul_f32_e32 v4, v17, v2
	v_and_b32_e32 v50, 0x7f800000, v4
	v_cmp_ne_u64_e32 vcc, s[46:47], v[50:51]
                                        ; implicit-def: $vgpr27
	s_and_saveexec_b64 s[18:19], vcc
	s_xor_b64 s[76:77], exec, s[18:19]
	s_cbranch_execz .LBB6_7152
; %bb.7139:                             ;   in Loop: Header=BB6_6244 Depth=2
	v_and_b32_e32 v50, 0x7fffffff, v4
	v_cmp_gt_u64_e32 vcc, s[56:57], v[50:51]
	v_and_b32_sdwa v2, v4, s50 dst_sel:DWORD dst_unused:UNUSED_PAD src0_sel:BYTE_3 src1_sel:DWORD
                                        ; implicit-def: $vgpr27
	s_and_saveexec_b64 s[18:19], vcc
	s_xor_b64 s[78:79], exec, s[18:19]
	s_cbranch_execz .LBB6_7149
; %bb.7140:                             ;   in Loop: Header=BB6_6244 Depth=2
	v_mov_b32_e32 v27, 0
	v_cmp_ne_u32_e32 vcc, 0, v4
	s_and_saveexec_b64 s[88:89], vcc
	s_cbranch_execz .LBB6_7148
; %bb.7141:                             ;   in Loop: Header=BB6_6244 Depth=2
	v_and_b32_e32 v9, 0x7fffff, v4
	v_bfe_u32 v4, v4, 23, 8
	v_cmp_gt_u32_e64 s[18:19], s51, v4
	v_sub_u32_e32 v6, 0x79, v4
	v_cmp_eq_u32_e32 vcc, 0, v4
	v_cndmask_b32_e64 v6, 0, v6, s[18:19]
	v_mov_b32_e32 v11, 0x78
	v_or_b32_e32 v10, 0x800000, v9
	v_cndmask_b32_e32 v6, v6, v11, vcc
	v_cndmask_b32_e32 v50, v10, v9, vcc
	v_add_u32_e32 v9, 20, v6
	v_lshlrev_b64 v[9:10], v9, -1
	v_add_u32_e32 v11, 19, v6
	v_lshlrev_b64 v[14:15], v11, 1
	v_bfi_b32 v10, v10, 0, 0
	v_bfi_b32 v9, v9, 0, v50
	v_cmp_eq_u64_e64 s[18:19], v[9:10], v[14:15]
	v_lshrrev_b64 v[10:11], v6, v[50:51]
	v_mov_b32_e32 v15, v11
	v_mov_b32_e32 v14, v10
	s_and_saveexec_b64 s[90:91], s[18:19]
; %bb.7142:                             ;   in Loop: Header=BB6_6244 Depth=2
	v_bfe_u32 v9, v10, 20, 1
	v_add_co_u32_e64 v9, s[18:19], v10, v9
	v_add_co_u32_e64 v14, s[18:19], -1, v9
; %bb.7143:                             ;   in Loop: Header=BB6_6244 Depth=2
	s_or_b64 exec, exec, s[90:91]
	v_add_u32_e32 v4, 0xffffff81, v4
	v_mov_b32_e32 v9, 0xffffff82
	v_cndmask_b32_e32 v4, v4, v9, vcc
	v_lshrrev_b32_e32 v9, 23, v10
	v_add3_u32 v9, v6, v4, v9
	v_add_u32_e32 v6, 6, v9
	v_and_b32_e32 v4, 0xfffff, v14
	v_add_u32_e32 v50, v4, v10
	v_cmp_ne_u32_e32 vcc, 0, v6
                                        ; implicit-def: $vgpr10_vgpr11
                                        ; implicit-def: $vgpr4
	s_and_saveexec_b64 s[18:19], vcc
	s_xor_b64 s[18:19], exec, s[18:19]
; %bb.7144:                             ;   in Loop: Header=BB6_6244 Depth=2
	v_cmp_lt_u64_e32 vcc, s[58:59], v[50:51]
	v_add_u32_e32 v4, 7, v9
	v_cndmask_b32_e32 v4, v6, v4, vcc
	v_cndmask_b32_e64 v6, 0, 1, vcc
	v_lshrrev_b64 v[10:11], v6, v[50:51]
; %bb.7145:                             ;   in Loop: Header=BB6_6244 Depth=2
	s_andn2_saveexec_b64 s[18:19], s[18:19]
; %bb.7146:                             ;   in Loop: Header=BB6_6244 Depth=2
	v_mov_b32_e32 v10, v50
	v_bfe_u32 v4, v50, 23, 1
	v_mov_b32_e32 v11, v51
; %bb.7147:                             ;   in Loop: Header=BB6_6244 Depth=2
	s_or_b64 exec, exec, s[18:19]
	v_lshrrev_b64 v[9:10], 20, v[10:11]
	v_cmp_gt_i32_e32 vcc, 16, v4
	v_cndmask_b32_e32 v10, 0, v10, vcc
	v_cndmask_b32_e32 v9, 7, v9, vcc
	v_cmp_eq_u32_e32 vcc, 0, v4
	v_min_i32_e32 v4, 15, v4
	v_cmp_eq_u64_e64 s[18:19], 0, v[9:10]
	v_lshlrev_b32_e32 v4, 3, v4
	v_and_b32_e32 v4, 0xf8, v4
	v_and_or_b32 v4, v9, 7, v4
	s_and_b64 s[18:19], vcc, s[18:19]
	v_cndmask_b32_e64 v4, v4, 0, s[18:19]
	v_or_b32_e32 v27, v4, v2
.LBB6_7148:                             ;   in Loop: Header=BB6_6244 Depth=2
	s_or_b64 exec, exec, s[88:89]
                                        ; implicit-def: $vgpr2
.LBB6_7149:                             ;   in Loop: Header=BB6_6244 Depth=2
	s_andn2_saveexec_b64 s[18:19], s[78:79]
; %bb.7150:                             ;   in Loop: Header=BB6_6244 Depth=2
	v_or_b32_e32 v27, 0x7e, v2
; %bb.7151:                             ;   in Loop: Header=BB6_6244 Depth=2
	s_or_b64 exec, exec, s[18:19]
                                        ; implicit-def: $vgpr4
.LBB6_7152:                             ;   in Loop: Header=BB6_6244 Depth=2
	s_andn2_saveexec_b64 s[18:19], s[76:77]
; %bb.7153:                             ;   in Loop: Header=BB6_6244 Depth=2
	v_or_b32_sdwa v27, v4, s39 dst_sel:DWORD dst_unused:UNUSED_PAD src0_sel:BYTE_3 src1_sel:DWORD
; %bb.7154:                             ;   in Loop: Header=BB6_6244 Depth=2
	s_or_b64 exec, exec, s[18:19]
	v_lshrrev_b16_e32 v10, 8, v12
	v_cmp_ne_u16_e32 vcc, 0, v10
	v_mov_b32_e32 v2, 0
	s_and_saveexec_b64 s[18:19], vcc
	s_cbranch_execz .LBB6_7160
; %bb.7155:                             ;   in Loop: Header=BB6_6244 Depth=2
	v_cmp_ne_u16_e32 vcc, s50, v10
	v_bfrev_b32_e32 v2, 1
	s_and_saveexec_b64 s[76:77], vcc
	s_cbranch_execz .LBB6_7159
; %bb.7156:                             ;   in Loop: Header=BB6_6244 Depth=2
	v_and_b32_e32 v4, 0x7f, v10
	v_cmp_ne_u32_e32 vcc, s39, v4
	v_mov_b32_e32 v2, 0x7f800001
	s_and_saveexec_b64 s[78:79], vcc
	s_cbranch_execz .LBB6_7158
; %bb.7157:                             ;   in Loop: Header=BB6_6244 Depth=2
	v_and_b32_e32 v2, 7, v10
	v_lshrrev_b32_e32 v6, 3, v4
	v_cmp_gt_u32_e32 vcc, 8, v4
	v_ffbh_u32_e32 v4, v2
	v_min_u32_e32 v4, 32, v4
	v_subrev_u32_e32 v9, 28, v4
	v_lshlrev_b64 v[9:10], v9, v[10:11]
	v_sub_u32_e32 v4, 29, v4
	v_and_b32_e32 v9, 7, v9
	v_cndmask_b32_e32 v4, v6, v4, vcc
	v_cndmask_b32_e32 v2, v2, v9, vcc
	v_lshlrev_b32_e32 v6, 16, v12
	v_lshlrev_b32_e32 v2, 20, v2
	v_and_b32_e32 v6, 0x80000000, v6
	v_lshl_add_u32 v4, v4, 23, v62
	v_or3_b32 v2, v6, v4, v2
.LBB6_7158:                             ;   in Loop: Header=BB6_6244 Depth=2
	s_or_b64 exec, exec, s[78:79]
.LBB6_7159:                             ;   in Loop: Header=BB6_6244 Depth=2
	s_or_b64 exec, exec, s[76:77]
.LBB6_7160:                             ;   in Loop: Header=BB6_6244 Depth=2
	s_or_b64 exec, exec, s[18:19]
	v_mul_f32_e32 v4, v17, v2
	v_and_b32_e32 v50, 0x7f800000, v4
	v_cmp_ne_u64_e32 vcc, s[46:47], v[50:51]
                                        ; implicit-def: $vgpr2
                                        ; kill: killed $vgpr2
	s_and_saveexec_b64 s[18:19], vcc
	s_xor_b64 s[76:77], exec, s[18:19]
	s_cbranch_execz .LBB6_7174
; %bb.7161:                             ;   in Loop: Header=BB6_6244 Depth=2
	v_and_b32_e32 v50, 0x7fffffff, v4
	v_cmp_gt_u64_e32 vcc, s[56:57], v[50:51]
	v_and_b32_sdwa v2, v4, s50 dst_sel:DWORD dst_unused:UNUSED_PAD src0_sel:BYTE_3 src1_sel:DWORD
                                        ; implicit-def: $vgpr6
                                        ; kill: killed $vgpr6
	s_and_saveexec_b64 s[18:19], vcc
	s_xor_b64 s[78:79], exec, s[18:19]
	s_cbranch_execz .LBB6_7171
; %bb.7162:                             ;   in Loop: Header=BB6_6244 Depth=2
	v_mov_b32_e32 v6, 0
	v_cmp_ne_u32_e32 vcc, 0, v4
	buffer_store_dword v6, off, s[0:3], s33 offset:172 ; 4-byte Folded Spill
	s_and_saveexec_b64 s[88:89], vcc
	s_cbranch_execz .LBB6_7170
; %bb.7163:                             ;   in Loop: Header=BB6_6244 Depth=2
	v_and_b32_e32 v9, 0x7fffff, v4
	v_bfe_u32 v4, v4, 23, 8
	v_cmp_gt_u32_e64 s[18:19], s51, v4
	v_sub_u32_e32 v6, 0x79, v4
	v_cmp_eq_u32_e32 vcc, 0, v4
	v_cndmask_b32_e64 v6, 0, v6, s[18:19]
	v_mov_b32_e32 v11, 0x78
	v_or_b32_e32 v10, 0x800000, v9
	v_cndmask_b32_e32 v6, v6, v11, vcc
	v_cndmask_b32_e32 v50, v10, v9, vcc
	v_add_u32_e32 v9, 20, v6
	v_lshlrev_b64 v[9:10], v9, -1
	v_add_u32_e32 v11, 19, v6
	v_lshlrev_b64 v[14:15], v11, 1
	v_bfi_b32 v10, v10, 0, 0
	v_bfi_b32 v9, v9, 0, v50
	v_cmp_eq_u64_e64 s[18:19], v[9:10], v[14:15]
	v_lshrrev_b64 v[10:11], v6, v[50:51]
	v_mov_b32_e32 v15, v11
	v_mov_b32_e32 v14, v10
	s_and_saveexec_b64 s[90:91], s[18:19]
; %bb.7164:                             ;   in Loop: Header=BB6_6244 Depth=2
	v_bfe_u32 v9, v10, 20, 1
	v_add_co_u32_e64 v9, s[18:19], v10, v9
	v_add_co_u32_e64 v14, s[18:19], -1, v9
; %bb.7165:                             ;   in Loop: Header=BB6_6244 Depth=2
	s_or_b64 exec, exec, s[90:91]
	v_add_u32_e32 v4, 0xffffff81, v4
	v_mov_b32_e32 v9, 0xffffff82
	v_cndmask_b32_e32 v4, v4, v9, vcc
	v_lshrrev_b32_e32 v9, 23, v10
	v_add3_u32 v9, v6, v4, v9
	v_add_u32_e32 v6, 6, v9
	v_and_b32_e32 v4, 0xfffff, v14
	v_add_u32_e32 v50, v4, v10
	v_cmp_ne_u32_e32 vcc, 0, v6
                                        ; implicit-def: $vgpr10_vgpr11
                                        ; implicit-def: $vgpr4
	s_and_saveexec_b64 s[18:19], vcc
	s_xor_b64 s[18:19], exec, s[18:19]
; %bb.7166:                             ;   in Loop: Header=BB6_6244 Depth=2
	v_cmp_lt_u64_e32 vcc, s[58:59], v[50:51]
	v_add_u32_e32 v4, 7, v9
	v_cndmask_b32_e32 v4, v6, v4, vcc
	v_cndmask_b32_e64 v6, 0, 1, vcc
	v_lshrrev_b64 v[10:11], v6, v[50:51]
; %bb.7167:                             ;   in Loop: Header=BB6_6244 Depth=2
	s_andn2_saveexec_b64 s[18:19], s[18:19]
; %bb.7168:                             ;   in Loop: Header=BB6_6244 Depth=2
	v_mov_b32_e32 v10, v50
	v_bfe_u32 v4, v50, 23, 1
	v_mov_b32_e32 v11, v51
; %bb.7169:                             ;   in Loop: Header=BB6_6244 Depth=2
	s_or_b64 exec, exec, s[18:19]
	v_lshrrev_b64 v[9:10], 20, v[10:11]
	v_cmp_gt_i32_e32 vcc, 16, v4
	v_cndmask_b32_e32 v10, 0, v10, vcc
	v_cndmask_b32_e32 v9, 7, v9, vcc
	v_cmp_eq_u32_e32 vcc, 0, v4
	v_min_i32_e32 v4, 15, v4
	v_cmp_eq_u64_e64 s[18:19], 0, v[9:10]
	v_lshlrev_b32_e32 v4, 3, v4
	v_and_b32_e32 v4, 0xf8, v4
	v_and_or_b32 v4, v9, 7, v4
	s_and_b64 s[18:19], vcc, s[18:19]
	v_cndmask_b32_e64 v4, v4, 0, s[18:19]
	v_or_b32_e32 v2, v4, v2
	buffer_store_dword v2, off, s[0:3], s33 offset:172 ; 4-byte Folded Spill
.LBB6_7170:                             ;   in Loop: Header=BB6_6244 Depth=2
	s_or_b64 exec, exec, s[88:89]
                                        ; implicit-def: $vgpr2
.LBB6_7171:                             ;   in Loop: Header=BB6_6244 Depth=2
	s_andn2_saveexec_b64 s[18:19], s[78:79]
	s_cbranch_execz .LBB6_7173
; %bb.7172:                             ;   in Loop: Header=BB6_6244 Depth=2
	v_or_b32_e32 v2, 0x7e, v2
	buffer_store_dword v2, off, s[0:3], s33 offset:172 ; 4-byte Folded Spill
.LBB6_7173:                             ;   in Loop: Header=BB6_6244 Depth=2
	s_or_b64 exec, exec, s[18:19]
                                        ; implicit-def: $vgpr4
.LBB6_7174:                             ;   in Loop: Header=BB6_6244 Depth=2
	s_andn2_saveexec_b64 s[18:19], s[76:77]
	s_cbranch_execz .LBB6_7176
; %bb.7175:                             ;   in Loop: Header=BB6_6244 Depth=2
	v_or_b32_sdwa v2, v4, s39 dst_sel:DWORD dst_unused:UNUSED_PAD src0_sel:BYTE_3 src1_sel:DWORD
	buffer_store_dword v2, off, s[0:3], s33 offset:172 ; 4-byte Folded Spill
.LBB6_7176:                             ;   in Loop: Header=BB6_6244 Depth=2
	s_or_b64 exec, exec, s[18:19]
	v_lshrrev_b32_e32 v10, 16, v12
	v_cmp_ne_u16_sdwa s[76:77], v10, v51 src0_sel:BYTE_0 src1_sel:DWORD
	v_mov_b32_e32 v2, 0
	s_and_saveexec_b64 s[18:19], s[76:77]
	s_cbranch_execz .LBB6_7182
; %bb.7177:                             ;   in Loop: Header=BB6_6244 Depth=2
	v_cmp_ne_u16_sdwa s[78:79], v10, s50 src0_sel:BYTE_0 src1_sel:DWORD
	v_bfrev_b32_e32 v2, 1
	s_and_saveexec_b64 s[76:77], s[78:79]
	s_cbranch_execz .LBB6_7181
; %bb.7178:                             ;   in Loop: Header=BB6_6244 Depth=2
	v_bfe_u32 v4, v12, 16, 7
	v_cmp_ne_u32_e32 vcc, s39, v4
	v_mov_b32_e32 v2, 0x7f800001
	s_and_saveexec_b64 s[78:79], vcc
	s_cbranch_execz .LBB6_7180
; %bb.7179:                             ;   in Loop: Header=BB6_6244 Depth=2
	v_and_b32_e32 v2, 7, v10
	v_lshrrev_b32_e32 v6, 3, v4
	v_cmp_gt_u32_e32 vcc, 8, v4
	v_ffbh_u32_e32 v4, v2
	v_min_u32_e32 v4, 32, v4
	v_subrev_u32_e32 v9, 28, v4
	v_lshlrev_b64 v[14:15], v9, v[10:11]
	v_sub_u32_e32 v4, 29, v4
	v_and_b32_e32 v9, 7, v14
	v_cndmask_b32_e32 v4, v6, v4, vcc
	v_cndmask_b32_e32 v2, v2, v9, vcc
	v_lshlrev_b32_e32 v6, 24, v10
	v_lshlrev_b32_e32 v2, 20, v2
	v_and_b32_e32 v6, 0x80000000, v6
	v_lshl_add_u32 v4, v4, 23, v62
	v_or3_b32 v2, v6, v4, v2
.LBB6_7180:                             ;   in Loop: Header=BB6_6244 Depth=2
	s_or_b64 exec, exec, s[78:79]
.LBB6_7181:                             ;   in Loop: Header=BB6_6244 Depth=2
	s_or_b64 exec, exec, s[76:77]
.LBB6_7182:                             ;   in Loop: Header=BB6_6244 Depth=2
	s_or_b64 exec, exec, s[18:19]
	v_mul_f32_e32 v4, v17, v2
	v_and_b32_e32 v50, 0x7f800000, v4
	v_cmp_ne_u64_e32 vcc, s[46:47], v[50:51]
                                        ; implicit-def: $vgpr2
                                        ; kill: killed $vgpr2
	s_and_saveexec_b64 s[18:19], vcc
	s_xor_b64 s[76:77], exec, s[18:19]
	s_cbranch_execz .LBB6_7196
; %bb.7183:                             ;   in Loop: Header=BB6_6244 Depth=2
	v_and_b32_e32 v50, 0x7fffffff, v4
	v_cmp_gt_u64_e32 vcc, s[56:57], v[50:51]
	v_and_b32_sdwa v2, v4, s50 dst_sel:DWORD dst_unused:UNUSED_PAD src0_sel:BYTE_3 src1_sel:DWORD
                                        ; implicit-def: $vgpr6
                                        ; kill: killed $vgpr6
	s_and_saveexec_b64 s[18:19], vcc
	s_xor_b64 s[78:79], exec, s[18:19]
	s_cbranch_execz .LBB6_7193
; %bb.7184:                             ;   in Loop: Header=BB6_6244 Depth=2
	v_mov_b32_e32 v6, 0
	v_cmp_ne_u32_e32 vcc, 0, v4
	buffer_store_dword v6, off, s[0:3], s33 offset:200 ; 4-byte Folded Spill
	s_and_saveexec_b64 s[88:89], vcc
	s_cbranch_execz .LBB6_7192
; %bb.7185:                             ;   in Loop: Header=BB6_6244 Depth=2
	v_and_b32_e32 v9, 0x7fffff, v4
	v_bfe_u32 v4, v4, 23, 8
	v_cmp_gt_u32_e64 s[18:19], s51, v4
	v_sub_u32_e32 v6, 0x79, v4
	v_cmp_eq_u32_e32 vcc, 0, v4
	v_cndmask_b32_e64 v6, 0, v6, s[18:19]
	v_mov_b32_e32 v11, 0x78
	v_or_b32_e32 v10, 0x800000, v9
	v_cndmask_b32_e32 v6, v6, v11, vcc
	v_cndmask_b32_e32 v50, v10, v9, vcc
	v_add_u32_e32 v9, 20, v6
	v_lshlrev_b64 v[9:10], v9, -1
	v_add_u32_e32 v11, 19, v6
	v_lshlrev_b64 v[14:15], v11, 1
	v_bfi_b32 v10, v10, 0, 0
	v_bfi_b32 v9, v9, 0, v50
	v_cmp_eq_u64_e64 s[18:19], v[9:10], v[14:15]
	v_lshrrev_b64 v[10:11], v6, v[50:51]
	v_mov_b32_e32 v15, v11
	v_mov_b32_e32 v14, v10
	s_and_saveexec_b64 s[90:91], s[18:19]
; %bb.7186:                             ;   in Loop: Header=BB6_6244 Depth=2
	v_bfe_u32 v9, v10, 20, 1
	v_add_co_u32_e64 v9, s[18:19], v10, v9
	v_add_co_u32_e64 v14, s[18:19], -1, v9
; %bb.7187:                             ;   in Loop: Header=BB6_6244 Depth=2
	s_or_b64 exec, exec, s[90:91]
	v_add_u32_e32 v4, 0xffffff81, v4
	v_mov_b32_e32 v9, 0xffffff82
	v_cndmask_b32_e32 v4, v4, v9, vcc
	v_lshrrev_b32_e32 v9, 23, v10
	v_add3_u32 v9, v6, v4, v9
	v_add_u32_e32 v6, 6, v9
	v_and_b32_e32 v4, 0xfffff, v14
	v_add_u32_e32 v50, v4, v10
	v_cmp_ne_u32_e32 vcc, 0, v6
                                        ; implicit-def: $vgpr10_vgpr11
                                        ; implicit-def: $vgpr4
	s_and_saveexec_b64 s[18:19], vcc
	s_xor_b64 s[18:19], exec, s[18:19]
; %bb.7188:                             ;   in Loop: Header=BB6_6244 Depth=2
	v_cmp_lt_u64_e32 vcc, s[58:59], v[50:51]
	v_add_u32_e32 v4, 7, v9
	v_cndmask_b32_e32 v4, v6, v4, vcc
	v_cndmask_b32_e64 v6, 0, 1, vcc
	v_lshrrev_b64 v[10:11], v6, v[50:51]
; %bb.7189:                             ;   in Loop: Header=BB6_6244 Depth=2
	s_andn2_saveexec_b64 s[18:19], s[18:19]
; %bb.7190:                             ;   in Loop: Header=BB6_6244 Depth=2
	v_mov_b32_e32 v10, v50
	v_bfe_u32 v4, v50, 23, 1
	v_mov_b32_e32 v11, v51
; %bb.7191:                             ;   in Loop: Header=BB6_6244 Depth=2
	s_or_b64 exec, exec, s[18:19]
	v_lshrrev_b64 v[9:10], 20, v[10:11]
	v_cmp_gt_i32_e32 vcc, 16, v4
	v_cndmask_b32_e32 v10, 0, v10, vcc
	v_cndmask_b32_e32 v9, 7, v9, vcc
	v_cmp_eq_u32_e32 vcc, 0, v4
	v_min_i32_e32 v4, 15, v4
	v_cmp_eq_u64_e64 s[18:19], 0, v[9:10]
	v_lshlrev_b32_e32 v4, 3, v4
	v_and_b32_e32 v4, 0xf8, v4
	v_and_or_b32 v4, v9, 7, v4
	s_and_b64 s[18:19], vcc, s[18:19]
	v_cndmask_b32_e64 v4, v4, 0, s[18:19]
	v_or_b32_e32 v2, v4, v2
	buffer_store_dword v2, off, s[0:3], s33 offset:200 ; 4-byte Folded Spill
.LBB6_7192:                             ;   in Loop: Header=BB6_6244 Depth=2
	s_or_b64 exec, exec, s[88:89]
                                        ; implicit-def: $vgpr2
.LBB6_7193:                             ;   in Loop: Header=BB6_6244 Depth=2
	s_andn2_saveexec_b64 s[18:19], s[78:79]
	s_cbranch_execz .LBB6_7195
; %bb.7194:                             ;   in Loop: Header=BB6_6244 Depth=2
	v_or_b32_e32 v2, 0x7e, v2
	buffer_store_dword v2, off, s[0:3], s33 offset:200 ; 4-byte Folded Spill
.LBB6_7195:                             ;   in Loop: Header=BB6_6244 Depth=2
	s_or_b64 exec, exec, s[18:19]
                                        ; implicit-def: $vgpr4
.LBB6_7196:                             ;   in Loop: Header=BB6_6244 Depth=2
	s_andn2_saveexec_b64 s[18:19], s[76:77]
	s_cbranch_execz .LBB6_7198
; %bb.7197:                             ;   in Loop: Header=BB6_6244 Depth=2
	v_or_b32_sdwa v2, v4, s39 dst_sel:DWORD dst_unused:UNUSED_PAD src0_sel:BYTE_3 src1_sel:DWORD
	buffer_store_dword v2, off, s[0:3], s33 offset:200 ; 4-byte Folded Spill
.LBB6_7198:                             ;   in Loop: Header=BB6_6244 Depth=2
	s_or_b64 exec, exec, s[18:19]
	v_cmp_lt_u32_e32 vcc, s61, v12
	v_mov_b32_e32 v2, 0
	s_and_saveexec_b64 s[18:19], vcc
	s_cbranch_execz .LBB6_7204
; %bb.7199:                             ;   in Loop: Header=BB6_6244 Depth=2
	v_lshrrev_b32_e32 v10, 24, v12
	v_cmp_ne_u32_e32 vcc, s50, v10
	v_bfrev_b32_e32 v2, 1
	s_and_saveexec_b64 s[76:77], vcc
	s_cbranch_execz .LBB6_7203
; %bb.7200:                             ;   in Loop: Header=BB6_6244 Depth=2
	v_bfe_u32 v4, v12, 24, 7
	v_cmp_ne_u32_e32 vcc, s39, v4
	v_mov_b32_e32 v2, 0x7f800001
	s_and_saveexec_b64 s[78:79], vcc
	s_cbranch_execz .LBB6_7202
; %bb.7201:                             ;   in Loop: Header=BB6_6244 Depth=2
	v_and_b32_e32 v2, 7, v10
	v_lshrrev_b32_e32 v6, 3, v4
	v_cmp_gt_u32_e32 vcc, 8, v4
	v_ffbh_u32_e32 v4, v2
	v_min_u32_e32 v4, 32, v4
	v_subrev_u32_e32 v9, 28, v4
	v_lshlrev_b64 v[14:15], v9, v[10:11]
	v_sub_u32_e32 v4, 29, v4
	v_and_b32_e32 v9, 7, v14
	v_cndmask_b32_e32 v4, v6, v4, vcc
	v_cndmask_b32_e32 v2, v2, v9, vcc
	v_lshlrev_b32_e32 v6, 24, v10
	v_lshlrev_b32_e32 v2, 20, v2
	v_and_b32_e32 v6, 0x80000000, v6
	v_lshl_add_u32 v4, v4, 23, v62
	v_or3_b32 v2, v6, v4, v2
.LBB6_7202:                             ;   in Loop: Header=BB6_6244 Depth=2
	s_or_b64 exec, exec, s[78:79]
.LBB6_7203:                             ;   in Loop: Header=BB6_6244 Depth=2
	s_or_b64 exec, exec, s[76:77]
.LBB6_7204:                             ;   in Loop: Header=BB6_6244 Depth=2
	s_or_b64 exec, exec, s[18:19]
	v_mul_f32_e32 v4, v17, v2
	v_and_b32_e32 v50, 0x7f800000, v4
	v_cmp_ne_u64_e32 vcc, s[46:47], v[50:51]
                                        ; implicit-def: $vgpr2
                                        ; kill: killed $vgpr2
	s_and_saveexec_b64 s[18:19], vcc
	s_xor_b64 s[76:77], exec, s[18:19]
	s_cbranch_execz .LBB6_7218
; %bb.7205:                             ;   in Loop: Header=BB6_6244 Depth=2
	v_and_b32_e32 v50, 0x7fffffff, v4
	v_cmp_gt_u64_e32 vcc, s[56:57], v[50:51]
	v_and_b32_sdwa v2, v4, s50 dst_sel:DWORD dst_unused:UNUSED_PAD src0_sel:BYTE_3 src1_sel:DWORD
                                        ; implicit-def: $vgpr6
                                        ; kill: killed $vgpr6
	s_and_saveexec_b64 s[18:19], vcc
	s_xor_b64 s[78:79], exec, s[18:19]
	s_cbranch_execz .LBB6_7215
; %bb.7206:                             ;   in Loop: Header=BB6_6244 Depth=2
	v_mov_b32_e32 v6, 0
	v_cmp_ne_u32_e32 vcc, 0, v4
	buffer_store_dword v6, off, s[0:3], s33 offset:216 ; 4-byte Folded Spill
	s_and_saveexec_b64 s[88:89], vcc
	s_cbranch_execz .LBB6_7214
; %bb.7207:                             ;   in Loop: Header=BB6_6244 Depth=2
	v_and_b32_e32 v9, 0x7fffff, v4
	v_bfe_u32 v4, v4, 23, 8
	v_cmp_gt_u32_e64 s[18:19], s51, v4
	v_sub_u32_e32 v6, 0x79, v4
	v_cmp_eq_u32_e32 vcc, 0, v4
	v_cndmask_b32_e64 v6, 0, v6, s[18:19]
	v_mov_b32_e32 v11, 0x78
	v_or_b32_e32 v10, 0x800000, v9
	v_cndmask_b32_e32 v6, v6, v11, vcc
	v_cndmask_b32_e32 v50, v10, v9, vcc
	v_add_u32_e32 v9, 20, v6
	v_lshlrev_b64 v[9:10], v9, -1
	v_add_u32_e32 v11, 19, v6
	v_lshlrev_b64 v[14:15], v11, 1
	v_bfi_b32 v10, v10, 0, 0
	v_bfi_b32 v9, v9, 0, v50
	v_cmp_eq_u64_e64 s[18:19], v[9:10], v[14:15]
	v_lshrrev_b64 v[10:11], v6, v[50:51]
	v_mov_b32_e32 v15, v11
	v_mov_b32_e32 v14, v10
	s_and_saveexec_b64 s[90:91], s[18:19]
; %bb.7208:                             ;   in Loop: Header=BB6_6244 Depth=2
	v_bfe_u32 v9, v10, 20, 1
	v_add_co_u32_e64 v9, s[18:19], v10, v9
	v_add_co_u32_e64 v14, s[18:19], -1, v9
; %bb.7209:                             ;   in Loop: Header=BB6_6244 Depth=2
	s_or_b64 exec, exec, s[90:91]
	v_add_u32_e32 v4, 0xffffff81, v4
	v_mov_b32_e32 v9, 0xffffff82
	v_cndmask_b32_e32 v4, v4, v9, vcc
	v_lshrrev_b32_e32 v9, 23, v10
	v_add3_u32 v9, v6, v4, v9
	v_add_u32_e32 v6, 6, v9
	v_and_b32_e32 v4, 0xfffff, v14
	v_add_u32_e32 v50, v4, v10
	v_cmp_ne_u32_e32 vcc, 0, v6
                                        ; implicit-def: $vgpr10_vgpr11
                                        ; implicit-def: $vgpr4
	s_and_saveexec_b64 s[18:19], vcc
	s_xor_b64 s[18:19], exec, s[18:19]
; %bb.7210:                             ;   in Loop: Header=BB6_6244 Depth=2
	v_cmp_lt_u64_e32 vcc, s[58:59], v[50:51]
	v_add_u32_e32 v4, 7, v9
	v_cndmask_b32_e32 v4, v6, v4, vcc
	v_cndmask_b32_e64 v6, 0, 1, vcc
	v_lshrrev_b64 v[10:11], v6, v[50:51]
; %bb.7211:                             ;   in Loop: Header=BB6_6244 Depth=2
	s_andn2_saveexec_b64 s[18:19], s[18:19]
; %bb.7212:                             ;   in Loop: Header=BB6_6244 Depth=2
	v_mov_b32_e32 v10, v50
	v_bfe_u32 v4, v50, 23, 1
	v_mov_b32_e32 v11, v51
; %bb.7213:                             ;   in Loop: Header=BB6_6244 Depth=2
	s_or_b64 exec, exec, s[18:19]
	v_lshrrev_b64 v[9:10], 20, v[10:11]
	v_cmp_gt_i32_e32 vcc, 16, v4
	v_cndmask_b32_e32 v10, 0, v10, vcc
	v_cndmask_b32_e32 v9, 7, v9, vcc
	v_cmp_eq_u32_e32 vcc, 0, v4
	v_min_i32_e32 v4, 15, v4
	v_cmp_eq_u64_e64 s[18:19], 0, v[9:10]
	v_lshlrev_b32_e32 v4, 3, v4
	v_and_b32_e32 v4, 0xf8, v4
	v_and_or_b32 v4, v9, 7, v4
	s_and_b64 s[18:19], vcc, s[18:19]
	v_cndmask_b32_e64 v4, v4, 0, s[18:19]
	v_or_b32_e32 v2, v4, v2
	buffer_store_dword v2, off, s[0:3], s33 offset:216 ; 4-byte Folded Spill
.LBB6_7214:                             ;   in Loop: Header=BB6_6244 Depth=2
	s_or_b64 exec, exec, s[88:89]
                                        ; implicit-def: $vgpr2
.LBB6_7215:                             ;   in Loop: Header=BB6_6244 Depth=2
	s_andn2_saveexec_b64 s[18:19], s[78:79]
	s_cbranch_execz .LBB6_7217
; %bb.7216:                             ;   in Loop: Header=BB6_6244 Depth=2
	v_or_b32_e32 v2, 0x7e, v2
	buffer_store_dword v2, off, s[0:3], s33 offset:216 ; 4-byte Folded Spill
.LBB6_7217:                             ;   in Loop: Header=BB6_6244 Depth=2
	s_or_b64 exec, exec, s[18:19]
                                        ; implicit-def: $vgpr4
.LBB6_7218:                             ;   in Loop: Header=BB6_6244 Depth=2
	s_andn2_saveexec_b64 s[18:19], s[76:77]
	s_cbranch_execz .LBB6_7220
; %bb.7219:                             ;   in Loop: Header=BB6_6244 Depth=2
	v_or_b32_sdwa v2, v4, s39 dst_sel:DWORD dst_unused:UNUSED_PAD src0_sel:BYTE_3 src1_sel:DWORD
	buffer_store_dword v2, off, s[0:3], s33 offset:216 ; 4-byte Folded Spill
.LBB6_7220:                             ;   in Loop: Header=BB6_6244 Depth=2
	s_or_b64 exec, exec, s[18:19]
	v_mov_b32_e32 v50, v13
	v_cmp_ne_u16_sdwa s[76:77], v13, v51 src0_sel:BYTE_0 src1_sel:DWORD
	v_mov_b32_e32 v2, 0
	s_and_saveexec_b64 s[18:19], s[76:77]
	s_cbranch_execz .LBB6_7226
; %bb.7221:                             ;   in Loop: Header=BB6_6244 Depth=2
	v_cmp_ne_u16_sdwa s[78:79], v13, s50 src0_sel:BYTE_0 src1_sel:DWORD
	v_bfrev_b32_e32 v2, 1
	s_and_saveexec_b64 s[76:77], s[78:79]
	s_cbranch_execz .LBB6_7225
; %bb.7222:                             ;   in Loop: Header=BB6_6244 Depth=2
	v_and_b32_e32 v4, 0x7f, v13
	v_cmp_ne_u32_e32 vcc, s39, v4
	v_mov_b32_e32 v2, 0x7f800001
	s_and_saveexec_b64 s[78:79], vcc
	s_cbranch_execz .LBB6_7224
; %bb.7223:                             ;   in Loop: Header=BB6_6244 Depth=2
	v_and_b32_e32 v2, 7, v13
	v_ffbh_u32_e32 v2, v2
	v_min_u32_e32 v2, 32, v2
	v_lshrrev_b32_e32 v6, 3, v4
	v_cmp_gt_u32_e32 vcc, 8, v4
	v_subrev_u32_e32 v4, 28, v2
	v_cndmask_b32_e32 v4, 0, v4, vcc
	v_lshlrev_b64 v[9:10], v4, v[50:51]
	v_sub_u32_e32 v2, 29, v2
	v_cndmask_b32_e32 v2, v6, v2, vcc
	v_lshlrev_b32_e32 v4, 20, v9
	v_lshlrev_b32_e32 v6, 24, v50
	v_and_b32_e32 v4, 0x700000, v4
	v_and_b32_e32 v6, 0x80000000, v6
	v_lshl_add_u32 v2, v2, 23, v62
	v_or3_b32 v2, v6, v2, v4
.LBB6_7224:                             ;   in Loop: Header=BB6_6244 Depth=2
	s_or_b64 exec, exec, s[78:79]
.LBB6_7225:                             ;   in Loop: Header=BB6_6244 Depth=2
	s_or_b64 exec, exec, s[76:77]
.LBB6_7226:                             ;   in Loop: Header=BB6_6244 Depth=2
	s_or_b64 exec, exec, s[18:19]
	v_mul_f32_e32 v4, v17, v2
	v_and_b32_e32 v9, 0x7f800000, v4
	v_mov_b32_e32 v10, v51
	v_cmp_ne_u64_e32 vcc, s[46:47], v[9:10]
                                        ; implicit-def: $vgpr49
	s_and_saveexec_b64 s[18:19], vcc
	s_xor_b64 s[76:77], exec, s[18:19]
	s_cbranch_execz .LBB6_7240
; %bb.7227:                             ;   in Loop: Header=BB6_6244 Depth=2
	v_and_b32_e32 v9, 0x7fffffff, v4
	v_mov_b32_e32 v10, v51
	v_cmp_gt_u64_e32 vcc, s[56:57], v[9:10]
	v_and_b32_sdwa v2, v4, s50 dst_sel:DWORD dst_unused:UNUSED_PAD src0_sel:BYTE_3 src1_sel:DWORD
                                        ; implicit-def: $vgpr49
	s_and_saveexec_b64 s[18:19], vcc
	s_xor_b64 s[78:79], exec, s[18:19]
	s_cbranch_execz .LBB6_7237
; %bb.7228:                             ;   in Loop: Header=BB6_6244 Depth=2
	v_mov_b32_e32 v49, 0
	v_cmp_ne_u32_e32 vcc, 0, v4
	s_and_saveexec_b64 s[88:89], vcc
	s_cbranch_execz .LBB6_7236
; %bb.7229:                             ;   in Loop: Header=BB6_6244 Depth=2
	v_and_b32_e32 v9, 0x7fffff, v4
	v_bfe_u32 v4, v4, 23, 8
	v_cmp_gt_u32_e64 s[18:19], s51, v4
	v_sub_u32_e32 v6, 0x79, v4
	v_cmp_eq_u32_e32 vcc, 0, v4
	v_cndmask_b32_e64 v6, 0, v6, s[18:19]
	v_mov_b32_e32 v11, 0x78
	v_cndmask_b32_e32 v6, v6, v11, vcc
	v_or_b32_e32 v10, 0x800000, v9
	v_add_u32_e32 v11, 20, v6
	v_cndmask_b32_e32 v9, v10, v9, vcc
	v_mov_b32_e32 v10, v51
	v_lshlrev_b64 v[14:15], v11, -1
	v_add_u32_e32 v11, 19, v6
	v_lshlrev_b64 v[18:19], v11, 1
	v_lshrrev_b64 v[10:11], v6, v[9:10]
	v_bfi_b32 v15, v15, 0, 0
	v_bfi_b32 v14, v14, 0, v9
	v_cmp_eq_u64_e64 s[18:19], v[14:15], v[18:19]
	v_mov_b32_e32 v15, v11
	v_mov_b32_e32 v14, v10
	s_and_saveexec_b64 s[90:91], s[18:19]
; %bb.7230:                             ;   in Loop: Header=BB6_6244 Depth=2
	v_bfe_u32 v9, v10, 20, 1
	v_add_co_u32_e64 v9, s[18:19], v10, v9
	v_add_co_u32_e64 v14, s[18:19], -1, v9
; %bb.7231:                             ;   in Loop: Header=BB6_6244 Depth=2
	s_or_b64 exec, exec, s[90:91]
	v_add_u32_e32 v4, 0xffffff81, v4
	v_mov_b32_e32 v9, 0xffffff82
	v_cndmask_b32_e32 v4, v4, v9, vcc
	v_lshrrev_b32_e32 v9, 23, v10
	v_add3_u32 v9, v6, v4, v9
	v_add_u32_e32 v6, 6, v9
	v_and_b32_e32 v4, 0xfffff, v14
	v_add_u32_e32 v10, v4, v10
	v_mov_b32_e32 v11, v51
	v_cmp_ne_u32_e32 vcc, 0, v6
                                        ; implicit-def: $vgpr4
	s_and_saveexec_b64 s[18:19], vcc
	s_xor_b64 s[18:19], exec, s[18:19]
; %bb.7232:                             ;   in Loop: Header=BB6_6244 Depth=2
	v_cmp_lt_u64_e32 vcc, s[58:59], v[10:11]
	v_add_u32_e32 v4, 7, v9
	v_cndmask_b32_e32 v4, v6, v4, vcc
	v_cndmask_b32_e64 v6, 0, 1, vcc
	v_lshrrev_b64 v[10:11], v6, v[10:11]
; %bb.7233:                             ;   in Loop: Header=BB6_6244 Depth=2
	s_andn2_saveexec_b64 s[18:19], s[18:19]
; %bb.7234:                             ;   in Loop: Header=BB6_6244 Depth=2
	v_bfe_u32 v4, v10, 23, 1
; %bb.7235:                             ;   in Loop: Header=BB6_6244 Depth=2
	s_or_b64 exec, exec, s[18:19]
	v_lshrrev_b64 v[9:10], 20, v[10:11]
	v_cmp_gt_i32_e32 vcc, 16, v4
	v_cndmask_b32_e32 v10, 0, v10, vcc
	v_cndmask_b32_e32 v9, 7, v9, vcc
	v_cmp_eq_u32_e32 vcc, 0, v4
	v_min_i32_e32 v4, 15, v4
	v_cmp_eq_u64_e64 s[18:19], 0, v[9:10]
	v_lshlrev_b32_e32 v4, 3, v4
	v_and_b32_e32 v4, 0xf8, v4
	v_and_or_b32 v4, v9, 7, v4
	s_and_b64 s[18:19], vcc, s[18:19]
	v_cndmask_b32_e64 v4, v4, 0, s[18:19]
	v_or_b32_e32 v49, v4, v2
.LBB6_7236:                             ;   in Loop: Header=BB6_6244 Depth=2
	s_or_b64 exec, exec, s[88:89]
                                        ; implicit-def: $vgpr2
.LBB6_7237:                             ;   in Loop: Header=BB6_6244 Depth=2
	s_andn2_saveexec_b64 s[18:19], s[78:79]
; %bb.7238:                             ;   in Loop: Header=BB6_6244 Depth=2
	v_or_b32_e32 v49, 0x7e, v2
; %bb.7239:                             ;   in Loop: Header=BB6_6244 Depth=2
	s_or_b64 exec, exec, s[18:19]
                                        ; implicit-def: $vgpr4
.LBB6_7240:                             ;   in Loop: Header=BB6_6244 Depth=2
	s_andn2_saveexec_b64 s[18:19], s[76:77]
; %bb.7241:                             ;   in Loop: Header=BB6_6244 Depth=2
	v_or_b32_sdwa v49, v4, s39 dst_sel:DWORD dst_unused:UNUSED_PAD src0_sel:BYTE_3 src1_sel:DWORD
; %bb.7242:                             ;   in Loop: Header=BB6_6244 Depth=2
	s_or_b64 exec, exec, s[18:19]
	v_lshrrev_b16_e32 v10, 8, v50
	v_cmp_ne_u16_e32 vcc, 0, v10
	v_mov_b32_e32 v2, 0
	s_and_saveexec_b64 s[18:19], vcc
	s_cbranch_execz .LBB6_7248
; %bb.7243:                             ;   in Loop: Header=BB6_6244 Depth=2
	v_cmp_ne_u16_e32 vcc, s50, v10
	v_bfrev_b32_e32 v2, 1
	s_and_saveexec_b64 s[76:77], vcc
	s_cbranch_execz .LBB6_7247
; %bb.7244:                             ;   in Loop: Header=BB6_6244 Depth=2
	v_and_b32_e32 v4, 0x7f, v10
	v_cmp_ne_u32_e32 vcc, s39, v4
	v_mov_b32_e32 v2, 0x7f800001
	s_and_saveexec_b64 s[78:79], vcc
	s_cbranch_execz .LBB6_7246
; %bb.7245:                             ;   in Loop: Header=BB6_6244 Depth=2
	v_and_b32_e32 v2, 7, v10
	v_lshrrev_b32_e32 v6, 3, v4
	v_cmp_gt_u32_e32 vcc, 8, v4
	v_ffbh_u32_e32 v4, v2
	v_min_u32_e32 v4, 32, v4
	v_subrev_u32_e32 v9, 28, v4
	v_lshlrev_b64 v[9:10], v9, v[10:11]
	v_sub_u32_e32 v4, 29, v4
	v_and_b32_e32 v9, 7, v9
	v_cndmask_b32_e32 v4, v6, v4, vcc
	v_cndmask_b32_e32 v2, v2, v9, vcc
	v_lshlrev_b32_e32 v6, 16, v50
	v_lshlrev_b32_e32 v2, 20, v2
	v_and_b32_e32 v6, 0x80000000, v6
	v_lshl_add_u32 v4, v4, 23, v62
	v_or3_b32 v2, v6, v4, v2
.LBB6_7246:                             ;   in Loop: Header=BB6_6244 Depth=2
	s_or_b64 exec, exec, s[78:79]
.LBB6_7247:                             ;   in Loop: Header=BB6_6244 Depth=2
	s_or_b64 exec, exec, s[76:77]
.LBB6_7248:                             ;   in Loop: Header=BB6_6244 Depth=2
	s_or_b64 exec, exec, s[18:19]
	v_mul_f32_e32 v4, v17, v2
	v_and_b32_e32 v50, 0x7f800000, v4
	v_cmp_ne_u64_e32 vcc, s[46:47], v[50:51]
                                        ; implicit-def: $vgpr2
                                        ; kill: killed $vgpr2
	s_and_saveexec_b64 s[18:19], vcc
	s_xor_b64 s[76:77], exec, s[18:19]
	s_cbranch_execz .LBB6_7262
; %bb.7249:                             ;   in Loop: Header=BB6_6244 Depth=2
	v_and_b32_e32 v50, 0x7fffffff, v4
	v_cmp_gt_u64_e32 vcc, s[56:57], v[50:51]
	v_and_b32_sdwa v2, v4, s50 dst_sel:DWORD dst_unused:UNUSED_PAD src0_sel:BYTE_3 src1_sel:DWORD
                                        ; implicit-def: $vgpr6
                                        ; kill: killed $vgpr6
	s_and_saveexec_b64 s[18:19], vcc
	s_xor_b64 s[78:79], exec, s[18:19]
	s_cbranch_execz .LBB6_7259
; %bb.7250:                             ;   in Loop: Header=BB6_6244 Depth=2
	v_mov_b32_e32 v6, 0
	v_cmp_ne_u32_e32 vcc, 0, v4
	buffer_store_dword v6, off, s[0:3], s33 offset:152 ; 4-byte Folded Spill
	s_and_saveexec_b64 s[88:89], vcc
	s_cbranch_execz .LBB6_7258
; %bb.7251:                             ;   in Loop: Header=BB6_6244 Depth=2
	v_and_b32_e32 v9, 0x7fffff, v4
	v_bfe_u32 v4, v4, 23, 8
	v_cmp_gt_u32_e64 s[18:19], s51, v4
	v_sub_u32_e32 v6, 0x79, v4
	v_cmp_eq_u32_e32 vcc, 0, v4
	v_cndmask_b32_e64 v6, 0, v6, s[18:19]
	v_mov_b32_e32 v11, 0x78
	v_or_b32_e32 v10, 0x800000, v9
	v_cndmask_b32_e32 v6, v6, v11, vcc
	v_cndmask_b32_e32 v50, v10, v9, vcc
	v_add_u32_e32 v9, 20, v6
	v_lshlrev_b64 v[9:10], v9, -1
	v_add_u32_e32 v11, 19, v6
	v_lshlrev_b64 v[14:15], v11, 1
	v_bfi_b32 v10, v10, 0, 0
	v_bfi_b32 v9, v9, 0, v50
	v_cmp_eq_u64_e64 s[18:19], v[9:10], v[14:15]
	v_lshrrev_b64 v[10:11], v6, v[50:51]
	v_mov_b32_e32 v15, v11
	v_mov_b32_e32 v14, v10
	s_and_saveexec_b64 s[90:91], s[18:19]
; %bb.7252:                             ;   in Loop: Header=BB6_6244 Depth=2
	v_bfe_u32 v9, v10, 20, 1
	v_add_co_u32_e64 v9, s[18:19], v10, v9
	v_add_co_u32_e64 v14, s[18:19], -1, v9
; %bb.7253:                             ;   in Loop: Header=BB6_6244 Depth=2
	s_or_b64 exec, exec, s[90:91]
	v_add_u32_e32 v4, 0xffffff81, v4
	v_mov_b32_e32 v9, 0xffffff82
	v_cndmask_b32_e32 v4, v4, v9, vcc
	v_lshrrev_b32_e32 v9, 23, v10
	v_add3_u32 v9, v6, v4, v9
	v_add_u32_e32 v6, 6, v9
	v_and_b32_e32 v4, 0xfffff, v14
	v_add_u32_e32 v50, v4, v10
	v_cmp_ne_u32_e32 vcc, 0, v6
                                        ; implicit-def: $vgpr10_vgpr11
                                        ; implicit-def: $vgpr4
	s_and_saveexec_b64 s[18:19], vcc
	s_xor_b64 s[18:19], exec, s[18:19]
; %bb.7254:                             ;   in Loop: Header=BB6_6244 Depth=2
	v_cmp_lt_u64_e32 vcc, s[58:59], v[50:51]
	v_add_u32_e32 v4, 7, v9
	v_cndmask_b32_e32 v4, v6, v4, vcc
	v_cndmask_b32_e64 v6, 0, 1, vcc
	v_lshrrev_b64 v[10:11], v6, v[50:51]
; %bb.7255:                             ;   in Loop: Header=BB6_6244 Depth=2
	s_andn2_saveexec_b64 s[18:19], s[18:19]
; %bb.7256:                             ;   in Loop: Header=BB6_6244 Depth=2
	v_mov_b32_e32 v10, v50
	v_bfe_u32 v4, v50, 23, 1
	v_mov_b32_e32 v11, v51
; %bb.7257:                             ;   in Loop: Header=BB6_6244 Depth=2
	s_or_b64 exec, exec, s[18:19]
	v_lshrrev_b64 v[9:10], 20, v[10:11]
	v_cmp_gt_i32_e32 vcc, 16, v4
	v_cndmask_b32_e32 v10, 0, v10, vcc
	v_cndmask_b32_e32 v9, 7, v9, vcc
	v_cmp_eq_u32_e32 vcc, 0, v4
	v_min_i32_e32 v4, 15, v4
	v_cmp_eq_u64_e64 s[18:19], 0, v[9:10]
	v_lshlrev_b32_e32 v4, 3, v4
	v_and_b32_e32 v4, 0xf8, v4
	v_and_or_b32 v4, v9, 7, v4
	s_and_b64 s[18:19], vcc, s[18:19]
	v_cndmask_b32_e64 v4, v4, 0, s[18:19]
	v_or_b32_e32 v2, v4, v2
	buffer_store_dword v2, off, s[0:3], s33 offset:152 ; 4-byte Folded Spill
.LBB6_7258:                             ;   in Loop: Header=BB6_6244 Depth=2
	s_or_b64 exec, exec, s[88:89]
                                        ; implicit-def: $vgpr2
.LBB6_7259:                             ;   in Loop: Header=BB6_6244 Depth=2
	s_andn2_saveexec_b64 s[18:19], s[78:79]
	s_cbranch_execz .LBB6_7261
; %bb.7260:                             ;   in Loop: Header=BB6_6244 Depth=2
	v_or_b32_e32 v2, 0x7e, v2
	buffer_store_dword v2, off, s[0:3], s33 offset:152 ; 4-byte Folded Spill
.LBB6_7261:                             ;   in Loop: Header=BB6_6244 Depth=2
	s_or_b64 exec, exec, s[18:19]
                                        ; implicit-def: $vgpr4
.LBB6_7262:                             ;   in Loop: Header=BB6_6244 Depth=2
	s_andn2_saveexec_b64 s[18:19], s[76:77]
	s_cbranch_execz .LBB6_7264
; %bb.7263:                             ;   in Loop: Header=BB6_6244 Depth=2
	v_or_b32_sdwa v2, v4, s39 dst_sel:DWORD dst_unused:UNUSED_PAD src0_sel:BYTE_3 src1_sel:DWORD
	buffer_store_dword v2, off, s[0:3], s33 offset:152 ; 4-byte Folded Spill
.LBB6_7264:                             ;   in Loop: Header=BB6_6244 Depth=2
	s_or_b64 exec, exec, s[18:19]
	v_lshrrev_b32_e32 v10, 16, v13
	v_cmp_ne_u16_sdwa s[76:77], v10, v51 src0_sel:BYTE_0 src1_sel:DWORD
	v_mov_b32_e32 v2, 0
	s_and_saveexec_b64 s[18:19], s[76:77]
	s_cbranch_execz .LBB6_7270
; %bb.7265:                             ;   in Loop: Header=BB6_6244 Depth=2
	v_cmp_ne_u16_sdwa s[78:79], v10, s50 src0_sel:BYTE_0 src1_sel:DWORD
	v_bfrev_b32_e32 v2, 1
	s_and_saveexec_b64 s[76:77], s[78:79]
	s_cbranch_execz .LBB6_7269
; %bb.7266:                             ;   in Loop: Header=BB6_6244 Depth=2
	v_bfe_u32 v4, v13, 16, 7
	v_cmp_ne_u32_e32 vcc, s39, v4
	v_mov_b32_e32 v2, 0x7f800001
	s_and_saveexec_b64 s[78:79], vcc
	s_cbranch_execz .LBB6_7268
; %bb.7267:                             ;   in Loop: Header=BB6_6244 Depth=2
	v_and_b32_e32 v2, 7, v10
	v_lshrrev_b32_e32 v6, 3, v4
	v_cmp_gt_u32_e32 vcc, 8, v4
	v_ffbh_u32_e32 v4, v2
	v_min_u32_e32 v4, 32, v4
	v_subrev_u32_e32 v9, 28, v4
	v_lshlrev_b64 v[14:15], v9, v[10:11]
	v_sub_u32_e32 v4, 29, v4
	v_and_b32_e32 v9, 7, v14
	v_cndmask_b32_e32 v4, v6, v4, vcc
	v_cndmask_b32_e32 v2, v2, v9, vcc
	v_lshlrev_b32_e32 v6, 24, v10
	v_lshlrev_b32_e32 v2, 20, v2
	v_and_b32_e32 v6, 0x80000000, v6
	v_lshl_add_u32 v4, v4, 23, v62
	v_or3_b32 v2, v6, v4, v2
.LBB6_7268:                             ;   in Loop: Header=BB6_6244 Depth=2
	s_or_b64 exec, exec, s[78:79]
.LBB6_7269:                             ;   in Loop: Header=BB6_6244 Depth=2
	s_or_b64 exec, exec, s[76:77]
.LBB6_7270:                             ;   in Loop: Header=BB6_6244 Depth=2
	s_or_b64 exec, exec, s[18:19]
	v_mul_f32_e32 v4, v17, v2
	v_and_b32_e32 v50, 0x7f800000, v4
	v_cmp_ne_u64_e32 vcc, s[46:47], v[50:51]
                                        ; implicit-def: $vgpr2
                                        ; kill: killed $vgpr2
	s_and_saveexec_b64 s[18:19], vcc
	s_xor_b64 s[76:77], exec, s[18:19]
	s_cbranch_execz .LBB6_7284
; %bb.7271:                             ;   in Loop: Header=BB6_6244 Depth=2
	v_and_b32_e32 v50, 0x7fffffff, v4
	v_cmp_gt_u64_e32 vcc, s[56:57], v[50:51]
	v_and_b32_sdwa v2, v4, s50 dst_sel:DWORD dst_unused:UNUSED_PAD src0_sel:BYTE_3 src1_sel:DWORD
                                        ; implicit-def: $vgpr6
                                        ; kill: killed $vgpr6
	s_and_saveexec_b64 s[18:19], vcc
	s_xor_b64 s[78:79], exec, s[18:19]
	s_cbranch_execz .LBB6_7281
; %bb.7272:                             ;   in Loop: Header=BB6_6244 Depth=2
	v_mov_b32_e32 v6, 0
	v_cmp_ne_u32_e32 vcc, 0, v4
	buffer_store_dword v6, off, s[0:3], s33 offset:184 ; 4-byte Folded Spill
	s_and_saveexec_b64 s[88:89], vcc
	s_cbranch_execz .LBB6_7280
; %bb.7273:                             ;   in Loop: Header=BB6_6244 Depth=2
	v_and_b32_e32 v9, 0x7fffff, v4
	v_bfe_u32 v4, v4, 23, 8
	v_cmp_gt_u32_e64 s[18:19], s51, v4
	v_sub_u32_e32 v6, 0x79, v4
	v_cmp_eq_u32_e32 vcc, 0, v4
	v_cndmask_b32_e64 v6, 0, v6, s[18:19]
	v_mov_b32_e32 v11, 0x78
	v_or_b32_e32 v10, 0x800000, v9
	v_cndmask_b32_e32 v6, v6, v11, vcc
	v_cndmask_b32_e32 v50, v10, v9, vcc
	v_add_u32_e32 v9, 20, v6
	v_lshlrev_b64 v[9:10], v9, -1
	v_add_u32_e32 v11, 19, v6
	v_lshlrev_b64 v[14:15], v11, 1
	v_bfi_b32 v10, v10, 0, 0
	v_bfi_b32 v9, v9, 0, v50
	v_cmp_eq_u64_e64 s[18:19], v[9:10], v[14:15]
	v_lshrrev_b64 v[10:11], v6, v[50:51]
	v_mov_b32_e32 v15, v11
	v_mov_b32_e32 v14, v10
	s_and_saveexec_b64 s[90:91], s[18:19]
; %bb.7274:                             ;   in Loop: Header=BB6_6244 Depth=2
	v_bfe_u32 v9, v10, 20, 1
	v_add_co_u32_e64 v9, s[18:19], v10, v9
	v_add_co_u32_e64 v14, s[18:19], -1, v9
; %bb.7275:                             ;   in Loop: Header=BB6_6244 Depth=2
	s_or_b64 exec, exec, s[90:91]
	v_add_u32_e32 v4, 0xffffff81, v4
	v_mov_b32_e32 v9, 0xffffff82
	v_cndmask_b32_e32 v4, v4, v9, vcc
	v_lshrrev_b32_e32 v9, 23, v10
	v_add3_u32 v9, v6, v4, v9
	v_add_u32_e32 v6, 6, v9
	v_and_b32_e32 v4, 0xfffff, v14
	v_add_u32_e32 v50, v4, v10
	v_cmp_ne_u32_e32 vcc, 0, v6
                                        ; implicit-def: $vgpr10_vgpr11
                                        ; implicit-def: $vgpr4
	s_and_saveexec_b64 s[18:19], vcc
	s_xor_b64 s[18:19], exec, s[18:19]
; %bb.7276:                             ;   in Loop: Header=BB6_6244 Depth=2
	v_cmp_lt_u64_e32 vcc, s[58:59], v[50:51]
	v_add_u32_e32 v4, 7, v9
	v_cndmask_b32_e32 v4, v6, v4, vcc
	v_cndmask_b32_e64 v6, 0, 1, vcc
	v_lshrrev_b64 v[10:11], v6, v[50:51]
; %bb.7277:                             ;   in Loop: Header=BB6_6244 Depth=2
	s_andn2_saveexec_b64 s[18:19], s[18:19]
; %bb.7278:                             ;   in Loop: Header=BB6_6244 Depth=2
	v_mov_b32_e32 v10, v50
	v_bfe_u32 v4, v50, 23, 1
	v_mov_b32_e32 v11, v51
; %bb.7279:                             ;   in Loop: Header=BB6_6244 Depth=2
	s_or_b64 exec, exec, s[18:19]
	v_lshrrev_b64 v[9:10], 20, v[10:11]
	v_cmp_gt_i32_e32 vcc, 16, v4
	v_cndmask_b32_e32 v10, 0, v10, vcc
	v_cndmask_b32_e32 v9, 7, v9, vcc
	v_cmp_eq_u32_e32 vcc, 0, v4
	v_min_i32_e32 v4, 15, v4
	v_cmp_eq_u64_e64 s[18:19], 0, v[9:10]
	v_lshlrev_b32_e32 v4, 3, v4
	v_and_b32_e32 v4, 0xf8, v4
	v_and_or_b32 v4, v9, 7, v4
	s_and_b64 s[18:19], vcc, s[18:19]
	v_cndmask_b32_e64 v4, v4, 0, s[18:19]
	v_or_b32_e32 v2, v4, v2
	buffer_store_dword v2, off, s[0:3], s33 offset:184 ; 4-byte Folded Spill
.LBB6_7280:                             ;   in Loop: Header=BB6_6244 Depth=2
	s_or_b64 exec, exec, s[88:89]
                                        ; implicit-def: $vgpr2
.LBB6_7281:                             ;   in Loop: Header=BB6_6244 Depth=2
	s_andn2_saveexec_b64 s[18:19], s[78:79]
	s_cbranch_execz .LBB6_7283
; %bb.7282:                             ;   in Loop: Header=BB6_6244 Depth=2
	v_or_b32_e32 v2, 0x7e, v2
	buffer_store_dword v2, off, s[0:3], s33 offset:184 ; 4-byte Folded Spill
.LBB6_7283:                             ;   in Loop: Header=BB6_6244 Depth=2
	s_or_b64 exec, exec, s[18:19]
                                        ; implicit-def: $vgpr4
.LBB6_7284:                             ;   in Loop: Header=BB6_6244 Depth=2
	s_andn2_saveexec_b64 s[18:19], s[76:77]
	s_cbranch_execz .LBB6_7286
; %bb.7285:                             ;   in Loop: Header=BB6_6244 Depth=2
	v_or_b32_sdwa v2, v4, s39 dst_sel:DWORD dst_unused:UNUSED_PAD src0_sel:BYTE_3 src1_sel:DWORD
	buffer_store_dword v2, off, s[0:3], s33 offset:184 ; 4-byte Folded Spill
.LBB6_7286:                             ;   in Loop: Header=BB6_6244 Depth=2
	s_or_b64 exec, exec, s[18:19]
	v_cmp_lt_u64_e32 vcc, s[60:61], v[12:13]
	v_mov_b32_e32 v2, 0
	s_and_saveexec_b64 s[18:19], vcc
	s_cbranch_execz .LBB6_7292
; %bb.7287:                             ;   in Loop: Header=BB6_6244 Depth=2
	v_lshrrev_b32_e32 v10, 24, v13
	v_cmp_ne_u32_e32 vcc, s50, v10
	v_bfrev_b32_e32 v2, 1
	s_and_saveexec_b64 s[76:77], vcc
	s_cbranch_execz .LBB6_7291
; %bb.7288:                             ;   in Loop: Header=BB6_6244 Depth=2
	v_bfe_u32 v4, v13, 24, 7
	v_cmp_ne_u32_e32 vcc, s39, v4
	v_mov_b32_e32 v2, 0x7f800001
	s_and_saveexec_b64 s[78:79], vcc
	s_cbranch_execz .LBB6_7290
; %bb.7289:                             ;   in Loop: Header=BB6_6244 Depth=2
	v_and_b32_e32 v2, 7, v10
	v_lshrrev_b32_e32 v6, 3, v4
	v_cmp_gt_u32_e32 vcc, 8, v4
	v_ffbh_u32_e32 v4, v2
	v_min_u32_e32 v4, 32, v4
	v_subrev_u32_e32 v9, 28, v4
	v_lshlrev_b64 v[11:12], v9, v[10:11]
	v_sub_u32_e32 v4, 29, v4
	v_and_b32_e32 v9, 7, v11
	v_cndmask_b32_e32 v4, v6, v4, vcc
	v_cndmask_b32_e32 v2, v2, v9, vcc
	v_lshlrev_b32_e32 v6, 24, v10
	v_lshlrev_b32_e32 v2, 20, v2
	v_and_b32_e32 v6, 0x80000000, v6
	v_lshl_add_u32 v4, v4, 23, v62
	v_or3_b32 v2, v6, v4, v2
.LBB6_7290:                             ;   in Loop: Header=BB6_6244 Depth=2
	s_or_b64 exec, exec, s[78:79]
.LBB6_7291:                             ;   in Loop: Header=BB6_6244 Depth=2
	s_or_b64 exec, exec, s[76:77]
.LBB6_7292:                             ;   in Loop: Header=BB6_6244 Depth=2
	s_or_b64 exec, exec, s[18:19]
	v_mul_f32_e32 v4, v17, v2
	v_and_b32_e32 v50, 0x7f800000, v4
	v_cmp_ne_u64_e32 vcc, s[46:47], v[50:51]
                                        ; implicit-def: $vgpr2
                                        ; kill: killed $vgpr2
	s_and_saveexec_b64 s[18:19], vcc
	s_xor_b64 s[76:77], exec, s[18:19]
	s_cbranch_execz .LBB6_7306
; %bb.7293:                             ;   in Loop: Header=BB6_6244 Depth=2
	v_and_b32_e32 v50, 0x7fffffff, v4
	v_cmp_gt_u64_e32 vcc, s[56:57], v[50:51]
	v_and_b32_sdwa v2, v4, s50 dst_sel:DWORD dst_unused:UNUSED_PAD src0_sel:BYTE_3 src1_sel:DWORD
                                        ; implicit-def: $vgpr6
                                        ; kill: killed $vgpr6
	s_and_saveexec_b64 s[18:19], vcc
	s_xor_b64 s[78:79], exec, s[18:19]
	s_cbranch_execz .LBB6_7303
; %bb.7294:                             ;   in Loop: Header=BB6_6244 Depth=2
	v_mov_b32_e32 v6, 0
	v_cmp_ne_u32_e32 vcc, 0, v4
	buffer_store_dword v6, off, s[0:3], s33 offset:204 ; 4-byte Folded Spill
	s_and_saveexec_b64 s[88:89], vcc
	s_cbranch_execz .LBB6_7302
; %bb.7295:                             ;   in Loop: Header=BB6_6244 Depth=2
	v_and_b32_e32 v9, 0x7fffff, v4
	v_bfe_u32 v4, v4, 23, 8
	v_cmp_gt_u32_e64 s[18:19], s51, v4
	v_sub_u32_e32 v6, 0x79, v4
	v_cmp_eq_u32_e32 vcc, 0, v4
	v_cndmask_b32_e64 v6, 0, v6, s[18:19]
	v_mov_b32_e32 v11, 0x78
	v_or_b32_e32 v10, 0x800000, v9
	v_cndmask_b32_e32 v6, v6, v11, vcc
	v_cndmask_b32_e32 v50, v10, v9, vcc
	v_add_u32_e32 v9, 20, v6
	v_lshlrev_b64 v[9:10], v9, -1
	v_add_u32_e32 v11, 19, v6
	v_lshlrev_b64 v[11:12], v11, 1
	v_bfi_b32 v10, v10, 0, 0
	v_bfi_b32 v9, v9, 0, v50
	v_cmp_eq_u64_e64 s[18:19], v[9:10], v[11:12]
	v_lshrrev_b64 v[10:11], v6, v[50:51]
	v_mov_b32_e32 v12, v11
	v_mov_b32_e32 v11, v10
	s_and_saveexec_b64 s[90:91], s[18:19]
; %bb.7296:                             ;   in Loop: Header=BB6_6244 Depth=2
	v_bfe_u32 v9, v10, 20, 1
	v_add_co_u32_e64 v9, s[18:19], v10, v9
	v_add_co_u32_e64 v11, s[18:19], -1, v9
; %bb.7297:                             ;   in Loop: Header=BB6_6244 Depth=2
	s_or_b64 exec, exec, s[90:91]
	v_add_u32_e32 v4, 0xffffff81, v4
	v_mov_b32_e32 v9, 0xffffff82
	v_cndmask_b32_e32 v4, v4, v9, vcc
	v_lshrrev_b32_e32 v9, 23, v10
	v_add3_u32 v9, v6, v4, v9
	v_add_u32_e32 v6, 6, v9
	v_and_b32_e32 v4, 0xfffff, v11
	v_add_u32_e32 v50, v4, v10
	v_cmp_ne_u32_e32 vcc, 0, v6
                                        ; implicit-def: $vgpr10_vgpr11
                                        ; implicit-def: $vgpr4
	s_and_saveexec_b64 s[18:19], vcc
	s_xor_b64 s[18:19], exec, s[18:19]
; %bb.7298:                             ;   in Loop: Header=BB6_6244 Depth=2
	v_cmp_lt_u64_e32 vcc, s[58:59], v[50:51]
	v_add_u32_e32 v4, 7, v9
	v_cndmask_b32_e32 v4, v6, v4, vcc
	v_cndmask_b32_e64 v6, 0, 1, vcc
	v_lshrrev_b64 v[10:11], v6, v[50:51]
; %bb.7299:                             ;   in Loop: Header=BB6_6244 Depth=2
	s_andn2_saveexec_b64 s[18:19], s[18:19]
; %bb.7300:                             ;   in Loop: Header=BB6_6244 Depth=2
	v_mov_b32_e32 v10, v50
	v_bfe_u32 v4, v50, 23, 1
	v_mov_b32_e32 v11, v51
; %bb.7301:                             ;   in Loop: Header=BB6_6244 Depth=2
	s_or_b64 exec, exec, s[18:19]
	v_lshrrev_b64 v[9:10], 20, v[10:11]
	v_cmp_gt_i32_e32 vcc, 16, v4
	v_cndmask_b32_e32 v10, 0, v10, vcc
	v_cndmask_b32_e32 v9, 7, v9, vcc
	v_cmp_eq_u32_e32 vcc, 0, v4
	v_min_i32_e32 v4, 15, v4
	v_cmp_eq_u64_e64 s[18:19], 0, v[9:10]
	v_lshlrev_b32_e32 v4, 3, v4
	v_and_b32_e32 v4, 0xf8, v4
	v_and_or_b32 v4, v9, 7, v4
	s_and_b64 s[18:19], vcc, s[18:19]
	v_cndmask_b32_e64 v4, v4, 0, s[18:19]
	v_or_b32_e32 v2, v4, v2
	buffer_store_dword v2, off, s[0:3], s33 offset:204 ; 4-byte Folded Spill
.LBB6_7302:                             ;   in Loop: Header=BB6_6244 Depth=2
	s_or_b64 exec, exec, s[88:89]
                                        ; implicit-def: $vgpr2
.LBB6_7303:                             ;   in Loop: Header=BB6_6244 Depth=2
	s_andn2_saveexec_b64 s[18:19], s[78:79]
	s_cbranch_execz .LBB6_7305
; %bb.7304:                             ;   in Loop: Header=BB6_6244 Depth=2
	v_or_b32_e32 v2, 0x7e, v2
	buffer_store_dword v2, off, s[0:3], s33 offset:204 ; 4-byte Folded Spill
.LBB6_7305:                             ;   in Loop: Header=BB6_6244 Depth=2
	s_or_b64 exec, exec, s[18:19]
                                        ; implicit-def: $vgpr4
.LBB6_7306:                             ;   in Loop: Header=BB6_6244 Depth=2
	s_andn2_saveexec_b64 s[18:19], s[76:77]
	s_cbranch_execz .LBB6_7308
; %bb.7307:                             ;   in Loop: Header=BB6_6244 Depth=2
	v_or_b32_sdwa v2, v4, s39 dst_sel:DWORD dst_unused:UNUSED_PAD src0_sel:BYTE_3 src1_sel:DWORD
	buffer_store_dword v2, off, s[0:3], s33 offset:204 ; 4-byte Folded Spill
.LBB6_7308:                             ;   in Loop: Header=BB6_6244 Depth=2
	s_or_b64 exec, exec, s[18:19]
	global_load_dwordx4 v[10:13], v[44:45], off offset:3072 glc slc
	v_mov_b32_e32 v2, 0
	s_waitcnt vmcnt(0)
	v_cmp_ne_u16_sdwa s[76:77], v10, v51 src0_sel:BYTE_0 src1_sel:DWORD
	s_and_saveexec_b64 s[18:19], s[76:77]
	s_cbranch_execz .LBB6_7314
; %bb.7309:                             ;   in Loop: Header=BB6_6244 Depth=2
	v_cmp_ne_u16_sdwa s[78:79], v10, s50 src0_sel:BYTE_0 src1_sel:DWORD
	v_bfrev_b32_e32 v2, 1
	s_and_saveexec_b64 s[76:77], s[78:79]
	s_cbranch_execz .LBB6_7313
; %bb.7310:                             ;   in Loop: Header=BB6_6244 Depth=2
	v_and_b32_e32 v4, 0x7f, v10
	v_cmp_ne_u32_e32 vcc, s39, v4
	v_mov_b32_e32 v2, 0x7f800001
	s_and_saveexec_b64 s[78:79], vcc
	s_cbranch_execz .LBB6_7312
; %bb.7311:                             ;   in Loop: Header=BB6_6244 Depth=2
	v_and_b32_e32 v2, 7, v10
	v_ffbh_u32_e32 v2, v2
	v_min_u32_e32 v2, 32, v2
	v_lshrrev_b32_e32 v6, 3, v4
	v_cmp_gt_u32_e32 vcc, 8, v4
	v_subrev_u32_e32 v4, 28, v2
	v_cndmask_b32_e32 v4, 0, v4, vcc
	v_lshlrev_b64 v[14:15], v4, v[10:11]
	v_sub_u32_e32 v2, 29, v2
	v_cndmask_b32_e32 v2, v6, v2, vcc
	v_lshlrev_b32_e32 v4, 20, v14
	v_lshlrev_b32_e32 v6, 24, v10
	v_and_b32_e32 v4, 0x700000, v4
	v_and_b32_e32 v6, 0x80000000, v6
	v_lshl_add_u32 v2, v2, 23, v62
	v_or3_b32 v2, v6, v2, v4
.LBB6_7312:                             ;   in Loop: Header=BB6_6244 Depth=2
	s_or_b64 exec, exec, s[78:79]
.LBB6_7313:                             ;   in Loop: Header=BB6_6244 Depth=2
	s_or_b64 exec, exec, s[76:77]
.LBB6_7314:                             ;   in Loop: Header=BB6_6244 Depth=2
	s_or_b64 exec, exec, s[18:19]
	v_mul_f32_e32 v4, v17, v2
	v_and_b32_e32 v50, 0x7f800000, v4
	v_cmp_ne_u64_e32 vcc, s[46:47], v[50:51]
                                        ; implicit-def: $vgpr36
	s_and_saveexec_b64 s[18:19], vcc
	s_xor_b64 s[76:77], exec, s[18:19]
	s_cbranch_execz .LBB6_7328
; %bb.7315:                             ;   in Loop: Header=BB6_6244 Depth=2
	v_and_b32_e32 v50, 0x7fffffff, v4
	v_cmp_gt_u64_e32 vcc, s[56:57], v[50:51]
	v_and_b32_sdwa v2, v4, s50 dst_sel:DWORD dst_unused:UNUSED_PAD src0_sel:BYTE_3 src1_sel:DWORD
                                        ; implicit-def: $vgpr36
	s_and_saveexec_b64 s[18:19], vcc
	s_xor_b64 s[78:79], exec, s[18:19]
	s_cbranch_execz .LBB6_7325
; %bb.7316:                             ;   in Loop: Header=BB6_6244 Depth=2
	v_mov_b32_e32 v36, 0
	v_cmp_ne_u32_e32 vcc, 0, v4
	s_and_saveexec_b64 s[88:89], vcc
	s_cbranch_execz .LBB6_7324
; %bb.7317:                             ;   in Loop: Header=BB6_6244 Depth=2
	v_and_b32_e32 v9, 0x7fffff, v4
	v_bfe_u32 v4, v4, 23, 8
	v_cmp_gt_u32_e64 s[18:19], s51, v4
	v_sub_u32_e32 v6, 0x79, v4
	v_cmp_eq_u32_e32 vcc, 0, v4
	v_cndmask_b32_e64 v6, 0, v6, s[18:19]
	v_mov_b32_e32 v15, 0x78
	v_or_b32_e32 v14, 0x800000, v9
	v_cndmask_b32_e32 v6, v6, v15, vcc
	v_cndmask_b32_e32 v50, v14, v9, vcc
	v_add_u32_e32 v9, 20, v6
	v_lshlrev_b64 v[14:15], v9, -1
	v_add_u32_e32 v9, 19, v6
	v_lshlrev_b64 v[18:19], v9, 1
	v_bfi_b32 v15, v15, 0, 0
	v_bfi_b32 v14, v14, 0, v50
	v_cmp_eq_u64_e64 s[18:19], v[14:15], v[18:19]
	v_lshrrev_b64 v[14:15], v6, v[50:51]
	v_mov_b32_e32 v16, v15
	v_mov_b32_e32 v15, v14
	s_and_saveexec_b64 s[90:91], s[18:19]
; %bb.7318:                             ;   in Loop: Header=BB6_6244 Depth=2
	v_bfe_u32 v9, v14, 20, 1
	v_add_co_u32_e64 v9, s[18:19], v14, v9
	v_add_co_u32_e64 v15, s[18:19], -1, v9
; %bb.7319:                             ;   in Loop: Header=BB6_6244 Depth=2
	s_or_b64 exec, exec, s[90:91]
	v_add_u32_e32 v4, 0xffffff81, v4
	v_mov_b32_e32 v9, 0xffffff82
	v_cndmask_b32_e32 v4, v4, v9, vcc
	v_lshrrev_b32_e32 v9, 23, v14
	v_add3_u32 v9, v6, v4, v9
	v_add_u32_e32 v6, 6, v9
	v_and_b32_e32 v4, 0xfffff, v15
	v_add_u32_e32 v50, v4, v14
	v_cmp_ne_u32_e32 vcc, 0, v6
                                        ; implicit-def: $vgpr14_vgpr15
                                        ; implicit-def: $vgpr4
	s_and_saveexec_b64 s[18:19], vcc
	s_xor_b64 s[18:19], exec, s[18:19]
; %bb.7320:                             ;   in Loop: Header=BB6_6244 Depth=2
	v_cmp_lt_u64_e32 vcc, s[58:59], v[50:51]
	v_add_u32_e32 v4, 7, v9
	v_cndmask_b32_e32 v4, v6, v4, vcc
	v_cndmask_b32_e64 v6, 0, 1, vcc
	v_lshrrev_b64 v[14:15], v6, v[50:51]
; %bb.7321:                             ;   in Loop: Header=BB6_6244 Depth=2
	s_andn2_saveexec_b64 s[18:19], s[18:19]
; %bb.7322:                             ;   in Loop: Header=BB6_6244 Depth=2
	v_mov_b32_e32 v14, v50
	v_bfe_u32 v4, v50, 23, 1
	v_mov_b32_e32 v15, v51
; %bb.7323:                             ;   in Loop: Header=BB6_6244 Depth=2
	s_or_b64 exec, exec, s[18:19]
	v_lshrrev_b64 v[14:15], 20, v[14:15]
	v_cmp_gt_i32_e32 vcc, 16, v4
	v_cndmask_b32_e32 v15, 0, v15, vcc
	v_cndmask_b32_e32 v14, 7, v14, vcc
	v_cmp_eq_u32_e32 vcc, 0, v4
	v_min_i32_e32 v4, 15, v4
	v_cmp_eq_u64_e64 s[18:19], 0, v[14:15]
	v_lshlrev_b32_e32 v4, 3, v4
	v_and_b32_e32 v4, 0xf8, v4
	v_and_or_b32 v4, v14, 7, v4
	s_and_b64 s[18:19], vcc, s[18:19]
	v_cndmask_b32_e64 v4, v4, 0, s[18:19]
	v_or_b32_e32 v36, v4, v2
.LBB6_7324:                             ;   in Loop: Header=BB6_6244 Depth=2
	s_or_b64 exec, exec, s[88:89]
                                        ; implicit-def: $vgpr2
.LBB6_7325:                             ;   in Loop: Header=BB6_6244 Depth=2
	s_andn2_saveexec_b64 s[18:19], s[78:79]
; %bb.7326:                             ;   in Loop: Header=BB6_6244 Depth=2
	v_or_b32_e32 v36, 0x7e, v2
; %bb.7327:                             ;   in Loop: Header=BB6_6244 Depth=2
	s_or_b64 exec, exec, s[18:19]
                                        ; implicit-def: $vgpr4
.LBB6_7328:                             ;   in Loop: Header=BB6_6244 Depth=2
	s_andn2_saveexec_b64 s[18:19], s[76:77]
; %bb.7329:                             ;   in Loop: Header=BB6_6244 Depth=2
	v_or_b32_sdwa v36, v4, s39 dst_sel:DWORD dst_unused:UNUSED_PAD src0_sel:BYTE_3 src1_sel:DWORD
; %bb.7330:                             ;   in Loop: Header=BB6_6244 Depth=2
	s_or_b64 exec, exec, s[18:19]
	v_lshrrev_b16_e32 v14, 8, v10
	v_cmp_ne_u16_e32 vcc, 0, v14
	v_mov_b32_e32 v2, 0
	s_and_saveexec_b64 s[18:19], vcc
	s_cbranch_execz .LBB6_7336
; %bb.7331:                             ;   in Loop: Header=BB6_6244 Depth=2
	v_cmp_ne_u16_e32 vcc, s50, v14
	v_bfrev_b32_e32 v2, 1
	s_and_saveexec_b64 s[76:77], vcc
	s_cbranch_execz .LBB6_7335
; %bb.7332:                             ;   in Loop: Header=BB6_6244 Depth=2
	v_and_b32_e32 v4, 0x7f, v14
	v_cmp_ne_u32_e32 vcc, s39, v4
	v_mov_b32_e32 v2, 0x7f800001
	s_and_saveexec_b64 s[78:79], vcc
	s_cbranch_execz .LBB6_7334
; %bb.7333:                             ;   in Loop: Header=BB6_6244 Depth=2
	v_and_b32_e32 v2, 7, v14
	v_lshrrev_b32_e32 v6, 3, v4
	v_cmp_gt_u32_e32 vcc, 8, v4
	v_ffbh_u32_e32 v4, v2
	v_min_u32_e32 v4, 32, v4
	v_subrev_u32_e32 v9, 28, v4
	v_lshlrev_b64 v[14:15], v9, v[14:15]
	v_sub_u32_e32 v4, 29, v4
	v_and_b32_e32 v9, 7, v14
	v_cndmask_b32_e32 v4, v6, v4, vcc
	v_cndmask_b32_e32 v2, v2, v9, vcc
	v_lshlrev_b32_e32 v6, 16, v10
	v_lshlrev_b32_e32 v2, 20, v2
	v_and_b32_e32 v6, 0x80000000, v6
	v_lshl_add_u32 v4, v4, 23, v62
	v_or3_b32 v2, v6, v4, v2
.LBB6_7334:                             ;   in Loop: Header=BB6_6244 Depth=2
	s_or_b64 exec, exec, s[78:79]
.LBB6_7335:                             ;   in Loop: Header=BB6_6244 Depth=2
	s_or_b64 exec, exec, s[76:77]
.LBB6_7336:                             ;   in Loop: Header=BB6_6244 Depth=2
	s_or_b64 exec, exec, s[18:19]
	v_mul_f32_e32 v4, v17, v2
	v_and_b32_e32 v50, 0x7f800000, v4
	v_cmp_ne_u64_e32 vcc, s[46:47], v[50:51]
                                        ; implicit-def: $vgpr2
                                        ; kill: killed $vgpr2
	s_and_saveexec_b64 s[18:19], vcc
	s_xor_b64 s[76:77], exec, s[18:19]
	s_cbranch_execz .LBB6_7350
; %bb.7337:                             ;   in Loop: Header=BB6_6244 Depth=2
	v_and_b32_e32 v50, 0x7fffffff, v4
	v_cmp_gt_u64_e32 vcc, s[56:57], v[50:51]
	v_and_b32_sdwa v2, v4, s50 dst_sel:DWORD dst_unused:UNUSED_PAD src0_sel:BYTE_3 src1_sel:DWORD
                                        ; implicit-def: $vgpr6
                                        ; kill: killed $vgpr6
	s_and_saveexec_b64 s[18:19], vcc
	s_xor_b64 s[78:79], exec, s[18:19]
	s_cbranch_execz .LBB6_7347
; %bb.7338:                             ;   in Loop: Header=BB6_6244 Depth=2
	v_mov_b32_e32 v6, 0
	v_cmp_ne_u32_e32 vcc, 0, v4
	buffer_store_dword v6, off, s[0:3], s33 offset:136 ; 4-byte Folded Spill
	s_and_saveexec_b64 s[88:89], vcc
	s_cbranch_execz .LBB6_7346
; %bb.7339:                             ;   in Loop: Header=BB6_6244 Depth=2
	v_and_b32_e32 v9, 0x7fffff, v4
	v_bfe_u32 v4, v4, 23, 8
	v_cmp_gt_u32_e64 s[18:19], s51, v4
	v_sub_u32_e32 v6, 0x79, v4
	v_cmp_eq_u32_e32 vcc, 0, v4
	v_cndmask_b32_e64 v6, 0, v6, s[18:19]
	v_mov_b32_e32 v15, 0x78
	v_or_b32_e32 v14, 0x800000, v9
	v_cndmask_b32_e32 v6, v6, v15, vcc
	v_cndmask_b32_e32 v50, v14, v9, vcc
	v_add_u32_e32 v9, 20, v6
	v_lshlrev_b64 v[14:15], v9, -1
	v_add_u32_e32 v9, 19, v6
	v_lshlrev_b64 v[18:19], v9, 1
	v_bfi_b32 v15, v15, 0, 0
	v_bfi_b32 v14, v14, 0, v50
	v_cmp_eq_u64_e64 s[18:19], v[14:15], v[18:19]
	v_lshrrev_b64 v[14:15], v6, v[50:51]
	v_mov_b32_e32 v16, v15
	v_mov_b32_e32 v15, v14
	s_and_saveexec_b64 s[90:91], s[18:19]
; %bb.7340:                             ;   in Loop: Header=BB6_6244 Depth=2
	v_bfe_u32 v9, v14, 20, 1
	v_add_co_u32_e64 v9, s[18:19], v14, v9
	v_add_co_u32_e64 v15, s[18:19], -1, v9
; %bb.7341:                             ;   in Loop: Header=BB6_6244 Depth=2
	s_or_b64 exec, exec, s[90:91]
	v_add_u32_e32 v4, 0xffffff81, v4
	v_mov_b32_e32 v9, 0xffffff82
	v_cndmask_b32_e32 v4, v4, v9, vcc
	v_lshrrev_b32_e32 v9, 23, v14
	v_add3_u32 v9, v6, v4, v9
	v_add_u32_e32 v6, 6, v9
	v_and_b32_e32 v4, 0xfffff, v15
	v_add_u32_e32 v50, v4, v14
	v_cmp_ne_u32_e32 vcc, 0, v6
                                        ; implicit-def: $vgpr14_vgpr15
                                        ; implicit-def: $vgpr4
	s_and_saveexec_b64 s[18:19], vcc
	s_xor_b64 s[18:19], exec, s[18:19]
; %bb.7342:                             ;   in Loop: Header=BB6_6244 Depth=2
	v_cmp_lt_u64_e32 vcc, s[58:59], v[50:51]
	v_add_u32_e32 v4, 7, v9
	v_cndmask_b32_e32 v4, v6, v4, vcc
	v_cndmask_b32_e64 v6, 0, 1, vcc
	v_lshrrev_b64 v[14:15], v6, v[50:51]
; %bb.7343:                             ;   in Loop: Header=BB6_6244 Depth=2
	s_andn2_saveexec_b64 s[18:19], s[18:19]
; %bb.7344:                             ;   in Loop: Header=BB6_6244 Depth=2
	v_mov_b32_e32 v14, v50
	v_bfe_u32 v4, v50, 23, 1
	v_mov_b32_e32 v15, v51
; %bb.7345:                             ;   in Loop: Header=BB6_6244 Depth=2
	s_or_b64 exec, exec, s[18:19]
	v_lshrrev_b64 v[14:15], 20, v[14:15]
	v_cmp_gt_i32_e32 vcc, 16, v4
	v_cndmask_b32_e32 v15, 0, v15, vcc
	v_cndmask_b32_e32 v14, 7, v14, vcc
	v_cmp_eq_u32_e32 vcc, 0, v4
	v_min_i32_e32 v4, 15, v4
	v_cmp_eq_u64_e64 s[18:19], 0, v[14:15]
	v_lshlrev_b32_e32 v4, 3, v4
	v_and_b32_e32 v4, 0xf8, v4
	v_and_or_b32 v4, v14, 7, v4
	s_and_b64 s[18:19], vcc, s[18:19]
	v_cndmask_b32_e64 v4, v4, 0, s[18:19]
	v_or_b32_e32 v2, v4, v2
	buffer_store_dword v2, off, s[0:3], s33 offset:136 ; 4-byte Folded Spill
.LBB6_7346:                             ;   in Loop: Header=BB6_6244 Depth=2
	s_or_b64 exec, exec, s[88:89]
                                        ; implicit-def: $vgpr2
.LBB6_7347:                             ;   in Loop: Header=BB6_6244 Depth=2
	s_andn2_saveexec_b64 s[18:19], s[78:79]
	s_cbranch_execz .LBB6_7349
; %bb.7348:                             ;   in Loop: Header=BB6_6244 Depth=2
	v_or_b32_e32 v2, 0x7e, v2
	buffer_store_dword v2, off, s[0:3], s33 offset:136 ; 4-byte Folded Spill
.LBB6_7349:                             ;   in Loop: Header=BB6_6244 Depth=2
	s_or_b64 exec, exec, s[18:19]
                                        ; implicit-def: $vgpr4
.LBB6_7350:                             ;   in Loop: Header=BB6_6244 Depth=2
	s_andn2_saveexec_b64 s[18:19], s[76:77]
	s_cbranch_execz .LBB6_7352
; %bb.7351:                             ;   in Loop: Header=BB6_6244 Depth=2
	v_or_b32_sdwa v2, v4, s39 dst_sel:DWORD dst_unused:UNUSED_PAD src0_sel:BYTE_3 src1_sel:DWORD
	buffer_store_dword v2, off, s[0:3], s33 offset:136 ; 4-byte Folded Spill
.LBB6_7352:                             ;   in Loop: Header=BB6_6244 Depth=2
	s_or_b64 exec, exec, s[18:19]
	v_lshrrev_b32_e32 v14, 16, v10
	v_cmp_ne_u16_sdwa s[76:77], v14, v51 src0_sel:BYTE_0 src1_sel:DWORD
	v_mov_b32_e32 v2, 0
	s_and_saveexec_b64 s[18:19], s[76:77]
	s_cbranch_execz .LBB6_7358
; %bb.7353:                             ;   in Loop: Header=BB6_6244 Depth=2
	v_cmp_ne_u16_sdwa s[78:79], v14, s50 src0_sel:BYTE_0 src1_sel:DWORD
	v_bfrev_b32_e32 v2, 1
	s_and_saveexec_b64 s[76:77], s[78:79]
	s_cbranch_execz .LBB6_7357
; %bb.7354:                             ;   in Loop: Header=BB6_6244 Depth=2
	v_bfe_u32 v4, v10, 16, 7
	v_cmp_ne_u32_e32 vcc, s39, v4
	v_mov_b32_e32 v2, 0x7f800001
	s_and_saveexec_b64 s[78:79], vcc
	s_cbranch_execz .LBB6_7356
; %bb.7355:                             ;   in Loop: Header=BB6_6244 Depth=2
	v_and_b32_e32 v2, 7, v14
	v_lshrrev_b32_e32 v6, 3, v4
	v_cmp_gt_u32_e32 vcc, 8, v4
	v_ffbh_u32_e32 v4, v2
	v_min_u32_e32 v4, 32, v4
	v_subrev_u32_e32 v9, 28, v4
	v_lshlrev_b64 v[15:16], v9, v[14:15]
	v_sub_u32_e32 v4, 29, v4
	v_and_b32_e32 v9, 7, v15
	v_cndmask_b32_e32 v4, v6, v4, vcc
	v_cndmask_b32_e32 v2, v2, v9, vcc
	v_lshlrev_b32_e32 v6, 24, v14
	v_lshlrev_b32_e32 v2, 20, v2
	v_and_b32_e32 v6, 0x80000000, v6
	v_lshl_add_u32 v4, v4, 23, v62
	v_or3_b32 v2, v6, v4, v2
.LBB6_7356:                             ;   in Loop: Header=BB6_6244 Depth=2
	s_or_b64 exec, exec, s[78:79]
.LBB6_7357:                             ;   in Loop: Header=BB6_6244 Depth=2
	s_or_b64 exec, exec, s[76:77]
.LBB6_7358:                             ;   in Loop: Header=BB6_6244 Depth=2
	s_or_b64 exec, exec, s[18:19]
	v_mul_f32_e32 v4, v17, v2
	v_and_b32_e32 v50, 0x7f800000, v4
	v_cmp_ne_u64_e32 vcc, s[46:47], v[50:51]
                                        ; implicit-def: $vgpr2
                                        ; kill: killed $vgpr2
	s_and_saveexec_b64 s[18:19], vcc
	s_xor_b64 s[76:77], exec, s[18:19]
	s_cbranch_execz .LBB6_7372
; %bb.7359:                             ;   in Loop: Header=BB6_6244 Depth=2
	v_and_b32_e32 v50, 0x7fffffff, v4
	v_cmp_gt_u64_e32 vcc, s[56:57], v[50:51]
	v_and_b32_sdwa v2, v4, s50 dst_sel:DWORD dst_unused:UNUSED_PAD src0_sel:BYTE_3 src1_sel:DWORD
                                        ; implicit-def: $vgpr6
                                        ; kill: killed $vgpr6
	s_and_saveexec_b64 s[18:19], vcc
	s_xor_b64 s[78:79], exec, s[18:19]
	s_cbranch_execz .LBB6_7369
; %bb.7360:                             ;   in Loop: Header=BB6_6244 Depth=2
	v_mov_b32_e32 v6, 0
	v_cmp_ne_u32_e32 vcc, 0, v4
	buffer_store_dword v6, off, s[0:3], s33 offset:156 ; 4-byte Folded Spill
	s_and_saveexec_b64 s[88:89], vcc
	s_cbranch_execz .LBB6_7368
; %bb.7361:                             ;   in Loop: Header=BB6_6244 Depth=2
	v_and_b32_e32 v9, 0x7fffff, v4
	v_bfe_u32 v4, v4, 23, 8
	v_cmp_gt_u32_e64 s[18:19], s51, v4
	v_sub_u32_e32 v6, 0x79, v4
	v_cmp_eq_u32_e32 vcc, 0, v4
	v_cndmask_b32_e64 v6, 0, v6, s[18:19]
	v_mov_b32_e32 v15, 0x78
	v_or_b32_e32 v14, 0x800000, v9
	v_cndmask_b32_e32 v6, v6, v15, vcc
	v_cndmask_b32_e32 v50, v14, v9, vcc
	v_add_u32_e32 v9, 20, v6
	v_lshlrev_b64 v[14:15], v9, -1
	v_add_u32_e32 v9, 19, v6
	v_lshlrev_b64 v[18:19], v9, 1
	v_bfi_b32 v15, v15, 0, 0
	v_bfi_b32 v14, v14, 0, v50
	v_cmp_eq_u64_e64 s[18:19], v[14:15], v[18:19]
	v_lshrrev_b64 v[14:15], v6, v[50:51]
	v_mov_b32_e32 v16, v15
	v_mov_b32_e32 v15, v14
	s_and_saveexec_b64 s[90:91], s[18:19]
; %bb.7362:                             ;   in Loop: Header=BB6_6244 Depth=2
	v_bfe_u32 v9, v14, 20, 1
	v_add_co_u32_e64 v9, s[18:19], v14, v9
	v_add_co_u32_e64 v15, s[18:19], -1, v9
; %bb.7363:                             ;   in Loop: Header=BB6_6244 Depth=2
	s_or_b64 exec, exec, s[90:91]
	v_add_u32_e32 v4, 0xffffff81, v4
	v_mov_b32_e32 v9, 0xffffff82
	v_cndmask_b32_e32 v4, v4, v9, vcc
	v_lshrrev_b32_e32 v9, 23, v14
	v_add3_u32 v9, v6, v4, v9
	v_add_u32_e32 v6, 6, v9
	v_and_b32_e32 v4, 0xfffff, v15
	v_add_u32_e32 v50, v4, v14
	v_cmp_ne_u32_e32 vcc, 0, v6
                                        ; implicit-def: $vgpr14_vgpr15
                                        ; implicit-def: $vgpr4
	s_and_saveexec_b64 s[18:19], vcc
	s_xor_b64 s[18:19], exec, s[18:19]
; %bb.7364:                             ;   in Loop: Header=BB6_6244 Depth=2
	v_cmp_lt_u64_e32 vcc, s[58:59], v[50:51]
	v_add_u32_e32 v4, 7, v9
	v_cndmask_b32_e32 v4, v6, v4, vcc
	v_cndmask_b32_e64 v6, 0, 1, vcc
	v_lshrrev_b64 v[14:15], v6, v[50:51]
; %bb.7365:                             ;   in Loop: Header=BB6_6244 Depth=2
	s_andn2_saveexec_b64 s[18:19], s[18:19]
; %bb.7366:                             ;   in Loop: Header=BB6_6244 Depth=2
	v_mov_b32_e32 v14, v50
	v_bfe_u32 v4, v50, 23, 1
	v_mov_b32_e32 v15, v51
; %bb.7367:                             ;   in Loop: Header=BB6_6244 Depth=2
	s_or_b64 exec, exec, s[18:19]
	v_lshrrev_b64 v[14:15], 20, v[14:15]
	v_cmp_gt_i32_e32 vcc, 16, v4
	v_cndmask_b32_e32 v15, 0, v15, vcc
	v_cndmask_b32_e32 v14, 7, v14, vcc
	v_cmp_eq_u32_e32 vcc, 0, v4
	v_min_i32_e32 v4, 15, v4
	v_cmp_eq_u64_e64 s[18:19], 0, v[14:15]
	v_lshlrev_b32_e32 v4, 3, v4
	v_and_b32_e32 v4, 0xf8, v4
	v_and_or_b32 v4, v14, 7, v4
	s_and_b64 s[18:19], vcc, s[18:19]
	v_cndmask_b32_e64 v4, v4, 0, s[18:19]
	v_or_b32_e32 v2, v4, v2
	buffer_store_dword v2, off, s[0:3], s33 offset:156 ; 4-byte Folded Spill
.LBB6_7368:                             ;   in Loop: Header=BB6_6244 Depth=2
	s_or_b64 exec, exec, s[88:89]
                                        ; implicit-def: $vgpr2
.LBB6_7369:                             ;   in Loop: Header=BB6_6244 Depth=2
	s_andn2_saveexec_b64 s[18:19], s[78:79]
	s_cbranch_execz .LBB6_7371
; %bb.7370:                             ;   in Loop: Header=BB6_6244 Depth=2
	v_or_b32_e32 v2, 0x7e, v2
	buffer_store_dword v2, off, s[0:3], s33 offset:156 ; 4-byte Folded Spill
.LBB6_7371:                             ;   in Loop: Header=BB6_6244 Depth=2
	s_or_b64 exec, exec, s[18:19]
                                        ; implicit-def: $vgpr4
.LBB6_7372:                             ;   in Loop: Header=BB6_6244 Depth=2
	s_andn2_saveexec_b64 s[18:19], s[76:77]
	s_cbranch_execz .LBB6_7374
; %bb.7373:                             ;   in Loop: Header=BB6_6244 Depth=2
	v_or_b32_sdwa v2, v4, s39 dst_sel:DWORD dst_unused:UNUSED_PAD src0_sel:BYTE_3 src1_sel:DWORD
	buffer_store_dword v2, off, s[0:3], s33 offset:156 ; 4-byte Folded Spill
.LBB6_7374:                             ;   in Loop: Header=BB6_6244 Depth=2
	s_or_b64 exec, exec, s[18:19]
	v_cmp_lt_u32_e32 vcc, s61, v10
	v_mov_b32_e32 v2, 0
	s_and_saveexec_b64 s[18:19], vcc
	s_cbranch_execz .LBB6_7380
; %bb.7375:                             ;   in Loop: Header=BB6_6244 Depth=2
	v_lshrrev_b32_e32 v14, 24, v10
	v_cmp_ne_u32_e32 vcc, s50, v14
	v_bfrev_b32_e32 v2, 1
	s_and_saveexec_b64 s[76:77], vcc
	s_cbranch_execz .LBB6_7379
; %bb.7376:                             ;   in Loop: Header=BB6_6244 Depth=2
	v_bfe_u32 v4, v10, 24, 7
	v_cmp_ne_u32_e32 vcc, s39, v4
	v_mov_b32_e32 v2, 0x7f800001
	s_and_saveexec_b64 s[78:79], vcc
	s_cbranch_execz .LBB6_7378
; %bb.7377:                             ;   in Loop: Header=BB6_6244 Depth=2
	v_and_b32_e32 v2, 7, v14
	v_lshrrev_b32_e32 v6, 3, v4
	v_cmp_gt_u32_e32 vcc, 8, v4
	v_ffbh_u32_e32 v4, v2
	v_min_u32_e32 v4, 32, v4
	v_subrev_u32_e32 v9, 28, v4
	v_lshlrev_b64 v[15:16], v9, v[14:15]
	v_sub_u32_e32 v4, 29, v4
	v_and_b32_e32 v9, 7, v15
	v_cndmask_b32_e32 v4, v6, v4, vcc
	v_cndmask_b32_e32 v2, v2, v9, vcc
	v_lshlrev_b32_e32 v6, 24, v14
	v_lshlrev_b32_e32 v2, 20, v2
	v_and_b32_e32 v6, 0x80000000, v6
	v_lshl_add_u32 v4, v4, 23, v62
	v_or3_b32 v2, v6, v4, v2
.LBB6_7378:                             ;   in Loop: Header=BB6_6244 Depth=2
	s_or_b64 exec, exec, s[78:79]
.LBB6_7379:                             ;   in Loop: Header=BB6_6244 Depth=2
	s_or_b64 exec, exec, s[76:77]
.LBB6_7380:                             ;   in Loop: Header=BB6_6244 Depth=2
	s_or_b64 exec, exec, s[18:19]
	v_mul_f32_e32 v4, v17, v2
	v_and_b32_e32 v50, 0x7f800000, v4
	v_cmp_ne_u64_e32 vcc, s[46:47], v[50:51]
                                        ; implicit-def: $vgpr2
                                        ; kill: killed $vgpr2
	s_and_saveexec_b64 s[18:19], vcc
	s_xor_b64 s[76:77], exec, s[18:19]
	s_cbranch_execz .LBB6_7394
; %bb.7381:                             ;   in Loop: Header=BB6_6244 Depth=2
	v_and_b32_e32 v50, 0x7fffffff, v4
	v_cmp_gt_u64_e32 vcc, s[56:57], v[50:51]
	v_and_b32_sdwa v2, v4, s50 dst_sel:DWORD dst_unused:UNUSED_PAD src0_sel:BYTE_3 src1_sel:DWORD
                                        ; implicit-def: $vgpr6
                                        ; kill: killed $vgpr6
	s_and_saveexec_b64 s[18:19], vcc
	s_xor_b64 s[78:79], exec, s[18:19]
	s_cbranch_execz .LBB6_7391
; %bb.7382:                             ;   in Loop: Header=BB6_6244 Depth=2
	v_mov_b32_e32 v6, 0
	v_cmp_ne_u32_e32 vcc, 0, v4
	buffer_store_dword v6, off, s[0:3], s33 offset:188 ; 4-byte Folded Spill
	s_and_saveexec_b64 s[88:89], vcc
	s_cbranch_execz .LBB6_7390
; %bb.7383:                             ;   in Loop: Header=BB6_6244 Depth=2
	v_and_b32_e32 v9, 0x7fffff, v4
	v_bfe_u32 v4, v4, 23, 8
	v_cmp_gt_u32_e64 s[18:19], s51, v4
	v_sub_u32_e32 v6, 0x79, v4
	v_cmp_eq_u32_e32 vcc, 0, v4
	v_cndmask_b32_e64 v6, 0, v6, s[18:19]
	v_mov_b32_e32 v15, 0x78
	v_or_b32_e32 v14, 0x800000, v9
	v_cndmask_b32_e32 v6, v6, v15, vcc
	v_cndmask_b32_e32 v50, v14, v9, vcc
	v_add_u32_e32 v9, 20, v6
	v_lshlrev_b64 v[14:15], v9, -1
	v_add_u32_e32 v9, 19, v6
	v_lshlrev_b64 v[18:19], v9, 1
	v_bfi_b32 v15, v15, 0, 0
	v_bfi_b32 v14, v14, 0, v50
	v_cmp_eq_u64_e64 s[18:19], v[14:15], v[18:19]
	v_lshrrev_b64 v[14:15], v6, v[50:51]
	v_mov_b32_e32 v16, v15
	v_mov_b32_e32 v15, v14
	s_and_saveexec_b64 s[90:91], s[18:19]
; %bb.7384:                             ;   in Loop: Header=BB6_6244 Depth=2
	v_bfe_u32 v9, v14, 20, 1
	v_add_co_u32_e64 v9, s[18:19], v14, v9
	v_add_co_u32_e64 v15, s[18:19], -1, v9
; %bb.7385:                             ;   in Loop: Header=BB6_6244 Depth=2
	s_or_b64 exec, exec, s[90:91]
	v_add_u32_e32 v4, 0xffffff81, v4
	v_mov_b32_e32 v9, 0xffffff82
	v_cndmask_b32_e32 v4, v4, v9, vcc
	v_lshrrev_b32_e32 v9, 23, v14
	v_add3_u32 v9, v6, v4, v9
	v_add_u32_e32 v6, 6, v9
	v_and_b32_e32 v4, 0xfffff, v15
	v_add_u32_e32 v50, v4, v14
	v_cmp_ne_u32_e32 vcc, 0, v6
                                        ; implicit-def: $vgpr14_vgpr15
                                        ; implicit-def: $vgpr4
	s_and_saveexec_b64 s[18:19], vcc
	s_xor_b64 s[18:19], exec, s[18:19]
; %bb.7386:                             ;   in Loop: Header=BB6_6244 Depth=2
	v_cmp_lt_u64_e32 vcc, s[58:59], v[50:51]
	v_add_u32_e32 v4, 7, v9
	v_cndmask_b32_e32 v4, v6, v4, vcc
	v_cndmask_b32_e64 v6, 0, 1, vcc
	v_lshrrev_b64 v[14:15], v6, v[50:51]
; %bb.7387:                             ;   in Loop: Header=BB6_6244 Depth=2
	s_andn2_saveexec_b64 s[18:19], s[18:19]
; %bb.7388:                             ;   in Loop: Header=BB6_6244 Depth=2
	v_mov_b32_e32 v14, v50
	v_bfe_u32 v4, v50, 23, 1
	v_mov_b32_e32 v15, v51
; %bb.7389:                             ;   in Loop: Header=BB6_6244 Depth=2
	s_or_b64 exec, exec, s[18:19]
	v_lshrrev_b64 v[14:15], 20, v[14:15]
	v_cmp_gt_i32_e32 vcc, 16, v4
	v_cndmask_b32_e32 v15, 0, v15, vcc
	v_cndmask_b32_e32 v14, 7, v14, vcc
	v_cmp_eq_u32_e32 vcc, 0, v4
	v_min_i32_e32 v4, 15, v4
	v_cmp_eq_u64_e64 s[18:19], 0, v[14:15]
	v_lshlrev_b32_e32 v4, 3, v4
	v_and_b32_e32 v4, 0xf8, v4
	v_and_or_b32 v4, v14, 7, v4
	s_and_b64 s[18:19], vcc, s[18:19]
	v_cndmask_b32_e64 v4, v4, 0, s[18:19]
	v_or_b32_e32 v2, v4, v2
	buffer_store_dword v2, off, s[0:3], s33 offset:188 ; 4-byte Folded Spill
.LBB6_7390:                             ;   in Loop: Header=BB6_6244 Depth=2
	s_or_b64 exec, exec, s[88:89]
                                        ; implicit-def: $vgpr2
.LBB6_7391:                             ;   in Loop: Header=BB6_6244 Depth=2
	s_andn2_saveexec_b64 s[18:19], s[78:79]
	s_cbranch_execz .LBB6_7393
; %bb.7392:                             ;   in Loop: Header=BB6_6244 Depth=2
	v_or_b32_e32 v2, 0x7e, v2
	buffer_store_dword v2, off, s[0:3], s33 offset:188 ; 4-byte Folded Spill
.LBB6_7393:                             ;   in Loop: Header=BB6_6244 Depth=2
	s_or_b64 exec, exec, s[18:19]
                                        ; implicit-def: $vgpr4
.LBB6_7394:                             ;   in Loop: Header=BB6_6244 Depth=2
	s_andn2_saveexec_b64 s[18:19], s[76:77]
	s_cbranch_execz .LBB6_7396
; %bb.7395:                             ;   in Loop: Header=BB6_6244 Depth=2
	v_or_b32_sdwa v2, v4, s39 dst_sel:DWORD dst_unused:UNUSED_PAD src0_sel:BYTE_3 src1_sel:DWORD
	buffer_store_dword v2, off, s[0:3], s33 offset:188 ; 4-byte Folded Spill
.LBB6_7396:                             ;   in Loop: Header=BB6_6244 Depth=2
	s_or_b64 exec, exec, s[18:19]
	v_mov_b32_e32 v50, v11
	v_cmp_ne_u16_sdwa s[76:77], v11, v51 src0_sel:BYTE_0 src1_sel:DWORD
	v_mov_b32_e32 v2, 0
	s_and_saveexec_b64 s[18:19], s[76:77]
	s_cbranch_execz .LBB6_7402
; %bb.7397:                             ;   in Loop: Header=BB6_6244 Depth=2
	v_cmp_ne_u16_sdwa s[78:79], v11, s50 src0_sel:BYTE_0 src1_sel:DWORD
	v_bfrev_b32_e32 v2, 1
	s_and_saveexec_b64 s[76:77], s[78:79]
	s_cbranch_execz .LBB6_7401
; %bb.7398:                             ;   in Loop: Header=BB6_6244 Depth=2
	v_and_b32_e32 v4, 0x7f, v11
	v_cmp_ne_u32_e32 vcc, s39, v4
	v_mov_b32_e32 v2, 0x7f800001
	s_and_saveexec_b64 s[78:79], vcc
	s_cbranch_execz .LBB6_7400
; %bb.7399:                             ;   in Loop: Header=BB6_6244 Depth=2
	v_and_b32_e32 v2, 7, v11
	v_ffbh_u32_e32 v2, v2
	v_min_u32_e32 v2, 32, v2
	v_lshrrev_b32_e32 v6, 3, v4
	v_cmp_gt_u32_e32 vcc, 8, v4
	v_subrev_u32_e32 v4, 28, v2
	v_cndmask_b32_e32 v4, 0, v4, vcc
	v_lshlrev_b64 v[14:15], v4, v[50:51]
	v_sub_u32_e32 v2, 29, v2
	v_cndmask_b32_e32 v2, v6, v2, vcc
	v_lshlrev_b32_e32 v4, 20, v14
	v_lshlrev_b32_e32 v6, 24, v50
	v_and_b32_e32 v4, 0x700000, v4
	v_and_b32_e32 v6, 0x80000000, v6
	v_lshl_add_u32 v2, v2, 23, v62
	v_or3_b32 v2, v6, v2, v4
.LBB6_7400:                             ;   in Loop: Header=BB6_6244 Depth=2
	s_or_b64 exec, exec, s[78:79]
.LBB6_7401:                             ;   in Loop: Header=BB6_6244 Depth=2
	s_or_b64 exec, exec, s[76:77]
.LBB6_7402:                             ;   in Loop: Header=BB6_6244 Depth=2
	s_or_b64 exec, exec, s[18:19]
	v_mul_f32_e32 v4, v17, v2
	v_and_b32_e32 v14, 0x7f800000, v4
	v_mov_b32_e32 v15, v51
	v_cmp_ne_u64_e32 vcc, s[46:47], v[14:15]
                                        ; implicit-def: $vgpr9
	s_and_saveexec_b64 s[18:19], vcc
	s_xor_b64 s[76:77], exec, s[18:19]
	s_cbranch_execz .LBB6_7416
; %bb.7403:                             ;   in Loop: Header=BB6_6244 Depth=2
	v_and_b32_e32 v14, 0x7fffffff, v4
	v_mov_b32_e32 v15, v51
	v_cmp_gt_u64_e32 vcc, s[56:57], v[14:15]
	v_and_b32_sdwa v2, v4, s50 dst_sel:DWORD dst_unused:UNUSED_PAD src0_sel:BYTE_3 src1_sel:DWORD
                                        ; implicit-def: $vgpr9
	s_and_saveexec_b64 s[18:19], vcc
	s_xor_b64 s[78:79], exec, s[18:19]
	s_cbranch_execz .LBB6_7413
; %bb.7404:                             ;   in Loop: Header=BB6_6244 Depth=2
	v_mov_b32_e32 v9, 0
	v_cmp_ne_u32_e32 vcc, 0, v4
	s_and_saveexec_b64 s[88:89], vcc
	s_cbranch_execz .LBB6_7412
; %bb.7405:                             ;   in Loop: Header=BB6_6244 Depth=2
	v_and_b32_e32 v9, 0x7fffff, v4
	v_bfe_u32 v4, v4, 23, 8
	v_cmp_gt_u32_e64 s[18:19], s51, v4
	v_sub_u32_e32 v6, 0x79, v4
	v_cmp_eq_u32_e32 vcc, 0, v4
	v_cndmask_b32_e64 v6, 0, v6, s[18:19]
	v_mov_b32_e32 v15, 0x78
	v_or_b32_e32 v14, 0x800000, v9
	v_cndmask_b32_e32 v6, v6, v15, vcc
	v_cndmask_b32_e32 v14, v14, v9, vcc
	v_add_u32_e32 v9, 20, v6
	v_lshlrev_b64 v[18:19], v9, -1
	v_mov_b32_e32 v15, v51
	v_add_u32_e32 v9, 19, v6
	v_bfi_b32 v18, v18, 0, v14
	v_lshlrev_b64 v[20:21], v9, 1
	v_lshrrev_b64 v[14:15], v6, v[14:15]
	v_bfi_b32 v19, v19, 0, 0
	v_cmp_eq_u64_e64 s[18:19], v[18:19], v[20:21]
	v_mov_b32_e32 v16, v15
	v_mov_b32_e32 v15, v14
	s_and_saveexec_b64 s[90:91], s[18:19]
; %bb.7406:                             ;   in Loop: Header=BB6_6244 Depth=2
	v_bfe_u32 v9, v14, 20, 1
	v_add_co_u32_e64 v9, s[18:19], v14, v9
	v_add_co_u32_e64 v15, s[18:19], -1, v9
; %bb.7407:                             ;   in Loop: Header=BB6_6244 Depth=2
	s_or_b64 exec, exec, s[90:91]
	v_add_u32_e32 v4, 0xffffff81, v4
	v_mov_b32_e32 v9, 0xffffff82
	v_cndmask_b32_e32 v4, v4, v9, vcc
	v_lshrrev_b32_e32 v9, 23, v14
	v_add3_u32 v9, v6, v4, v9
	v_add_u32_e32 v6, 6, v9
	v_and_b32_e32 v4, 0xfffff, v15
	v_add_u32_e32 v14, v4, v14
	v_mov_b32_e32 v15, v51
	v_cmp_ne_u32_e32 vcc, 0, v6
                                        ; implicit-def: $vgpr4
	s_and_saveexec_b64 s[18:19], vcc
	s_xor_b64 s[18:19], exec, s[18:19]
; %bb.7408:                             ;   in Loop: Header=BB6_6244 Depth=2
	v_cmp_lt_u64_e32 vcc, s[58:59], v[14:15]
	v_add_u32_e32 v4, 7, v9
	v_cndmask_b32_e32 v4, v6, v4, vcc
	v_cndmask_b32_e64 v6, 0, 1, vcc
	v_lshrrev_b64 v[14:15], v6, v[14:15]
; %bb.7409:                             ;   in Loop: Header=BB6_6244 Depth=2
	s_andn2_saveexec_b64 s[18:19], s[18:19]
; %bb.7410:                             ;   in Loop: Header=BB6_6244 Depth=2
	v_bfe_u32 v4, v14, 23, 1
; %bb.7411:                             ;   in Loop: Header=BB6_6244 Depth=2
	s_or_b64 exec, exec, s[18:19]
	v_lshrrev_b64 v[14:15], 20, v[14:15]
	v_cmp_gt_i32_e32 vcc, 16, v4
	v_cndmask_b32_e32 v15, 0, v15, vcc
	v_cndmask_b32_e32 v14, 7, v14, vcc
	v_cmp_eq_u32_e32 vcc, 0, v4
	v_min_i32_e32 v4, 15, v4
	v_cmp_eq_u64_e64 s[18:19], 0, v[14:15]
	v_lshlrev_b32_e32 v4, 3, v4
	v_and_b32_e32 v4, 0xf8, v4
	v_and_or_b32 v4, v14, 7, v4
	s_and_b64 s[18:19], vcc, s[18:19]
	v_cndmask_b32_e64 v4, v4, 0, s[18:19]
	v_or_b32_e32 v9, v4, v2
.LBB6_7412:                             ;   in Loop: Header=BB6_6244 Depth=2
	s_or_b64 exec, exec, s[88:89]
                                        ; implicit-def: $vgpr2
.LBB6_7413:                             ;   in Loop: Header=BB6_6244 Depth=2
	s_andn2_saveexec_b64 s[18:19], s[78:79]
; %bb.7414:                             ;   in Loop: Header=BB6_6244 Depth=2
	v_or_b32_e32 v9, 0x7e, v2
; %bb.7415:                             ;   in Loop: Header=BB6_6244 Depth=2
	s_or_b64 exec, exec, s[18:19]
                                        ; implicit-def: $vgpr4
.LBB6_7416:                             ;   in Loop: Header=BB6_6244 Depth=2
	s_andn2_saveexec_b64 s[18:19], s[76:77]
; %bb.7417:                             ;   in Loop: Header=BB6_6244 Depth=2
	v_or_b32_sdwa v9, v4, s39 dst_sel:DWORD dst_unused:UNUSED_PAD src0_sel:BYTE_3 src1_sel:DWORD
; %bb.7418:                             ;   in Loop: Header=BB6_6244 Depth=2
	s_or_b64 exec, exec, s[18:19]
	v_lshrrev_b16_e32 v14, 8, v50
	v_cmp_ne_u16_e32 vcc, 0, v14
	v_mov_b32_e32 v2, 0
	s_and_saveexec_b64 s[18:19], vcc
	s_cbranch_execz .LBB6_7424
; %bb.7419:                             ;   in Loop: Header=BB6_6244 Depth=2
	v_cmp_ne_u16_e32 vcc, s50, v14
	v_bfrev_b32_e32 v2, 1
	s_and_saveexec_b64 s[76:77], vcc
	s_cbranch_execz .LBB6_7423
; %bb.7420:                             ;   in Loop: Header=BB6_6244 Depth=2
	v_and_b32_e32 v4, 0x7f, v14
	v_cmp_ne_u32_e32 vcc, s39, v4
	v_mov_b32_e32 v2, 0x7f800001
	s_and_saveexec_b64 s[78:79], vcc
	s_cbranch_execz .LBB6_7422
; %bb.7421:                             ;   in Loop: Header=BB6_6244 Depth=2
	v_and_b32_e32 v2, 7, v14
	v_lshrrev_b32_e32 v6, 3, v4
	v_cmp_gt_u32_e32 vcc, 8, v4
	v_ffbh_u32_e32 v4, v2
	v_min_u32_e32 v4, 32, v4
	v_subrev_u32_e32 v15, 28, v4
	v_lshlrev_b64 v[14:15], v15, v[14:15]
	v_sub_u32_e32 v4, 29, v4
	v_and_b32_e32 v14, 7, v14
	v_cndmask_b32_e32 v4, v6, v4, vcc
	v_cndmask_b32_e32 v2, v2, v14, vcc
	v_lshlrev_b32_e32 v6, 16, v50
	v_lshlrev_b32_e32 v2, 20, v2
	v_and_b32_e32 v6, 0x80000000, v6
	v_lshl_add_u32 v4, v4, 23, v62
	v_or3_b32 v2, v6, v4, v2
.LBB6_7422:                             ;   in Loop: Header=BB6_6244 Depth=2
	s_or_b64 exec, exec, s[78:79]
.LBB6_7423:                             ;   in Loop: Header=BB6_6244 Depth=2
	s_or_b64 exec, exec, s[76:77]
.LBB6_7424:                             ;   in Loop: Header=BB6_6244 Depth=2
	s_or_b64 exec, exec, s[18:19]
	v_mul_f32_e32 v4, v17, v2
	v_and_b32_e32 v50, 0x7f800000, v4
	v_cmp_ne_u64_e32 vcc, s[46:47], v[50:51]
                                        ; implicit-def: $vgpr40
	s_and_saveexec_b64 s[18:19], vcc
	s_xor_b64 s[76:77], exec, s[18:19]
	s_cbranch_execz .LBB6_7438
; %bb.7425:                             ;   in Loop: Header=BB6_6244 Depth=2
	v_and_b32_e32 v50, 0x7fffffff, v4
	v_cmp_gt_u64_e32 vcc, s[56:57], v[50:51]
	v_and_b32_sdwa v2, v4, s50 dst_sel:DWORD dst_unused:UNUSED_PAD src0_sel:BYTE_3 src1_sel:DWORD
                                        ; implicit-def: $vgpr40
	s_and_saveexec_b64 s[18:19], vcc
	s_xor_b64 s[78:79], exec, s[18:19]
	s_cbranch_execz .LBB6_7435
; %bb.7426:                             ;   in Loop: Header=BB6_6244 Depth=2
	v_mov_b32_e32 v40, 0
	v_cmp_ne_u32_e32 vcc, 0, v4
	s_and_saveexec_b64 s[88:89], vcc
	s_cbranch_execz .LBB6_7434
; %bb.7427:                             ;   in Loop: Header=BB6_6244 Depth=2
	v_and_b32_e32 v14, 0x7fffff, v4
	v_bfe_u32 v4, v4, 23, 8
	v_cmp_gt_u32_e64 s[18:19], s51, v4
	v_sub_u32_e32 v6, 0x79, v4
	v_cmp_eq_u32_e32 vcc, 0, v4
	v_cndmask_b32_e64 v6, 0, v6, s[18:19]
	v_mov_b32_e32 v16, 0x78
	v_or_b32_e32 v15, 0x800000, v14
	v_cndmask_b32_e32 v6, v6, v16, vcc
	v_cndmask_b32_e32 v50, v15, v14, vcc
	v_add_u32_e32 v14, 20, v6
	v_lshlrev_b64 v[14:15], v14, -1
	v_add_u32_e32 v16, 19, v6
	v_lshlrev_b64 v[18:19], v16, 1
	v_bfi_b32 v15, v15, 0, 0
	v_bfi_b32 v14, v14, 0, v50
	v_cmp_eq_u64_e64 s[18:19], v[14:15], v[18:19]
	v_lshrrev_b64 v[14:15], v6, v[50:51]
	v_mov_b32_e32 v16, v15
	v_mov_b32_e32 v15, v14
	s_and_saveexec_b64 s[90:91], s[18:19]
; %bb.7428:                             ;   in Loop: Header=BB6_6244 Depth=2
	v_bfe_u32 v15, v14, 20, 1
	v_add_co_u32_e64 v15, s[18:19], v14, v15
	v_add_co_u32_e64 v15, s[18:19], -1, v15
; %bb.7429:                             ;   in Loop: Header=BB6_6244 Depth=2
	s_or_b64 exec, exec, s[90:91]
	v_add_u32_e32 v4, 0xffffff81, v4
	v_mov_b32_e32 v16, 0xffffff82
	v_cndmask_b32_e32 v4, v4, v16, vcc
	v_lshrrev_b32_e32 v16, 23, v14
	v_add3_u32 v16, v6, v4, v16
	v_add_u32_e32 v6, 6, v16
	v_and_b32_e32 v4, 0xfffff, v15
	v_add_u32_e32 v50, v4, v14
	v_cmp_ne_u32_e32 vcc, 0, v6
                                        ; implicit-def: $vgpr14_vgpr15
                                        ; implicit-def: $vgpr4
	s_and_saveexec_b64 s[18:19], vcc
	s_xor_b64 s[18:19], exec, s[18:19]
; %bb.7430:                             ;   in Loop: Header=BB6_6244 Depth=2
	v_cmp_lt_u64_e32 vcc, s[58:59], v[50:51]
	v_add_u32_e32 v4, 7, v16
	v_cndmask_b32_e32 v4, v6, v4, vcc
	v_cndmask_b32_e64 v6, 0, 1, vcc
	v_lshrrev_b64 v[14:15], v6, v[50:51]
; %bb.7431:                             ;   in Loop: Header=BB6_6244 Depth=2
	s_andn2_saveexec_b64 s[18:19], s[18:19]
; %bb.7432:                             ;   in Loop: Header=BB6_6244 Depth=2
	v_mov_b32_e32 v14, v50
	v_bfe_u32 v4, v50, 23, 1
	v_mov_b32_e32 v15, v51
; %bb.7433:                             ;   in Loop: Header=BB6_6244 Depth=2
	s_or_b64 exec, exec, s[18:19]
	v_lshrrev_b64 v[14:15], 20, v[14:15]
	v_cmp_gt_i32_e32 vcc, 16, v4
	v_cndmask_b32_e32 v15, 0, v15, vcc
	v_cndmask_b32_e32 v14, 7, v14, vcc
	v_cmp_eq_u32_e32 vcc, 0, v4
	v_min_i32_e32 v4, 15, v4
	v_cmp_eq_u64_e64 s[18:19], 0, v[14:15]
	v_lshlrev_b32_e32 v4, 3, v4
	v_and_b32_e32 v4, 0xf8, v4
	v_and_or_b32 v4, v14, 7, v4
	s_and_b64 s[18:19], vcc, s[18:19]
	v_cndmask_b32_e64 v4, v4, 0, s[18:19]
	v_or_b32_e32 v40, v4, v2
.LBB6_7434:                             ;   in Loop: Header=BB6_6244 Depth=2
	s_or_b64 exec, exec, s[88:89]
                                        ; implicit-def: $vgpr2
.LBB6_7435:                             ;   in Loop: Header=BB6_6244 Depth=2
	s_andn2_saveexec_b64 s[18:19], s[78:79]
; %bb.7436:                             ;   in Loop: Header=BB6_6244 Depth=2
	v_or_b32_e32 v40, 0x7e, v2
; %bb.7437:                             ;   in Loop: Header=BB6_6244 Depth=2
	s_or_b64 exec, exec, s[18:19]
                                        ; implicit-def: $vgpr4
.LBB6_7438:                             ;   in Loop: Header=BB6_6244 Depth=2
	s_andn2_saveexec_b64 s[18:19], s[76:77]
; %bb.7439:                             ;   in Loop: Header=BB6_6244 Depth=2
	v_or_b32_sdwa v40, v4, s39 dst_sel:DWORD dst_unused:UNUSED_PAD src0_sel:BYTE_3 src1_sel:DWORD
; %bb.7440:                             ;   in Loop: Header=BB6_6244 Depth=2
	s_or_b64 exec, exec, s[18:19]
	v_lshrrev_b32_e32 v14, 16, v11
	v_cmp_ne_u16_sdwa s[76:77], v14, v51 src0_sel:BYTE_0 src1_sel:DWORD
	v_mov_b32_e32 v2, 0
	s_and_saveexec_b64 s[18:19], s[76:77]
	s_cbranch_execz .LBB6_7446
; %bb.7441:                             ;   in Loop: Header=BB6_6244 Depth=2
	v_cmp_ne_u16_sdwa s[78:79], v14, s50 src0_sel:BYTE_0 src1_sel:DWORD
	v_bfrev_b32_e32 v2, 1
	s_and_saveexec_b64 s[76:77], s[78:79]
	s_cbranch_execz .LBB6_7445
; %bb.7442:                             ;   in Loop: Header=BB6_6244 Depth=2
	v_bfe_u32 v4, v11, 16, 7
	v_cmp_ne_u32_e32 vcc, s39, v4
	v_mov_b32_e32 v2, 0x7f800001
	s_and_saveexec_b64 s[78:79], vcc
	s_cbranch_execz .LBB6_7444
; %bb.7443:                             ;   in Loop: Header=BB6_6244 Depth=2
	v_and_b32_e32 v2, 7, v14
	v_lshrrev_b32_e32 v6, 3, v4
	v_cmp_gt_u32_e32 vcc, 8, v4
	v_ffbh_u32_e32 v4, v2
	v_min_u32_e32 v4, 32, v4
	v_subrev_u32_e32 v15, 28, v4
	v_lshlrev_b64 v[15:16], v15, v[14:15]
	v_sub_u32_e32 v4, 29, v4
	v_and_b32_e32 v15, 7, v15
	v_cndmask_b32_e32 v4, v6, v4, vcc
	v_cndmask_b32_e32 v2, v2, v15, vcc
	v_lshlrev_b32_e32 v6, 24, v14
	v_lshlrev_b32_e32 v2, 20, v2
	v_and_b32_e32 v6, 0x80000000, v6
	v_lshl_add_u32 v4, v4, 23, v62
	v_or3_b32 v2, v6, v4, v2
.LBB6_7444:                             ;   in Loop: Header=BB6_6244 Depth=2
	s_or_b64 exec, exec, s[78:79]
.LBB6_7445:                             ;   in Loop: Header=BB6_6244 Depth=2
	s_or_b64 exec, exec, s[76:77]
.LBB6_7446:                             ;   in Loop: Header=BB6_6244 Depth=2
	s_or_b64 exec, exec, s[18:19]
	v_mul_f32_e32 v4, v17, v2
	v_and_b32_e32 v50, 0x7f800000, v4
	v_cmp_ne_u64_e32 vcc, s[46:47], v[50:51]
                                        ; implicit-def: $vgpr2
                                        ; kill: killed $vgpr2
	s_and_saveexec_b64 s[18:19], vcc
	s_xor_b64 s[76:77], exec, s[18:19]
	s_cbranch_execz .LBB6_7460
; %bb.7447:                             ;   in Loop: Header=BB6_6244 Depth=2
	v_and_b32_e32 v50, 0x7fffffff, v4
	v_cmp_gt_u64_e32 vcc, s[56:57], v[50:51]
	v_and_b32_sdwa v2, v4, s50 dst_sel:DWORD dst_unused:UNUSED_PAD src0_sel:BYTE_3 src1_sel:DWORD
                                        ; implicit-def: $vgpr6
                                        ; kill: killed $vgpr6
	s_and_saveexec_b64 s[18:19], vcc
	s_xor_b64 s[78:79], exec, s[18:19]
	s_cbranch_execz .LBB6_7457
; %bb.7448:                             ;   in Loop: Header=BB6_6244 Depth=2
	v_mov_b32_e32 v6, 0
	v_cmp_ne_u32_e32 vcc, 0, v4
	buffer_store_dword v6, off, s[0:3], s33 offset:140 ; 4-byte Folded Spill
	s_and_saveexec_b64 s[88:89], vcc
	s_cbranch_execz .LBB6_7456
; %bb.7449:                             ;   in Loop: Header=BB6_6244 Depth=2
	v_and_b32_e32 v14, 0x7fffff, v4
	v_bfe_u32 v4, v4, 23, 8
	v_cmp_gt_u32_e64 s[18:19], s51, v4
	v_sub_u32_e32 v6, 0x79, v4
	v_cmp_eq_u32_e32 vcc, 0, v4
	v_cndmask_b32_e64 v6, 0, v6, s[18:19]
	v_mov_b32_e32 v16, 0x78
	v_or_b32_e32 v15, 0x800000, v14
	v_cndmask_b32_e32 v6, v6, v16, vcc
	v_cndmask_b32_e32 v50, v15, v14, vcc
	v_add_u32_e32 v14, 20, v6
	v_lshlrev_b64 v[14:15], v14, -1
	v_add_u32_e32 v16, 19, v6
	v_lshlrev_b64 v[18:19], v16, 1
	v_bfi_b32 v15, v15, 0, 0
	v_bfi_b32 v14, v14, 0, v50
	v_cmp_eq_u64_e64 s[18:19], v[14:15], v[18:19]
	v_lshrrev_b64 v[14:15], v6, v[50:51]
	v_mov_b32_e32 v16, v15
	v_mov_b32_e32 v15, v14
	s_and_saveexec_b64 s[90:91], s[18:19]
; %bb.7450:                             ;   in Loop: Header=BB6_6244 Depth=2
	v_bfe_u32 v15, v14, 20, 1
	v_add_co_u32_e64 v15, s[18:19], v14, v15
	v_add_co_u32_e64 v15, s[18:19], -1, v15
; %bb.7451:                             ;   in Loop: Header=BB6_6244 Depth=2
	s_or_b64 exec, exec, s[90:91]
	v_add_u32_e32 v4, 0xffffff81, v4
	v_mov_b32_e32 v16, 0xffffff82
	v_cndmask_b32_e32 v4, v4, v16, vcc
	v_lshrrev_b32_e32 v16, 23, v14
	v_add3_u32 v16, v6, v4, v16
	v_add_u32_e32 v6, 6, v16
	v_and_b32_e32 v4, 0xfffff, v15
	v_add_u32_e32 v50, v4, v14
	v_cmp_ne_u32_e32 vcc, 0, v6
                                        ; implicit-def: $vgpr14_vgpr15
                                        ; implicit-def: $vgpr4
	s_and_saveexec_b64 s[18:19], vcc
	s_xor_b64 s[18:19], exec, s[18:19]
; %bb.7452:                             ;   in Loop: Header=BB6_6244 Depth=2
	v_cmp_lt_u64_e32 vcc, s[58:59], v[50:51]
	v_add_u32_e32 v4, 7, v16
	v_cndmask_b32_e32 v4, v6, v4, vcc
	v_cndmask_b32_e64 v6, 0, 1, vcc
	v_lshrrev_b64 v[14:15], v6, v[50:51]
; %bb.7453:                             ;   in Loop: Header=BB6_6244 Depth=2
	s_andn2_saveexec_b64 s[18:19], s[18:19]
; %bb.7454:                             ;   in Loop: Header=BB6_6244 Depth=2
	v_mov_b32_e32 v14, v50
	v_bfe_u32 v4, v50, 23, 1
	v_mov_b32_e32 v15, v51
; %bb.7455:                             ;   in Loop: Header=BB6_6244 Depth=2
	s_or_b64 exec, exec, s[18:19]
	v_lshrrev_b64 v[14:15], 20, v[14:15]
	v_cmp_gt_i32_e32 vcc, 16, v4
	v_cndmask_b32_e32 v15, 0, v15, vcc
	v_cndmask_b32_e32 v14, 7, v14, vcc
	v_cmp_eq_u32_e32 vcc, 0, v4
	v_min_i32_e32 v4, 15, v4
	v_cmp_eq_u64_e64 s[18:19], 0, v[14:15]
	v_lshlrev_b32_e32 v4, 3, v4
	v_and_b32_e32 v4, 0xf8, v4
	v_and_or_b32 v4, v14, 7, v4
	s_and_b64 s[18:19], vcc, s[18:19]
	v_cndmask_b32_e64 v4, v4, 0, s[18:19]
	v_or_b32_e32 v2, v4, v2
	buffer_store_dword v2, off, s[0:3], s33 offset:140 ; 4-byte Folded Spill
.LBB6_7456:                             ;   in Loop: Header=BB6_6244 Depth=2
	s_or_b64 exec, exec, s[88:89]
                                        ; implicit-def: $vgpr2
.LBB6_7457:                             ;   in Loop: Header=BB6_6244 Depth=2
	s_andn2_saveexec_b64 s[18:19], s[78:79]
	s_cbranch_execz .LBB6_7459
; %bb.7458:                             ;   in Loop: Header=BB6_6244 Depth=2
	v_or_b32_e32 v2, 0x7e, v2
	buffer_store_dword v2, off, s[0:3], s33 offset:140 ; 4-byte Folded Spill
.LBB6_7459:                             ;   in Loop: Header=BB6_6244 Depth=2
	s_or_b64 exec, exec, s[18:19]
                                        ; implicit-def: $vgpr4
.LBB6_7460:                             ;   in Loop: Header=BB6_6244 Depth=2
	s_andn2_saveexec_b64 s[18:19], s[76:77]
	s_cbranch_execz .LBB6_7462
; %bb.7461:                             ;   in Loop: Header=BB6_6244 Depth=2
	v_or_b32_sdwa v2, v4, s39 dst_sel:DWORD dst_unused:UNUSED_PAD src0_sel:BYTE_3 src1_sel:DWORD
	buffer_store_dword v2, off, s[0:3], s33 offset:140 ; 4-byte Folded Spill
.LBB6_7462:                             ;   in Loop: Header=BB6_6244 Depth=2
	s_or_b64 exec, exec, s[18:19]
	v_cmp_lt_u64_e32 vcc, s[60:61], v[10:11]
	v_mov_b32_e32 v2, 0
	s_and_saveexec_b64 s[18:19], vcc
	s_cbranch_execz .LBB6_7468
; %bb.7463:                             ;   in Loop: Header=BB6_6244 Depth=2
	v_lshrrev_b32_e32 v10, 24, v11
	v_cmp_ne_u32_e32 vcc, s50, v10
	v_bfrev_b32_e32 v2, 1
	s_and_saveexec_b64 s[76:77], vcc
	s_cbranch_execz .LBB6_7467
; %bb.7464:                             ;   in Loop: Header=BB6_6244 Depth=2
	v_bfe_u32 v4, v11, 24, 7
	v_cmp_ne_u32_e32 vcc, s39, v4
	v_mov_b32_e32 v2, 0x7f800001
	s_and_saveexec_b64 s[78:79], vcc
	s_cbranch_execz .LBB6_7466
; %bb.7465:                             ;   in Loop: Header=BB6_6244 Depth=2
	v_and_b32_e32 v2, 7, v10
	v_lshrrev_b32_e32 v6, 3, v4
	v_cmp_gt_u32_e32 vcc, 8, v4
	v_ffbh_u32_e32 v4, v2
	v_min_u32_e32 v4, 32, v4
	v_subrev_u32_e32 v11, 28, v4
	v_lshlrev_b64 v[14:15], v11, v[10:11]
	v_sub_u32_e32 v4, 29, v4
	v_and_b32_e32 v11, 7, v14
	v_cndmask_b32_e32 v4, v6, v4, vcc
	v_cndmask_b32_e32 v2, v2, v11, vcc
	v_lshlrev_b32_e32 v6, 24, v10
	v_lshlrev_b32_e32 v2, 20, v2
	v_and_b32_e32 v6, 0x80000000, v6
	v_lshl_add_u32 v4, v4, 23, v62
	v_or3_b32 v2, v6, v4, v2
.LBB6_7466:                             ;   in Loop: Header=BB6_6244 Depth=2
	s_or_b64 exec, exec, s[78:79]
.LBB6_7467:                             ;   in Loop: Header=BB6_6244 Depth=2
	s_or_b64 exec, exec, s[76:77]
.LBB6_7468:                             ;   in Loop: Header=BB6_6244 Depth=2
	s_or_b64 exec, exec, s[18:19]
	v_mul_f32_e32 v4, v17, v2
	v_and_b32_e32 v50, 0x7f800000, v4
	v_cmp_ne_u64_e32 vcc, s[46:47], v[50:51]
                                        ; implicit-def: $vgpr2
                                        ; kill: killed $vgpr2
	s_and_saveexec_b64 s[18:19], vcc
	s_xor_b64 s[76:77], exec, s[18:19]
	s_cbranch_execz .LBB6_7482
; %bb.7469:                             ;   in Loop: Header=BB6_6244 Depth=2
	v_and_b32_e32 v50, 0x7fffffff, v4
	v_cmp_gt_u64_e32 vcc, s[56:57], v[50:51]
	v_and_b32_sdwa v2, v4, s50 dst_sel:DWORD dst_unused:UNUSED_PAD src0_sel:BYTE_3 src1_sel:DWORD
                                        ; implicit-def: $vgpr6
                                        ; kill: killed $vgpr6
	s_and_saveexec_b64 s[18:19], vcc
	s_xor_b64 s[78:79], exec, s[18:19]
	s_cbranch_execz .LBB6_7479
; %bb.7470:                             ;   in Loop: Header=BB6_6244 Depth=2
	v_mov_b32_e32 v6, 0
	v_cmp_ne_u32_e32 vcc, 0, v4
	buffer_store_dword v6, off, s[0:3], s33 offset:164 ; 4-byte Folded Spill
	s_and_saveexec_b64 s[88:89], vcc
	s_cbranch_execz .LBB6_7478
; %bb.7471:                             ;   in Loop: Header=BB6_6244 Depth=2
	v_and_b32_e32 v10, 0x7fffff, v4
	v_bfe_u32 v4, v4, 23, 8
	v_cmp_gt_u32_e64 s[18:19], s51, v4
	v_sub_u32_e32 v6, 0x79, v4
	v_cmp_eq_u32_e32 vcc, 0, v4
	v_cndmask_b32_e64 v6, 0, v6, s[18:19]
	v_mov_b32_e32 v14, 0x78
	v_or_b32_e32 v11, 0x800000, v10
	v_cndmask_b32_e32 v6, v6, v14, vcc
	v_cndmask_b32_e32 v50, v11, v10, vcc
	v_add_u32_e32 v10, 20, v6
	v_lshlrev_b64 v[10:11], v10, -1
	v_add_u32_e32 v14, 19, v6
	v_lshlrev_b64 v[14:15], v14, 1
	v_bfi_b32 v11, v11, 0, 0
	v_bfi_b32 v10, v10, 0, v50
	v_cmp_eq_u64_e64 s[18:19], v[10:11], v[14:15]
	v_lshrrev_b64 v[10:11], v6, v[50:51]
	v_mov_b32_e32 v15, v11
	v_mov_b32_e32 v14, v10
	s_and_saveexec_b64 s[90:91], s[18:19]
; %bb.7472:                             ;   in Loop: Header=BB6_6244 Depth=2
	v_bfe_u32 v11, v10, 20, 1
	v_add_co_u32_e64 v11, s[18:19], v10, v11
	v_add_co_u32_e64 v14, s[18:19], -1, v11
; %bb.7473:                             ;   in Loop: Header=BB6_6244 Depth=2
	s_or_b64 exec, exec, s[90:91]
	v_add_u32_e32 v4, 0xffffff81, v4
	v_mov_b32_e32 v11, 0xffffff82
	v_cndmask_b32_e32 v4, v4, v11, vcc
	v_lshrrev_b32_e32 v11, 23, v10
	v_add3_u32 v15, v6, v4, v11
	v_add_u32_e32 v6, 6, v15
	v_and_b32_e32 v4, 0xfffff, v14
	v_add_u32_e32 v50, v4, v10
	v_cmp_ne_u32_e32 vcc, 0, v6
                                        ; implicit-def: $vgpr10_vgpr11
                                        ; implicit-def: $vgpr4
	s_and_saveexec_b64 s[18:19], vcc
	s_xor_b64 s[18:19], exec, s[18:19]
; %bb.7474:                             ;   in Loop: Header=BB6_6244 Depth=2
	v_cmp_lt_u64_e32 vcc, s[58:59], v[50:51]
	v_add_u32_e32 v4, 7, v15
	v_cndmask_b32_e32 v4, v6, v4, vcc
	v_cndmask_b32_e64 v6, 0, 1, vcc
	v_lshrrev_b64 v[10:11], v6, v[50:51]
; %bb.7475:                             ;   in Loop: Header=BB6_6244 Depth=2
	s_andn2_saveexec_b64 s[18:19], s[18:19]
; %bb.7476:                             ;   in Loop: Header=BB6_6244 Depth=2
	v_mov_b32_e32 v10, v50
	v_bfe_u32 v4, v50, 23, 1
	v_mov_b32_e32 v11, v51
; %bb.7477:                             ;   in Loop: Header=BB6_6244 Depth=2
	s_or_b64 exec, exec, s[18:19]
	v_lshrrev_b64 v[10:11], 20, v[10:11]
	v_cmp_gt_i32_e32 vcc, 16, v4
	v_cndmask_b32_e32 v11, 0, v11, vcc
	v_cndmask_b32_e32 v10, 7, v10, vcc
	v_cmp_eq_u32_e32 vcc, 0, v4
	v_min_i32_e32 v4, 15, v4
	v_cmp_eq_u64_e64 s[18:19], 0, v[10:11]
	v_lshlrev_b32_e32 v4, 3, v4
	v_and_b32_e32 v4, 0xf8, v4
	v_and_or_b32 v4, v10, 7, v4
	s_and_b64 s[18:19], vcc, s[18:19]
	v_cndmask_b32_e64 v4, v4, 0, s[18:19]
	v_or_b32_e32 v2, v4, v2
	buffer_store_dword v2, off, s[0:3], s33 offset:164 ; 4-byte Folded Spill
.LBB6_7478:                             ;   in Loop: Header=BB6_6244 Depth=2
	s_or_b64 exec, exec, s[88:89]
                                        ; implicit-def: $vgpr2
.LBB6_7479:                             ;   in Loop: Header=BB6_6244 Depth=2
	s_andn2_saveexec_b64 s[18:19], s[78:79]
	s_cbranch_execz .LBB6_7481
; %bb.7480:                             ;   in Loop: Header=BB6_6244 Depth=2
	v_or_b32_e32 v2, 0x7e, v2
	buffer_store_dword v2, off, s[0:3], s33 offset:164 ; 4-byte Folded Spill
.LBB6_7481:                             ;   in Loop: Header=BB6_6244 Depth=2
	s_or_b64 exec, exec, s[18:19]
                                        ; implicit-def: $vgpr4
.LBB6_7482:                             ;   in Loop: Header=BB6_6244 Depth=2
	s_andn2_saveexec_b64 s[18:19], s[76:77]
	s_cbranch_execz .LBB6_7484
; %bb.7483:                             ;   in Loop: Header=BB6_6244 Depth=2
	v_or_b32_sdwa v2, v4, s39 dst_sel:DWORD dst_unused:UNUSED_PAD src0_sel:BYTE_3 src1_sel:DWORD
	buffer_store_dword v2, off, s[0:3], s33 offset:164 ; 4-byte Folded Spill
.LBB6_7484:                             ;   in Loop: Header=BB6_6244 Depth=2
	s_or_b64 exec, exec, s[18:19]
	v_cmp_ne_u16_sdwa s[76:77], v12, v51 src0_sel:BYTE_0 src1_sel:DWORD
	v_mov_b32_e32 v2, 0
	s_and_saveexec_b64 s[18:19], s[76:77]
	s_cbranch_execz .LBB6_7490
; %bb.7485:                             ;   in Loop: Header=BB6_6244 Depth=2
	v_cmp_ne_u16_sdwa s[78:79], v12, s50 src0_sel:BYTE_0 src1_sel:DWORD
	v_bfrev_b32_e32 v2, 1
	s_and_saveexec_b64 s[76:77], s[78:79]
	s_cbranch_execz .LBB6_7489
; %bb.7486:                             ;   in Loop: Header=BB6_6244 Depth=2
	v_and_b32_e32 v4, 0x7f, v12
	v_cmp_ne_u32_e32 vcc, s39, v4
	v_mov_b32_e32 v2, 0x7f800001
	s_and_saveexec_b64 s[78:79], vcc
	s_cbranch_execz .LBB6_7488
; %bb.7487:                             ;   in Loop: Header=BB6_6244 Depth=2
	v_and_b32_e32 v2, 7, v12
	v_ffbh_u32_e32 v2, v2
	v_min_u32_e32 v2, 32, v2
	v_lshrrev_b32_e32 v6, 3, v4
	v_cmp_gt_u32_e32 vcc, 8, v4
	v_subrev_u32_e32 v4, 28, v2
	v_cndmask_b32_e32 v4, 0, v4, vcc
	v_lshlrev_b64 v[10:11], v4, v[12:13]
	v_sub_u32_e32 v2, 29, v2
	v_cndmask_b32_e32 v2, v6, v2, vcc
	v_lshlrev_b32_e32 v4, 20, v10
	v_lshlrev_b32_e32 v6, 24, v12
	v_and_b32_e32 v4, 0x700000, v4
	v_and_b32_e32 v6, 0x80000000, v6
	v_lshl_add_u32 v2, v2, 23, v62
	v_or3_b32 v2, v6, v2, v4
.LBB6_7488:                             ;   in Loop: Header=BB6_6244 Depth=2
	s_or_b64 exec, exec, s[78:79]
.LBB6_7489:                             ;   in Loop: Header=BB6_6244 Depth=2
	s_or_b64 exec, exec, s[76:77]
.LBB6_7490:                             ;   in Loop: Header=BB6_6244 Depth=2
	s_or_b64 exec, exec, s[18:19]
	v_mul_f32_e32 v4, v17, v2
	v_and_b32_e32 v50, 0x7f800000, v4
	v_cmp_ne_u64_e32 vcc, s[46:47], v[50:51]
                                        ; implicit-def: $vgpr6
	s_and_saveexec_b64 s[18:19], vcc
	s_xor_b64 s[76:77], exec, s[18:19]
	s_cbranch_execz .LBB6_7504
; %bb.7491:                             ;   in Loop: Header=BB6_6244 Depth=2
	v_and_b32_e32 v50, 0x7fffffff, v4
	v_cmp_gt_u64_e32 vcc, s[56:57], v[50:51]
	v_and_b32_sdwa v2, v4, s50 dst_sel:DWORD dst_unused:UNUSED_PAD src0_sel:BYTE_3 src1_sel:DWORD
                                        ; implicit-def: $vgpr6
	s_and_saveexec_b64 s[18:19], vcc
	s_xor_b64 s[78:79], exec, s[18:19]
	s_cbranch_execz .LBB6_7501
; %bb.7492:                             ;   in Loop: Header=BB6_6244 Depth=2
	v_mov_b32_e32 v6, 0
	v_cmp_ne_u32_e32 vcc, 0, v4
	s_and_saveexec_b64 s[88:89], vcc
	s_cbranch_execz .LBB6_7500
; %bb.7493:                             ;   in Loop: Header=BB6_6244 Depth=2
	v_and_b32_e32 v10, 0x7fffff, v4
	v_bfe_u32 v4, v4, 23, 8
	v_cmp_gt_u32_e64 s[18:19], s51, v4
	v_sub_u32_e32 v6, 0x79, v4
	v_cmp_eq_u32_e32 vcc, 0, v4
	v_cndmask_b32_e64 v6, 0, v6, s[18:19]
	v_mov_b32_e32 v14, 0x78
	v_or_b32_e32 v11, 0x800000, v10
	v_cndmask_b32_e32 v6, v6, v14, vcc
	v_cndmask_b32_e32 v50, v11, v10, vcc
	v_add_u32_e32 v10, 20, v6
	v_lshlrev_b64 v[10:11], v10, -1
	v_add_u32_e32 v14, 19, v6
	v_lshlrev_b64 v[14:15], v14, 1
	v_bfi_b32 v11, v11, 0, 0
	v_bfi_b32 v10, v10, 0, v50
	v_cmp_eq_u64_e64 s[18:19], v[10:11], v[14:15]
	v_lshrrev_b64 v[10:11], v6, v[50:51]
	v_mov_b32_e32 v15, v11
	v_mov_b32_e32 v14, v10
	s_and_saveexec_b64 s[90:91], s[18:19]
; %bb.7494:                             ;   in Loop: Header=BB6_6244 Depth=2
	v_bfe_u32 v11, v10, 20, 1
	v_add_co_u32_e64 v11, s[18:19], v10, v11
	v_add_co_u32_e64 v14, s[18:19], -1, v11
; %bb.7495:                             ;   in Loop: Header=BB6_6244 Depth=2
	s_or_b64 exec, exec, s[90:91]
	v_add_u32_e32 v4, 0xffffff81, v4
	v_mov_b32_e32 v11, 0xffffff82
	v_cndmask_b32_e32 v4, v4, v11, vcc
	v_lshrrev_b32_e32 v11, 23, v10
	v_add3_u32 v15, v6, v4, v11
	v_add_u32_e32 v6, 6, v15
	v_and_b32_e32 v4, 0xfffff, v14
	v_add_u32_e32 v50, v4, v10
	v_cmp_ne_u32_e32 vcc, 0, v6
                                        ; implicit-def: $vgpr10_vgpr11
                                        ; implicit-def: $vgpr4
	s_and_saveexec_b64 s[18:19], vcc
	s_xor_b64 s[18:19], exec, s[18:19]
; %bb.7496:                             ;   in Loop: Header=BB6_6244 Depth=2
	v_cmp_lt_u64_e32 vcc, s[58:59], v[50:51]
	v_add_u32_e32 v4, 7, v15
	v_cndmask_b32_e32 v4, v6, v4, vcc
	v_cndmask_b32_e64 v6, 0, 1, vcc
	v_lshrrev_b64 v[10:11], v6, v[50:51]
; %bb.7497:                             ;   in Loop: Header=BB6_6244 Depth=2
	s_andn2_saveexec_b64 s[18:19], s[18:19]
; %bb.7498:                             ;   in Loop: Header=BB6_6244 Depth=2
	v_mov_b32_e32 v10, v50
	v_bfe_u32 v4, v50, 23, 1
	v_mov_b32_e32 v11, v51
; %bb.7499:                             ;   in Loop: Header=BB6_6244 Depth=2
	s_or_b64 exec, exec, s[18:19]
	v_lshrrev_b64 v[10:11], 20, v[10:11]
	v_cmp_gt_i32_e32 vcc, 16, v4
	v_cndmask_b32_e32 v11, 0, v11, vcc
	v_cndmask_b32_e32 v10, 7, v10, vcc
	v_cmp_eq_u32_e32 vcc, 0, v4
	v_min_i32_e32 v4, 15, v4
	v_cmp_eq_u64_e64 s[18:19], 0, v[10:11]
	v_lshlrev_b32_e32 v4, 3, v4
	v_and_b32_e32 v4, 0xf8, v4
	v_and_or_b32 v4, v10, 7, v4
	s_and_b64 s[18:19], vcc, s[18:19]
	v_cndmask_b32_e64 v4, v4, 0, s[18:19]
	v_or_b32_e32 v6, v4, v2
.LBB6_7500:                             ;   in Loop: Header=BB6_6244 Depth=2
	s_or_b64 exec, exec, s[88:89]
                                        ; implicit-def: $vgpr2
.LBB6_7501:                             ;   in Loop: Header=BB6_6244 Depth=2
	s_andn2_saveexec_b64 s[18:19], s[78:79]
; %bb.7502:                             ;   in Loop: Header=BB6_6244 Depth=2
	v_or_b32_e32 v6, 0x7e, v2
; %bb.7503:                             ;   in Loop: Header=BB6_6244 Depth=2
	s_or_b64 exec, exec, s[18:19]
                                        ; implicit-def: $vgpr4
.LBB6_7504:                             ;   in Loop: Header=BB6_6244 Depth=2
	s_andn2_saveexec_b64 s[18:19], s[76:77]
; %bb.7505:                             ;   in Loop: Header=BB6_6244 Depth=2
	v_or_b32_sdwa v6, v4, s39 dst_sel:DWORD dst_unused:UNUSED_PAD src0_sel:BYTE_3 src1_sel:DWORD
; %bb.7506:                             ;   in Loop: Header=BB6_6244 Depth=2
	s_or_b64 exec, exec, s[18:19]
	v_lshrrev_b16_e32 v10, 8, v12
	v_cmp_ne_u16_e32 vcc, 0, v10
	v_mov_b32_e32 v2, 0
	s_and_saveexec_b64 s[18:19], vcc
	s_cbranch_execz .LBB6_7512
; %bb.7507:                             ;   in Loop: Header=BB6_6244 Depth=2
	v_cmp_ne_u16_e32 vcc, s50, v10
	v_bfrev_b32_e32 v2, 1
	s_and_saveexec_b64 s[76:77], vcc
	s_cbranch_execz .LBB6_7511
; %bb.7508:                             ;   in Loop: Header=BB6_6244 Depth=2
	v_and_b32_e32 v4, 0x7f, v10
	v_cmp_ne_u32_e32 vcc, s39, v4
	v_mov_b32_e32 v2, 0x7f800001
	s_and_saveexec_b64 s[78:79], vcc
	s_cbranch_execz .LBB6_7510
; %bb.7509:                             ;   in Loop: Header=BB6_6244 Depth=2
	v_and_b32_e32 v2, 7, v10
	v_lshrrev_b32_e32 v14, 3, v4
	v_cmp_gt_u32_e32 vcc, 8, v4
	v_ffbh_u32_e32 v4, v2
	v_min_u32_e32 v4, 32, v4
	v_subrev_u32_e32 v11, 28, v4
	v_lshlrev_b64 v[10:11], v11, v[10:11]
	v_sub_u32_e32 v4, 29, v4
	v_and_b32_e32 v10, 7, v10
	v_cndmask_b32_e32 v4, v14, v4, vcc
	v_cndmask_b32_e32 v2, v2, v10, vcc
	v_lshlrev_b32_e32 v10, 16, v12
	v_lshlrev_b32_e32 v2, 20, v2
	v_and_b32_e32 v10, 0x80000000, v10
	v_lshl_add_u32 v4, v4, 23, v62
	v_or3_b32 v2, v10, v4, v2
.LBB6_7510:                             ;   in Loop: Header=BB6_6244 Depth=2
	s_or_b64 exec, exec, s[78:79]
.LBB6_7511:                             ;   in Loop: Header=BB6_6244 Depth=2
	s_or_b64 exec, exec, s[76:77]
.LBB6_7512:                             ;   in Loop: Header=BB6_6244 Depth=2
	s_or_b64 exec, exec, s[18:19]
	v_mul_f32_e32 v4, v17, v2
	v_and_b32_e32 v50, 0x7f800000, v4
	v_cmp_ne_u64_e32 vcc, s[46:47], v[50:51]
                                        ; implicit-def: $vgpr2
                                        ; kill: killed $vgpr2
	s_and_saveexec_b64 s[18:19], vcc
	s_xor_b64 s[76:77], exec, s[18:19]
	s_cbranch_execz .LBB6_7526
; %bb.7513:                             ;   in Loop: Header=BB6_6244 Depth=2
	v_and_b32_e32 v50, 0x7fffffff, v4
	v_cmp_gt_u64_e32 vcc, s[56:57], v[50:51]
	v_and_b32_sdwa v2, v4, s50 dst_sel:DWORD dst_unused:UNUSED_PAD src0_sel:BYTE_3 src1_sel:DWORD
                                        ; implicit-def: $vgpr10
                                        ; kill: killed $vgpr10
	s_and_saveexec_b64 s[18:19], vcc
	s_xor_b64 s[78:79], exec, s[18:19]
	s_cbranch_execz .LBB6_7523
; %bb.7514:                             ;   in Loop: Header=BB6_6244 Depth=2
	v_mov_b32_e32 v10, 0
	v_cmp_ne_u32_e32 vcc, 0, v4
	buffer_store_dword v10, off, s[0:3], s33 offset:120 ; 4-byte Folded Spill
	s_and_saveexec_b64 s[88:89], vcc
	s_cbranch_execz .LBB6_7522
; %bb.7515:                             ;   in Loop: Header=BB6_6244 Depth=2
	v_and_b32_e32 v10, 0x7fffff, v4
	v_bfe_u32 v4, v4, 23, 8
	v_cmp_gt_u32_e64 s[18:19], s51, v4
	v_sub_u32_e32 v11, 0x79, v4
	v_cmp_eq_u32_e32 vcc, 0, v4
	v_cndmask_b32_e64 v11, 0, v11, s[18:19]
	v_mov_b32_e32 v15, 0x78
	v_or_b32_e32 v14, 0x800000, v10
	v_cndmask_b32_e32 v16, v11, v15, vcc
	v_cndmask_b32_e32 v50, v14, v10, vcc
	v_add_u32_e32 v10, 20, v16
	v_lshlrev_b64 v[10:11], v10, -1
	v_add_u32_e32 v14, 19, v16
	v_lshlrev_b64 v[14:15], v14, 1
	v_bfi_b32 v11, v11, 0, 0
	v_bfi_b32 v10, v10, 0, v50
	v_cmp_eq_u64_e64 s[18:19], v[10:11], v[14:15]
	v_lshrrev_b64 v[10:11], v16, v[50:51]
	v_mov_b32_e32 v15, v11
	v_mov_b32_e32 v14, v10
	s_and_saveexec_b64 s[90:91], s[18:19]
; %bb.7516:                             ;   in Loop: Header=BB6_6244 Depth=2
	v_bfe_u32 v11, v10, 20, 1
	v_add_co_u32_e64 v11, s[18:19], v10, v11
	v_add_co_u32_e64 v14, s[18:19], -1, v11
; %bb.7517:                             ;   in Loop: Header=BB6_6244 Depth=2
	s_or_b64 exec, exec, s[90:91]
	v_add_u32_e32 v4, 0xffffff81, v4
	v_mov_b32_e32 v11, 0xffffff82
	v_cndmask_b32_e32 v4, v4, v11, vcc
	v_lshrrev_b32_e32 v11, 23, v10
	v_add3_u32 v16, v16, v4, v11
	v_add_u32_e32 v15, 6, v16
	v_and_b32_e32 v4, 0xfffff, v14
	v_add_u32_e32 v50, v4, v10
	v_cmp_ne_u32_e32 vcc, 0, v15
                                        ; implicit-def: $vgpr10_vgpr11
                                        ; implicit-def: $vgpr4
	s_and_saveexec_b64 s[18:19], vcc
	s_xor_b64 s[18:19], exec, s[18:19]
; %bb.7518:                             ;   in Loop: Header=BB6_6244 Depth=2
	v_cmp_lt_u64_e32 vcc, s[58:59], v[50:51]
	v_add_u32_e32 v4, 7, v16
	v_cndmask_b32_e64 v10, 0, 1, vcc
	v_lshrrev_b64 v[10:11], v10, v[50:51]
	v_cndmask_b32_e32 v4, v15, v4, vcc
; %bb.7519:                             ;   in Loop: Header=BB6_6244 Depth=2
	s_andn2_saveexec_b64 s[18:19], s[18:19]
; %bb.7520:                             ;   in Loop: Header=BB6_6244 Depth=2
	v_mov_b32_e32 v10, v50
	v_bfe_u32 v4, v50, 23, 1
	v_mov_b32_e32 v11, v51
; %bb.7521:                             ;   in Loop: Header=BB6_6244 Depth=2
	s_or_b64 exec, exec, s[18:19]
	v_lshrrev_b64 v[10:11], 20, v[10:11]
	v_cmp_gt_i32_e32 vcc, 16, v4
	v_cndmask_b32_e32 v11, 0, v11, vcc
	v_cndmask_b32_e32 v10, 7, v10, vcc
	v_cmp_eq_u32_e32 vcc, 0, v4
	v_min_i32_e32 v4, 15, v4
	v_cmp_eq_u64_e64 s[18:19], 0, v[10:11]
	v_lshlrev_b32_e32 v4, 3, v4
	v_and_b32_e32 v4, 0xf8, v4
	v_and_or_b32 v4, v10, 7, v4
	s_and_b64 s[18:19], vcc, s[18:19]
	v_cndmask_b32_e64 v4, v4, 0, s[18:19]
	v_or_b32_e32 v2, v4, v2
	buffer_store_dword v2, off, s[0:3], s33 offset:120 ; 4-byte Folded Spill
.LBB6_7522:                             ;   in Loop: Header=BB6_6244 Depth=2
	s_or_b64 exec, exec, s[88:89]
                                        ; implicit-def: $vgpr2
.LBB6_7523:                             ;   in Loop: Header=BB6_6244 Depth=2
	s_andn2_saveexec_b64 s[18:19], s[78:79]
	s_cbranch_execz .LBB6_7525
; %bb.7524:                             ;   in Loop: Header=BB6_6244 Depth=2
	v_or_b32_e32 v2, 0x7e, v2
	buffer_store_dword v2, off, s[0:3], s33 offset:120 ; 4-byte Folded Spill
.LBB6_7525:                             ;   in Loop: Header=BB6_6244 Depth=2
	s_or_b64 exec, exec, s[18:19]
                                        ; implicit-def: $vgpr4
.LBB6_7526:                             ;   in Loop: Header=BB6_6244 Depth=2
	s_andn2_saveexec_b64 s[18:19], s[76:77]
	s_cbranch_execz .LBB6_7528
; %bb.7527:                             ;   in Loop: Header=BB6_6244 Depth=2
	v_or_b32_sdwa v2, v4, s39 dst_sel:DWORD dst_unused:UNUSED_PAD src0_sel:BYTE_3 src1_sel:DWORD
	buffer_store_dword v2, off, s[0:3], s33 offset:120 ; 4-byte Folded Spill
.LBB6_7528:                             ;   in Loop: Header=BB6_6244 Depth=2
	s_or_b64 exec, exec, s[18:19]
	v_lshrrev_b32_e32 v10, 16, v12
	v_cmp_ne_u16_sdwa s[76:77], v10, v51 src0_sel:BYTE_0 src1_sel:DWORD
	v_mov_b32_e32 v2, 0
	s_and_saveexec_b64 s[18:19], s[76:77]
	s_cbranch_execz .LBB6_7534
; %bb.7529:                             ;   in Loop: Header=BB6_6244 Depth=2
	v_cmp_ne_u16_sdwa s[78:79], v10, s50 src0_sel:BYTE_0 src1_sel:DWORD
	v_bfrev_b32_e32 v2, 1
	s_and_saveexec_b64 s[76:77], s[78:79]
	s_cbranch_execz .LBB6_7533
; %bb.7530:                             ;   in Loop: Header=BB6_6244 Depth=2
	v_bfe_u32 v4, v12, 16, 7
	v_cmp_ne_u32_e32 vcc, s39, v4
	v_mov_b32_e32 v2, 0x7f800001
	s_and_saveexec_b64 s[78:79], vcc
	s_cbranch_execz .LBB6_7532
; %bb.7531:                             ;   in Loop: Header=BB6_6244 Depth=2
	v_and_b32_e32 v2, 7, v10
	v_lshrrev_b32_e32 v11, 3, v4
	v_cmp_gt_u32_e32 vcc, 8, v4
	v_ffbh_u32_e32 v4, v2
	v_min_u32_e32 v4, 32, v4
	v_subrev_u32_e32 v14, 28, v4
	v_lshlrev_b64 v[14:15], v14, v[10:11]
	v_sub_u32_e32 v4, 29, v4
	v_and_b32_e32 v14, 7, v14
	v_cndmask_b32_e32 v4, v11, v4, vcc
	v_cndmask_b32_e32 v2, v2, v14, vcc
	v_lshlrev_b32_e32 v10, 24, v10
	v_lshlrev_b32_e32 v2, 20, v2
	v_and_b32_e32 v10, 0x80000000, v10
	v_lshl_add_u32 v4, v4, 23, v62
	v_or3_b32 v2, v10, v4, v2
.LBB6_7532:                             ;   in Loop: Header=BB6_6244 Depth=2
	s_or_b64 exec, exec, s[78:79]
.LBB6_7533:                             ;   in Loop: Header=BB6_6244 Depth=2
	s_or_b64 exec, exec, s[76:77]
.LBB6_7534:                             ;   in Loop: Header=BB6_6244 Depth=2
	s_or_b64 exec, exec, s[18:19]
	v_mul_f32_e32 v4, v17, v2
	v_and_b32_e32 v50, 0x7f800000, v4
	v_cmp_ne_u64_e32 vcc, s[46:47], v[50:51]
                                        ; implicit-def: $vgpr2
                                        ; kill: killed $vgpr2
	s_and_saveexec_b64 s[18:19], vcc
	s_xor_b64 s[76:77], exec, s[18:19]
	s_cbranch_execz .LBB6_7548
; %bb.7535:                             ;   in Loop: Header=BB6_6244 Depth=2
	v_and_b32_e32 v50, 0x7fffffff, v4
	v_cmp_gt_u64_e32 vcc, s[56:57], v[50:51]
	v_and_b32_sdwa v2, v4, s50 dst_sel:DWORD dst_unused:UNUSED_PAD src0_sel:BYTE_3 src1_sel:DWORD
                                        ; implicit-def: $vgpr10
                                        ; kill: killed $vgpr10
	s_and_saveexec_b64 s[18:19], vcc
	s_xor_b64 s[78:79], exec, s[18:19]
	s_cbranch_execz .LBB6_7545
; %bb.7536:                             ;   in Loop: Header=BB6_6244 Depth=2
	v_mov_b32_e32 v10, 0
	v_cmp_ne_u32_e32 vcc, 0, v4
	buffer_store_dword v10, off, s[0:3], s33 offset:128 ; 4-byte Folded Spill
	s_and_saveexec_b64 s[88:89], vcc
	s_cbranch_execz .LBB6_7544
; %bb.7537:                             ;   in Loop: Header=BB6_6244 Depth=2
	v_and_b32_e32 v10, 0x7fffff, v4
	v_bfe_u32 v4, v4, 23, 8
	v_cmp_gt_u32_e64 s[18:19], s51, v4
	v_sub_u32_e32 v11, 0x79, v4
	v_cmp_eq_u32_e32 vcc, 0, v4
	v_cndmask_b32_e64 v11, 0, v11, s[18:19]
	v_mov_b32_e32 v15, 0x78
	v_or_b32_e32 v14, 0x800000, v10
	v_cndmask_b32_e32 v16, v11, v15, vcc
	v_cndmask_b32_e32 v50, v14, v10, vcc
	v_add_u32_e32 v10, 20, v16
	v_lshlrev_b64 v[10:11], v10, -1
	v_add_u32_e32 v14, 19, v16
	v_lshlrev_b64 v[14:15], v14, 1
	v_bfi_b32 v11, v11, 0, 0
	v_bfi_b32 v10, v10, 0, v50
	v_cmp_eq_u64_e64 s[18:19], v[10:11], v[14:15]
	v_lshrrev_b64 v[10:11], v16, v[50:51]
	v_mov_b32_e32 v15, v11
	v_mov_b32_e32 v14, v10
	s_and_saveexec_b64 s[90:91], s[18:19]
; %bb.7538:                             ;   in Loop: Header=BB6_6244 Depth=2
	v_bfe_u32 v11, v10, 20, 1
	v_add_co_u32_e64 v11, s[18:19], v10, v11
	v_add_co_u32_e64 v14, s[18:19], -1, v11
; %bb.7539:                             ;   in Loop: Header=BB6_6244 Depth=2
	s_or_b64 exec, exec, s[90:91]
	v_add_u32_e32 v4, 0xffffff81, v4
	v_mov_b32_e32 v11, 0xffffff82
	v_cndmask_b32_e32 v4, v4, v11, vcc
	v_lshrrev_b32_e32 v11, 23, v10
	v_add3_u32 v16, v16, v4, v11
	v_add_u32_e32 v15, 6, v16
	v_and_b32_e32 v4, 0xfffff, v14
	v_add_u32_e32 v50, v4, v10
	v_cmp_ne_u32_e32 vcc, 0, v15
                                        ; implicit-def: $vgpr10_vgpr11
                                        ; implicit-def: $vgpr4
	s_and_saveexec_b64 s[18:19], vcc
	s_xor_b64 s[18:19], exec, s[18:19]
; %bb.7540:                             ;   in Loop: Header=BB6_6244 Depth=2
	v_cmp_lt_u64_e32 vcc, s[58:59], v[50:51]
	v_add_u32_e32 v4, 7, v16
	v_cndmask_b32_e64 v10, 0, 1, vcc
	v_lshrrev_b64 v[10:11], v10, v[50:51]
	v_cndmask_b32_e32 v4, v15, v4, vcc
; %bb.7541:                             ;   in Loop: Header=BB6_6244 Depth=2
	s_andn2_saveexec_b64 s[18:19], s[18:19]
; %bb.7542:                             ;   in Loop: Header=BB6_6244 Depth=2
	v_mov_b32_e32 v10, v50
	v_bfe_u32 v4, v50, 23, 1
	v_mov_b32_e32 v11, v51
; %bb.7543:                             ;   in Loop: Header=BB6_6244 Depth=2
	s_or_b64 exec, exec, s[18:19]
	v_lshrrev_b64 v[10:11], 20, v[10:11]
	v_cmp_gt_i32_e32 vcc, 16, v4
	v_cndmask_b32_e32 v11, 0, v11, vcc
	v_cndmask_b32_e32 v10, 7, v10, vcc
	v_cmp_eq_u32_e32 vcc, 0, v4
	v_min_i32_e32 v4, 15, v4
	v_cmp_eq_u64_e64 s[18:19], 0, v[10:11]
	v_lshlrev_b32_e32 v4, 3, v4
	v_and_b32_e32 v4, 0xf8, v4
	v_and_or_b32 v4, v10, 7, v4
	s_and_b64 s[18:19], vcc, s[18:19]
	v_cndmask_b32_e64 v4, v4, 0, s[18:19]
	v_or_b32_e32 v2, v4, v2
	buffer_store_dword v2, off, s[0:3], s33 offset:128 ; 4-byte Folded Spill
.LBB6_7544:                             ;   in Loop: Header=BB6_6244 Depth=2
	s_or_b64 exec, exec, s[88:89]
                                        ; implicit-def: $vgpr2
.LBB6_7545:                             ;   in Loop: Header=BB6_6244 Depth=2
	s_andn2_saveexec_b64 s[18:19], s[78:79]
	s_cbranch_execz .LBB6_7547
; %bb.7546:                             ;   in Loop: Header=BB6_6244 Depth=2
	v_or_b32_e32 v2, 0x7e, v2
	buffer_store_dword v2, off, s[0:3], s33 offset:128 ; 4-byte Folded Spill
.LBB6_7547:                             ;   in Loop: Header=BB6_6244 Depth=2
	s_or_b64 exec, exec, s[18:19]
                                        ; implicit-def: $vgpr4
.LBB6_7548:                             ;   in Loop: Header=BB6_6244 Depth=2
	s_andn2_saveexec_b64 s[18:19], s[76:77]
	s_cbranch_execz .LBB6_7550
; %bb.7549:                             ;   in Loop: Header=BB6_6244 Depth=2
	v_or_b32_sdwa v2, v4, s39 dst_sel:DWORD dst_unused:UNUSED_PAD src0_sel:BYTE_3 src1_sel:DWORD
	buffer_store_dword v2, off, s[0:3], s33 offset:128 ; 4-byte Folded Spill
.LBB6_7550:                             ;   in Loop: Header=BB6_6244 Depth=2
	s_or_b64 exec, exec, s[18:19]
	v_cmp_lt_u32_e32 vcc, s61, v12
	v_mov_b32_e32 v2, 0
	s_and_saveexec_b64 s[18:19], vcc
	s_cbranch_execz .LBB6_7556
; %bb.7551:                             ;   in Loop: Header=BB6_6244 Depth=2
	v_lshrrev_b32_e32 v10, 24, v12
	v_cmp_ne_u32_e32 vcc, s50, v10
	v_bfrev_b32_e32 v2, 1
	s_and_saveexec_b64 s[76:77], vcc
	s_cbranch_execz .LBB6_7555
; %bb.7552:                             ;   in Loop: Header=BB6_6244 Depth=2
	v_bfe_u32 v4, v12, 24, 7
	v_cmp_ne_u32_e32 vcc, s39, v4
	v_mov_b32_e32 v2, 0x7f800001
	s_and_saveexec_b64 s[78:79], vcc
	s_cbranch_execz .LBB6_7554
; %bb.7553:                             ;   in Loop: Header=BB6_6244 Depth=2
	v_and_b32_e32 v2, 7, v10
	v_lshrrev_b32_e32 v11, 3, v4
	v_cmp_gt_u32_e32 vcc, 8, v4
	v_ffbh_u32_e32 v4, v2
	v_min_u32_e32 v4, 32, v4
	v_subrev_u32_e32 v14, 28, v4
	v_lshlrev_b64 v[14:15], v14, v[10:11]
	v_sub_u32_e32 v4, 29, v4
	v_and_b32_e32 v14, 7, v14
	v_cndmask_b32_e32 v4, v11, v4, vcc
	v_cndmask_b32_e32 v2, v2, v14, vcc
	v_lshlrev_b32_e32 v10, 24, v10
	v_lshlrev_b32_e32 v2, 20, v2
	v_and_b32_e32 v10, 0x80000000, v10
	v_lshl_add_u32 v4, v4, 23, v62
	v_or3_b32 v2, v10, v4, v2
.LBB6_7554:                             ;   in Loop: Header=BB6_6244 Depth=2
	s_or_b64 exec, exec, s[78:79]
.LBB6_7555:                             ;   in Loop: Header=BB6_6244 Depth=2
	s_or_b64 exec, exec, s[76:77]
.LBB6_7556:                             ;   in Loop: Header=BB6_6244 Depth=2
	s_or_b64 exec, exec, s[18:19]
	v_mul_f32_e32 v4, v17, v2
	v_and_b32_e32 v50, 0x7f800000, v4
	v_cmp_ne_u64_e32 vcc, s[46:47], v[50:51]
                                        ; implicit-def: $vgpr2
                                        ; kill: killed $vgpr2
	s_and_saveexec_b64 s[18:19], vcc
	s_xor_b64 s[76:77], exec, s[18:19]
	s_cbranch_execz .LBB6_7570
; %bb.7557:                             ;   in Loop: Header=BB6_6244 Depth=2
	v_and_b32_e32 v50, 0x7fffffff, v4
	v_cmp_gt_u64_e32 vcc, s[56:57], v[50:51]
	v_and_b32_sdwa v2, v4, s50 dst_sel:DWORD dst_unused:UNUSED_PAD src0_sel:BYTE_3 src1_sel:DWORD
                                        ; implicit-def: $vgpr10
                                        ; kill: killed $vgpr10
	s_and_saveexec_b64 s[18:19], vcc
	s_xor_b64 s[78:79], exec, s[18:19]
	s_cbranch_execz .LBB6_7567
; %bb.7558:                             ;   in Loop: Header=BB6_6244 Depth=2
	v_mov_b32_e32 v10, 0
	v_cmp_ne_u32_e32 vcc, 0, v4
	buffer_store_dword v10, off, s[0:3], s33 offset:144 ; 4-byte Folded Spill
	s_and_saveexec_b64 s[88:89], vcc
	s_cbranch_execz .LBB6_7566
; %bb.7559:                             ;   in Loop: Header=BB6_6244 Depth=2
	v_and_b32_e32 v10, 0x7fffff, v4
	v_bfe_u32 v4, v4, 23, 8
	v_cmp_gt_u32_e64 s[18:19], s51, v4
	v_sub_u32_e32 v11, 0x79, v4
	v_cmp_eq_u32_e32 vcc, 0, v4
	v_cndmask_b32_e64 v11, 0, v11, s[18:19]
	v_mov_b32_e32 v15, 0x78
	v_or_b32_e32 v14, 0x800000, v10
	v_cndmask_b32_e32 v16, v11, v15, vcc
	v_cndmask_b32_e32 v50, v14, v10, vcc
	v_add_u32_e32 v10, 20, v16
	v_lshlrev_b64 v[10:11], v10, -1
	v_add_u32_e32 v14, 19, v16
	v_lshlrev_b64 v[14:15], v14, 1
	v_bfi_b32 v11, v11, 0, 0
	v_bfi_b32 v10, v10, 0, v50
	v_cmp_eq_u64_e64 s[18:19], v[10:11], v[14:15]
	v_lshrrev_b64 v[10:11], v16, v[50:51]
	v_mov_b32_e32 v15, v11
	v_mov_b32_e32 v14, v10
	s_and_saveexec_b64 s[90:91], s[18:19]
; %bb.7560:                             ;   in Loop: Header=BB6_6244 Depth=2
	v_bfe_u32 v11, v10, 20, 1
	v_add_co_u32_e64 v11, s[18:19], v10, v11
	v_add_co_u32_e64 v14, s[18:19], -1, v11
; %bb.7561:                             ;   in Loop: Header=BB6_6244 Depth=2
	s_or_b64 exec, exec, s[90:91]
	v_add_u32_e32 v4, 0xffffff81, v4
	v_mov_b32_e32 v11, 0xffffff82
	v_cndmask_b32_e32 v4, v4, v11, vcc
	v_lshrrev_b32_e32 v11, 23, v10
	v_add3_u32 v16, v16, v4, v11
	v_add_u32_e32 v15, 6, v16
	v_and_b32_e32 v4, 0xfffff, v14
	v_add_u32_e32 v50, v4, v10
	v_cmp_ne_u32_e32 vcc, 0, v15
                                        ; implicit-def: $vgpr10_vgpr11
                                        ; implicit-def: $vgpr4
	s_and_saveexec_b64 s[18:19], vcc
	s_xor_b64 s[18:19], exec, s[18:19]
; %bb.7562:                             ;   in Loop: Header=BB6_6244 Depth=2
	v_cmp_lt_u64_e32 vcc, s[58:59], v[50:51]
	v_add_u32_e32 v4, 7, v16
	v_cndmask_b32_e64 v10, 0, 1, vcc
	v_lshrrev_b64 v[10:11], v10, v[50:51]
	v_cndmask_b32_e32 v4, v15, v4, vcc
; %bb.7563:                             ;   in Loop: Header=BB6_6244 Depth=2
	s_andn2_saveexec_b64 s[18:19], s[18:19]
; %bb.7564:                             ;   in Loop: Header=BB6_6244 Depth=2
	v_mov_b32_e32 v10, v50
	v_bfe_u32 v4, v50, 23, 1
	v_mov_b32_e32 v11, v51
; %bb.7565:                             ;   in Loop: Header=BB6_6244 Depth=2
	s_or_b64 exec, exec, s[18:19]
	v_lshrrev_b64 v[10:11], 20, v[10:11]
	v_cmp_gt_i32_e32 vcc, 16, v4
	v_cndmask_b32_e32 v11, 0, v11, vcc
	v_cndmask_b32_e32 v10, 7, v10, vcc
	v_cmp_eq_u32_e32 vcc, 0, v4
	v_min_i32_e32 v4, 15, v4
	v_cmp_eq_u64_e64 s[18:19], 0, v[10:11]
	v_lshlrev_b32_e32 v4, 3, v4
	v_and_b32_e32 v4, 0xf8, v4
	v_and_or_b32 v4, v10, 7, v4
	s_and_b64 s[18:19], vcc, s[18:19]
	v_cndmask_b32_e64 v4, v4, 0, s[18:19]
	v_or_b32_e32 v2, v4, v2
	buffer_store_dword v2, off, s[0:3], s33 offset:144 ; 4-byte Folded Spill
.LBB6_7566:                             ;   in Loop: Header=BB6_6244 Depth=2
	s_or_b64 exec, exec, s[88:89]
                                        ; implicit-def: $vgpr2
.LBB6_7567:                             ;   in Loop: Header=BB6_6244 Depth=2
	s_andn2_saveexec_b64 s[18:19], s[78:79]
	s_cbranch_execz .LBB6_7569
; %bb.7568:                             ;   in Loop: Header=BB6_6244 Depth=2
	v_or_b32_e32 v2, 0x7e, v2
	buffer_store_dword v2, off, s[0:3], s33 offset:144 ; 4-byte Folded Spill
.LBB6_7569:                             ;   in Loop: Header=BB6_6244 Depth=2
	s_or_b64 exec, exec, s[18:19]
                                        ; implicit-def: $vgpr4
.LBB6_7570:                             ;   in Loop: Header=BB6_6244 Depth=2
	s_andn2_saveexec_b64 s[18:19], s[76:77]
	s_cbranch_execz .LBB6_7572
; %bb.7571:                             ;   in Loop: Header=BB6_6244 Depth=2
	v_or_b32_sdwa v2, v4, s39 dst_sel:DWORD dst_unused:UNUSED_PAD src0_sel:BYTE_3 src1_sel:DWORD
	buffer_store_dword v2, off, s[0:3], s33 offset:144 ; 4-byte Folded Spill
.LBB6_7572:                             ;   in Loop: Header=BB6_6244 Depth=2
	s_or_b64 exec, exec, s[18:19]
	v_mov_b32_e32 v50, v13
	v_cmp_ne_u16_sdwa s[76:77], v13, v51 src0_sel:BYTE_0 src1_sel:DWORD
	v_mov_b32_e32 v2, 0
	s_and_saveexec_b64 s[18:19], s[76:77]
	s_cbranch_execz .LBB6_7578
; %bb.7573:                             ;   in Loop: Header=BB6_6244 Depth=2
	v_cmp_ne_u16_sdwa s[78:79], v13, s50 src0_sel:BYTE_0 src1_sel:DWORD
	v_bfrev_b32_e32 v2, 1
	s_and_saveexec_b64 s[76:77], s[78:79]
	s_cbranch_execz .LBB6_7577
; %bb.7574:                             ;   in Loop: Header=BB6_6244 Depth=2
	v_and_b32_e32 v4, 0x7f, v13
	v_cmp_ne_u32_e32 vcc, s39, v4
	v_mov_b32_e32 v2, 0x7f800001
	s_and_saveexec_b64 s[78:79], vcc
	s_cbranch_execz .LBB6_7576
; %bb.7575:                             ;   in Loop: Header=BB6_6244 Depth=2
	v_and_b32_e32 v2, 7, v13
	v_ffbh_u32_e32 v2, v2
	v_min_u32_e32 v2, 32, v2
	v_lshrrev_b32_e32 v10, 3, v4
	v_cmp_gt_u32_e32 vcc, 8, v4
	v_subrev_u32_e32 v4, 28, v2
	v_sub_u32_e32 v2, 29, v2
	v_cndmask_b32_e32 v4, 0, v4, vcc
	v_cndmask_b32_e32 v2, v10, v2, vcc
	v_lshlrev_b64 v[10:11], v4, v[50:51]
	v_lshl_add_u32 v2, v2, 23, v62
	v_lshlrev_b32_e32 v4, 20, v10
	v_lshlrev_b32_e32 v10, 24, v50
	v_and_b32_e32 v4, 0x700000, v4
	v_and_b32_e32 v10, 0x80000000, v10
	v_or3_b32 v2, v10, v2, v4
.LBB6_7576:                             ;   in Loop: Header=BB6_6244 Depth=2
	s_or_b64 exec, exec, s[78:79]
.LBB6_7577:                             ;   in Loop: Header=BB6_6244 Depth=2
	s_or_b64 exec, exec, s[76:77]
.LBB6_7578:                             ;   in Loop: Header=BB6_6244 Depth=2
	s_or_b64 exec, exec, s[18:19]
	v_mul_f32_e32 v10, v17, v2
	v_and_b32_e32 v14, 0x7f800000, v10
	v_mov_b32_e32 v15, v51
	v_cmp_ne_u64_e32 vcc, s[46:47], v[14:15]
                                        ; implicit-def: $vgpr4
	s_and_saveexec_b64 s[18:19], vcc
	s_xor_b64 s[76:77], exec, s[18:19]
	s_cbranch_execz .LBB6_7592
; %bb.7579:                             ;   in Loop: Header=BB6_6244 Depth=2
	v_and_b32_e32 v14, 0x7fffffff, v10
	v_mov_b32_e32 v15, v51
	v_cmp_gt_u64_e32 vcc, s[56:57], v[14:15]
	v_and_b32_sdwa v2, v10, s50 dst_sel:DWORD dst_unused:UNUSED_PAD src0_sel:BYTE_3 src1_sel:DWORD
                                        ; implicit-def: $vgpr4
	s_and_saveexec_b64 s[18:19], vcc
	s_xor_b64 s[78:79], exec, s[18:19]
	s_cbranch_execz .LBB6_7589
; %bb.7580:                             ;   in Loop: Header=BB6_6244 Depth=2
	v_mov_b32_e32 v4, 0
	v_cmp_ne_u32_e32 vcc, 0, v10
	s_and_saveexec_b64 s[88:89], vcc
	s_cbranch_execz .LBB6_7588
; %bb.7581:                             ;   in Loop: Header=BB6_6244 Depth=2
	v_bfe_u32 v4, v10, 23, 8
	v_and_b32_e32 v11, 0x7fffff, v10
	v_cmp_gt_u32_e64 s[18:19], s51, v4
	v_sub_u32_e32 v10, 0x79, v4
	v_cmp_eq_u32_e32 vcc, 0, v4
	v_cndmask_b32_e64 v10, 0, v10, s[18:19]
	v_mov_b32_e32 v15, 0x78
	v_or_b32_e32 v14, 0x800000, v11
	v_cndmask_b32_e32 v16, v10, v15, vcc
	v_cndmask_b32_e32 v10, v14, v11, vcc
	v_add_u32_e32 v14, 20, v16
	v_lshlrev_b64 v[14:15], v14, -1
	v_mov_b32_e32 v11, v51
	v_add_u32_e32 v18, 19, v16
	v_bfi_b32 v14, v14, 0, v10
	v_lshlrev_b64 v[18:19], v18, 1
	v_lshrrev_b64 v[10:11], v16, v[10:11]
	v_bfi_b32 v15, v15, 0, 0
	v_cmp_eq_u64_e64 s[18:19], v[14:15], v[18:19]
	v_mov_b32_e32 v15, v11
	v_mov_b32_e32 v14, v10
	s_and_saveexec_b64 s[90:91], s[18:19]
; %bb.7582:                             ;   in Loop: Header=BB6_6244 Depth=2
	v_bfe_u32 v11, v10, 20, 1
	v_add_co_u32_e64 v11, s[18:19], v10, v11
	v_add_co_u32_e64 v14, s[18:19], -1, v11
; %bb.7583:                             ;   in Loop: Header=BB6_6244 Depth=2
	s_or_b64 exec, exec, s[90:91]
	v_add_u32_e32 v4, 0xffffff81, v4
	v_mov_b32_e32 v11, 0xffffff82
	v_cndmask_b32_e32 v4, v4, v11, vcc
	v_lshrrev_b32_e32 v11, 23, v10
	v_add3_u32 v16, v16, v4, v11
	v_add_u32_e32 v15, 6, v16
	v_and_b32_e32 v4, 0xfffff, v14
	v_add_u32_e32 v10, v4, v10
	v_mov_b32_e32 v11, v51
	v_cmp_ne_u32_e32 vcc, 0, v15
                                        ; implicit-def: $vgpr4
	s_and_saveexec_b64 s[18:19], vcc
	s_xor_b64 s[18:19], exec, s[18:19]
; %bb.7584:                             ;   in Loop: Header=BB6_6244 Depth=2
	v_cmp_lt_u64_e32 vcc, s[58:59], v[10:11]
	v_add_u32_e32 v4, 7, v16
	v_cndmask_b32_e64 v14, 0, 1, vcc
	v_lshrrev_b64 v[10:11], v14, v[10:11]
	v_cndmask_b32_e32 v4, v15, v4, vcc
; %bb.7585:                             ;   in Loop: Header=BB6_6244 Depth=2
	s_andn2_saveexec_b64 s[18:19], s[18:19]
; %bb.7586:                             ;   in Loop: Header=BB6_6244 Depth=2
	v_bfe_u32 v4, v10, 23, 1
; %bb.7587:                             ;   in Loop: Header=BB6_6244 Depth=2
	s_or_b64 exec, exec, s[18:19]
	v_lshrrev_b64 v[10:11], 20, v[10:11]
	v_cmp_gt_i32_e32 vcc, 16, v4
	v_cndmask_b32_e32 v11, 0, v11, vcc
	v_cndmask_b32_e32 v10, 7, v10, vcc
	v_cmp_eq_u32_e32 vcc, 0, v4
	v_min_i32_e32 v4, 15, v4
	v_cmp_eq_u64_e64 s[18:19], 0, v[10:11]
	v_lshlrev_b32_e32 v4, 3, v4
	v_and_b32_e32 v4, 0xf8, v4
	v_and_or_b32 v4, v10, 7, v4
	s_and_b64 s[18:19], vcc, s[18:19]
	v_cndmask_b32_e64 v4, v4, 0, s[18:19]
	v_or_b32_e32 v4, v4, v2
.LBB6_7588:                             ;   in Loop: Header=BB6_6244 Depth=2
	s_or_b64 exec, exec, s[88:89]
                                        ; implicit-def: $vgpr2
.LBB6_7589:                             ;   in Loop: Header=BB6_6244 Depth=2
	s_andn2_saveexec_b64 s[18:19], s[78:79]
; %bb.7590:                             ;   in Loop: Header=BB6_6244 Depth=2
	v_or_b32_e32 v4, 0x7e, v2
; %bb.7591:                             ;   in Loop: Header=BB6_6244 Depth=2
	s_or_b64 exec, exec, s[18:19]
                                        ; implicit-def: $vgpr10
.LBB6_7592:                             ;   in Loop: Header=BB6_6244 Depth=2
	s_andn2_saveexec_b64 s[18:19], s[76:77]
; %bb.7593:                             ;   in Loop: Header=BB6_6244 Depth=2
	v_or_b32_sdwa v4, v10, s39 dst_sel:DWORD dst_unused:UNUSED_PAD src0_sel:BYTE_3 src1_sel:DWORD
; %bb.7594:                             ;   in Loop: Header=BB6_6244 Depth=2
	s_or_b64 exec, exec, s[18:19]
	v_lshrrev_b16_e32 v10, 8, v50
	v_cmp_ne_u16_e32 vcc, 0, v10
	v_mov_b32_e32 v2, 0
	s_and_saveexec_b64 s[18:19], vcc
	s_cbranch_execz .LBB6_7600
; %bb.7595:                             ;   in Loop: Header=BB6_6244 Depth=2
	v_cmp_ne_u16_e32 vcc, s50, v10
	v_bfrev_b32_e32 v2, 1
	s_and_saveexec_b64 s[76:77], vcc
	s_cbranch_execz .LBB6_7599
; %bb.7596:                             ;   in Loop: Header=BB6_6244 Depth=2
	v_and_b32_e32 v11, 0x7f, v10
	v_cmp_ne_u32_e32 vcc, s39, v11
	v_mov_b32_e32 v2, 0x7f800001
	s_and_saveexec_b64 s[78:79], vcc
	s_cbranch_execz .LBB6_7598
; %bb.7597:                             ;   in Loop: Header=BB6_6244 Depth=2
	v_and_b32_e32 v2, 7, v10
	v_lshrrev_b32_e32 v14, 3, v11
	v_cmp_gt_u32_e32 vcc, 8, v11
	v_ffbh_u32_e32 v11, v2
	v_min_u32_e32 v15, 32, v11
	v_subrev_u32_e32 v11, 28, v15
	v_lshlrev_b64 v[10:11], v11, v[10:11]
	v_sub_u32_e32 v11, 29, v15
	v_and_b32_e32 v10, 7, v10
	v_cndmask_b32_e32 v11, v14, v11, vcc
	v_cndmask_b32_e32 v2, v2, v10, vcc
	v_lshlrev_b32_e32 v10, 16, v50
	v_lshlrev_b32_e32 v2, 20, v2
	v_and_b32_e32 v10, 0x80000000, v10
	v_lshl_add_u32 v11, v11, 23, v62
	v_or3_b32 v2, v10, v11, v2
.LBB6_7598:                             ;   in Loop: Header=BB6_6244 Depth=2
	s_or_b64 exec, exec, s[78:79]
.LBB6_7599:                             ;   in Loop: Header=BB6_6244 Depth=2
	s_or_b64 exec, exec, s[76:77]
.LBB6_7600:                             ;   in Loop: Header=BB6_6244 Depth=2
	s_or_b64 exec, exec, s[18:19]
	v_mul_f32_e32 v10, v17, v2
	v_and_b32_e32 v50, 0x7f800000, v10
	v_cmp_ne_u64_e32 vcc, s[46:47], v[50:51]
                                        ; implicit-def: $vgpr2
                                        ; kill: killed $vgpr2
	s_and_saveexec_b64 s[18:19], vcc
	s_xor_b64 s[76:77], exec, s[18:19]
	s_cbranch_execz .LBB6_7614
; %bb.7601:                             ;   in Loop: Header=BB6_6244 Depth=2
	v_and_b32_e32 v50, 0x7fffffff, v10
	v_cmp_gt_u64_e32 vcc, s[56:57], v[50:51]
	v_and_b32_sdwa v2, v10, s50 dst_sel:DWORD dst_unused:UNUSED_PAD src0_sel:BYTE_3 src1_sel:DWORD
                                        ; implicit-def: $vgpr11
                                        ; kill: killed $vgpr11
	s_and_saveexec_b64 s[18:19], vcc
	s_xor_b64 s[78:79], exec, s[18:19]
	s_cbranch_execz .LBB6_7611
; %bb.7602:                             ;   in Loop: Header=BB6_6244 Depth=2
	v_mov_b32_e32 v11, 0
	v_cmp_ne_u32_e32 vcc, 0, v10
	buffer_store_dword v11, off, s[0:3], s33 offset:112 ; 4-byte Folded Spill
	s_and_saveexec_b64 s[88:89], vcc
	s_cbranch_execz .LBB6_7610
; %bb.7603:                             ;   in Loop: Header=BB6_6244 Depth=2
	v_bfe_u32 v16, v10, 23, 8
	v_and_b32_e32 v11, 0x7fffff, v10
	v_cmp_gt_u32_e64 s[18:19], s51, v16
	v_sub_u32_e32 v10, 0x79, v16
	v_cmp_eq_u32_e32 vcc, 0, v16
	v_cndmask_b32_e64 v10, 0, v10, s[18:19]
	v_mov_b32_e32 v15, 0x78
	v_cndmask_b32_e32 v18, v10, v15, vcc
	v_or_b32_e32 v14, 0x800000, v11
	v_add_u32_e32 v10, 20, v18
	v_cndmask_b32_e32 v50, v14, v11, vcc
	v_lshlrev_b64 v[10:11], v10, -1
	v_add_u32_e32 v14, 19, v18
	v_lshlrev_b64 v[14:15], v14, 1
	v_bfi_b32 v11, v11, 0, 0
	v_bfi_b32 v10, v10, 0, v50
	v_cmp_eq_u64_e64 s[18:19], v[10:11], v[14:15]
	v_lshrrev_b64 v[10:11], v18, v[50:51]
	v_mov_b32_e32 v15, v11
	v_mov_b32_e32 v14, v10
	s_and_saveexec_b64 s[90:91], s[18:19]
; %bb.7604:                             ;   in Loop: Header=BB6_6244 Depth=2
	v_bfe_u32 v11, v10, 20, 1
	v_add_co_u32_e64 v11, s[18:19], v10, v11
	v_add_co_u32_e64 v14, s[18:19], -1, v11
; %bb.7605:                             ;   in Loop: Header=BB6_6244 Depth=2
	s_or_b64 exec, exec, s[90:91]
	v_add_u32_e32 v11, 0xffffff81, v16
	v_mov_b32_e32 v15, 0xffffff82
	v_cndmask_b32_e32 v11, v11, v15, vcc
	v_lshrrev_b32_e32 v15, 23, v10
	v_add3_u32 v16, v18, v11, v15
	v_add_u32_e32 v15, 6, v16
	v_and_b32_e32 v11, 0xfffff, v14
	v_add_u32_e32 v50, v11, v10
	v_cmp_ne_u32_e32 vcc, 0, v15
                                        ; implicit-def: $vgpr10_vgpr11
                                        ; implicit-def: $vgpr14
	s_and_saveexec_b64 s[18:19], vcc
	s_xor_b64 s[18:19], exec, s[18:19]
; %bb.7606:                             ;   in Loop: Header=BB6_6244 Depth=2
	v_cmp_lt_u64_e32 vcc, s[58:59], v[50:51]
	v_add_u32_e32 v10, 7, v16
	v_cndmask_b32_e32 v14, v15, v10, vcc
	v_cndmask_b32_e64 v10, 0, 1, vcc
	v_lshrrev_b64 v[10:11], v10, v[50:51]
; %bb.7607:                             ;   in Loop: Header=BB6_6244 Depth=2
	s_andn2_saveexec_b64 s[18:19], s[18:19]
; %bb.7608:                             ;   in Loop: Header=BB6_6244 Depth=2
	v_mov_b32_e32 v10, v50
	v_bfe_u32 v14, v50, 23, 1
	v_mov_b32_e32 v11, v51
; %bb.7609:                             ;   in Loop: Header=BB6_6244 Depth=2
	s_or_b64 exec, exec, s[18:19]
	v_lshrrev_b64 v[10:11], 20, v[10:11]
	v_cmp_gt_i32_e32 vcc, 16, v14
	v_cndmask_b32_e32 v11, 0, v11, vcc
	v_cndmask_b32_e32 v10, 7, v10, vcc
	v_cmp_eq_u64_e64 s[18:19], 0, v[10:11]
	v_min_i32_e32 v11, 15, v14
	v_lshlrev_b32_e32 v11, 3, v11
	v_cmp_eq_u32_e32 vcc, 0, v14
	v_and_b32_e32 v11, 0xf8, v11
	v_and_or_b32 v10, v10, 7, v11
	s_and_b64 s[18:19], vcc, s[18:19]
	v_cndmask_b32_e64 v10, v10, 0, s[18:19]
	v_or_b32_e32 v2, v10, v2
	buffer_store_dword v2, off, s[0:3], s33 offset:112 ; 4-byte Folded Spill
.LBB6_7610:                             ;   in Loop: Header=BB6_6244 Depth=2
	s_or_b64 exec, exec, s[88:89]
                                        ; implicit-def: $vgpr2
.LBB6_7611:                             ;   in Loop: Header=BB6_6244 Depth=2
	s_andn2_saveexec_b64 s[18:19], s[78:79]
	s_cbranch_execz .LBB6_7613
; %bb.7612:                             ;   in Loop: Header=BB6_6244 Depth=2
	v_or_b32_e32 v2, 0x7e, v2
	buffer_store_dword v2, off, s[0:3], s33 offset:112 ; 4-byte Folded Spill
.LBB6_7613:                             ;   in Loop: Header=BB6_6244 Depth=2
	s_or_b64 exec, exec, s[18:19]
                                        ; implicit-def: $vgpr10
.LBB6_7614:                             ;   in Loop: Header=BB6_6244 Depth=2
	s_andn2_saveexec_b64 s[18:19], s[76:77]
	s_cbranch_execz .LBB6_7616
; %bb.7615:                             ;   in Loop: Header=BB6_6244 Depth=2
	v_or_b32_sdwa v2, v10, s39 dst_sel:DWORD dst_unused:UNUSED_PAD src0_sel:BYTE_3 src1_sel:DWORD
	buffer_store_dword v2, off, s[0:3], s33 offset:112 ; 4-byte Folded Spill
.LBB6_7616:                             ;   in Loop: Header=BB6_6244 Depth=2
	s_or_b64 exec, exec, s[18:19]
	v_lshrrev_b32_e32 v10, 16, v13
	v_cmp_ne_u16_sdwa s[76:77], v10, v51 src0_sel:BYTE_0 src1_sel:DWORD
	v_mov_b32_e32 v2, 0
	s_and_saveexec_b64 s[18:19], s[76:77]
	s_cbranch_execz .LBB6_7622
; %bb.7617:                             ;   in Loop: Header=BB6_6244 Depth=2
	v_cmp_ne_u16_sdwa s[78:79], v10, s50 src0_sel:BYTE_0 src1_sel:DWORD
	v_bfrev_b32_e32 v2, 1
	s_and_saveexec_b64 s[76:77], s[78:79]
	s_cbranch_execz .LBB6_7621
; %bb.7618:                             ;   in Loop: Header=BB6_6244 Depth=2
	v_bfe_u32 v11, v13, 16, 7
	v_cmp_ne_u32_e32 vcc, s39, v11
	v_mov_b32_e32 v2, 0x7f800001
	s_and_saveexec_b64 s[78:79], vcc
	s_cbranch_execz .LBB6_7620
; %bb.7619:                             ;   in Loop: Header=BB6_6244 Depth=2
	v_and_b32_e32 v2, 7, v10
	v_lshrrev_b32_e32 v16, 3, v11
	v_cmp_gt_u32_e32 vcc, 8, v11
	v_ffbh_u32_e32 v11, v2
	v_min_u32_e32 v11, 32, v11
	v_subrev_u32_e32 v14, 28, v11
	v_lshlrev_b64 v[14:15], v14, v[10:11]
	v_sub_u32_e32 v11, 29, v11
	v_and_b32_e32 v14, 7, v14
	v_cndmask_b32_e32 v11, v16, v11, vcc
	v_cndmask_b32_e32 v2, v2, v14, vcc
	v_lshlrev_b32_e32 v10, 24, v10
	v_lshlrev_b32_e32 v2, 20, v2
	v_and_b32_e32 v10, 0x80000000, v10
	v_lshl_add_u32 v11, v11, 23, v62
	v_or3_b32 v2, v10, v11, v2
.LBB6_7620:                             ;   in Loop: Header=BB6_6244 Depth=2
	s_or_b64 exec, exec, s[78:79]
.LBB6_7621:                             ;   in Loop: Header=BB6_6244 Depth=2
	s_or_b64 exec, exec, s[76:77]
.LBB6_7622:                             ;   in Loop: Header=BB6_6244 Depth=2
	s_or_b64 exec, exec, s[18:19]
	v_mul_f32_e32 v10, v17, v2
	v_and_b32_e32 v50, 0x7f800000, v10
	v_cmp_ne_u64_e32 vcc, s[46:47], v[50:51]
                                        ; implicit-def: $vgpr2
                                        ; kill: killed $vgpr2
	s_and_saveexec_b64 s[18:19], vcc
	s_xor_b64 s[76:77], exec, s[18:19]
	s_cbranch_execz .LBB6_7636
; %bb.7623:                             ;   in Loop: Header=BB6_6244 Depth=2
	v_and_b32_e32 v50, 0x7fffffff, v10
	v_cmp_gt_u64_e32 vcc, s[56:57], v[50:51]
	v_and_b32_sdwa v2, v10, s50 dst_sel:DWORD dst_unused:UNUSED_PAD src0_sel:BYTE_3 src1_sel:DWORD
                                        ; implicit-def: $vgpr11
                                        ; kill: killed $vgpr11
	s_and_saveexec_b64 s[18:19], vcc
	s_xor_b64 s[78:79], exec, s[18:19]
	s_cbranch_execz .LBB6_7633
; %bb.7624:                             ;   in Loop: Header=BB6_6244 Depth=2
	v_mov_b32_e32 v11, 0
	v_cmp_ne_u32_e32 vcc, 0, v10
	buffer_store_dword v11, off, s[0:3], s33 offset:124 ; 4-byte Folded Spill
	s_and_saveexec_b64 s[88:89], vcc
	s_cbranch_execz .LBB6_7632
; %bb.7625:                             ;   in Loop: Header=BB6_6244 Depth=2
	v_bfe_u32 v16, v10, 23, 8
	v_and_b32_e32 v11, 0x7fffff, v10
	v_cmp_gt_u32_e64 s[18:19], s51, v16
	v_sub_u32_e32 v10, 0x79, v16
	v_cmp_eq_u32_e32 vcc, 0, v16
	v_cndmask_b32_e64 v10, 0, v10, s[18:19]
	v_mov_b32_e32 v15, 0x78
	v_cndmask_b32_e32 v18, v10, v15, vcc
	v_or_b32_e32 v14, 0x800000, v11
	v_add_u32_e32 v10, 20, v18
	v_cndmask_b32_e32 v50, v14, v11, vcc
	v_lshlrev_b64 v[10:11], v10, -1
	v_add_u32_e32 v14, 19, v18
	v_lshlrev_b64 v[14:15], v14, 1
	v_bfi_b32 v11, v11, 0, 0
	v_bfi_b32 v10, v10, 0, v50
	v_cmp_eq_u64_e64 s[18:19], v[10:11], v[14:15]
	v_lshrrev_b64 v[10:11], v18, v[50:51]
	v_mov_b32_e32 v15, v11
	v_mov_b32_e32 v14, v10
	s_and_saveexec_b64 s[90:91], s[18:19]
; %bb.7626:                             ;   in Loop: Header=BB6_6244 Depth=2
	v_bfe_u32 v11, v10, 20, 1
	v_add_co_u32_e64 v11, s[18:19], v10, v11
	v_add_co_u32_e64 v14, s[18:19], -1, v11
; %bb.7627:                             ;   in Loop: Header=BB6_6244 Depth=2
	s_or_b64 exec, exec, s[90:91]
	v_add_u32_e32 v11, 0xffffff81, v16
	v_mov_b32_e32 v15, 0xffffff82
	v_cndmask_b32_e32 v11, v11, v15, vcc
	v_lshrrev_b32_e32 v15, 23, v10
	v_add3_u32 v16, v18, v11, v15
	v_add_u32_e32 v15, 6, v16
	v_and_b32_e32 v11, 0xfffff, v14
	v_add_u32_e32 v50, v11, v10
	v_cmp_ne_u32_e32 vcc, 0, v15
                                        ; implicit-def: $vgpr10_vgpr11
                                        ; implicit-def: $vgpr14
	s_and_saveexec_b64 s[18:19], vcc
	s_xor_b64 s[18:19], exec, s[18:19]
; %bb.7628:                             ;   in Loop: Header=BB6_6244 Depth=2
	v_cmp_lt_u64_e32 vcc, s[58:59], v[50:51]
	v_add_u32_e32 v10, 7, v16
	v_cndmask_b32_e32 v14, v15, v10, vcc
	v_cndmask_b32_e64 v10, 0, 1, vcc
	v_lshrrev_b64 v[10:11], v10, v[50:51]
; %bb.7629:                             ;   in Loop: Header=BB6_6244 Depth=2
	s_andn2_saveexec_b64 s[18:19], s[18:19]
; %bb.7630:                             ;   in Loop: Header=BB6_6244 Depth=2
	v_mov_b32_e32 v10, v50
	v_bfe_u32 v14, v50, 23, 1
	v_mov_b32_e32 v11, v51
; %bb.7631:                             ;   in Loop: Header=BB6_6244 Depth=2
	s_or_b64 exec, exec, s[18:19]
	v_lshrrev_b64 v[10:11], 20, v[10:11]
	v_cmp_gt_i32_e32 vcc, 16, v14
	v_cndmask_b32_e32 v11, 0, v11, vcc
	v_cndmask_b32_e32 v10, 7, v10, vcc
	v_cmp_eq_u64_e64 s[18:19], 0, v[10:11]
	v_min_i32_e32 v11, 15, v14
	v_lshlrev_b32_e32 v11, 3, v11
	v_cmp_eq_u32_e32 vcc, 0, v14
	v_and_b32_e32 v11, 0xf8, v11
	v_and_or_b32 v10, v10, 7, v11
	s_and_b64 s[18:19], vcc, s[18:19]
	v_cndmask_b32_e64 v10, v10, 0, s[18:19]
	v_or_b32_e32 v2, v10, v2
	buffer_store_dword v2, off, s[0:3], s33 offset:124 ; 4-byte Folded Spill
.LBB6_7632:                             ;   in Loop: Header=BB6_6244 Depth=2
	s_or_b64 exec, exec, s[88:89]
                                        ; implicit-def: $vgpr2
.LBB6_7633:                             ;   in Loop: Header=BB6_6244 Depth=2
	s_andn2_saveexec_b64 s[18:19], s[78:79]
	s_cbranch_execz .LBB6_7635
; %bb.7634:                             ;   in Loop: Header=BB6_6244 Depth=2
	v_or_b32_e32 v2, 0x7e, v2
	buffer_store_dword v2, off, s[0:3], s33 offset:124 ; 4-byte Folded Spill
.LBB6_7635:                             ;   in Loop: Header=BB6_6244 Depth=2
	s_or_b64 exec, exec, s[18:19]
                                        ; implicit-def: $vgpr10
.LBB6_7636:                             ;   in Loop: Header=BB6_6244 Depth=2
	s_andn2_saveexec_b64 s[18:19], s[76:77]
	s_cbranch_execz .LBB6_7638
; %bb.7637:                             ;   in Loop: Header=BB6_6244 Depth=2
	v_or_b32_sdwa v2, v10, s39 dst_sel:DWORD dst_unused:UNUSED_PAD src0_sel:BYTE_3 src1_sel:DWORD
	buffer_store_dword v2, off, s[0:3], s33 offset:124 ; 4-byte Folded Spill
.LBB6_7638:                             ;   in Loop: Header=BB6_6244 Depth=2
	s_or_b64 exec, exec, s[18:19]
	v_cmp_lt_u64_e32 vcc, s[60:61], v[12:13]
	v_mov_b32_e32 v2, 0
	s_and_saveexec_b64 s[18:19], vcc
	s_cbranch_execz .LBB6_7644
; %bb.7639:                             ;   in Loop: Header=BB6_6244 Depth=2
	v_lshrrev_b32_e32 v10, 24, v13
	v_cmp_ne_u32_e32 vcc, s50, v10
	v_bfrev_b32_e32 v2, 1
	s_and_saveexec_b64 s[76:77], vcc
	s_cbranch_execz .LBB6_7643
; %bb.7640:                             ;   in Loop: Header=BB6_6244 Depth=2
	v_bfe_u32 v11, v13, 24, 7
	v_cmp_ne_u32_e32 vcc, s39, v11
	v_mov_b32_e32 v2, 0x7f800001
	s_and_saveexec_b64 s[78:79], vcc
	s_cbranch_execz .LBB6_7642
; %bb.7641:                             ;   in Loop: Header=BB6_6244 Depth=2
	v_and_b32_e32 v2, 7, v10
	v_lshrrev_b32_e32 v13, 3, v11
	v_cmp_gt_u32_e32 vcc, 8, v11
	v_ffbh_u32_e32 v11, v2
	v_min_u32_e32 v14, 32, v11
	v_subrev_u32_e32 v11, 28, v14
	v_lshlrev_b64 v[11:12], v11, v[10:11]
	v_sub_u32_e32 v12, 29, v14
	v_and_b32_e32 v11, 7, v11
	v_cndmask_b32_e32 v12, v13, v12, vcc
	v_cndmask_b32_e32 v2, v2, v11, vcc
	v_lshlrev_b32_e32 v10, 24, v10
	v_lshlrev_b32_e32 v2, 20, v2
	v_and_b32_e32 v10, 0x80000000, v10
	v_lshl_add_u32 v11, v12, 23, v62
	v_or3_b32 v2, v10, v11, v2
.LBB6_7642:                             ;   in Loop: Header=BB6_6244 Depth=2
	s_or_b64 exec, exec, s[78:79]
.LBB6_7643:                             ;   in Loop: Header=BB6_6244 Depth=2
	s_or_b64 exec, exec, s[76:77]
.LBB6_7644:                             ;   in Loop: Header=BB6_6244 Depth=2
	s_or_b64 exec, exec, s[18:19]
	v_mul_f32_e32 v10, v17, v2
	v_and_b32_e32 v50, 0x7f800000, v10
	v_cmp_ne_u64_e32 vcc, s[46:47], v[50:51]
                                        ; implicit-def: $vgpr2
                                        ; kill: killed $vgpr2
	s_and_saveexec_b64 s[18:19], vcc
	s_xor_b64 s[76:77], exec, s[18:19]
	s_cbranch_execz .LBB6_7658
; %bb.7645:                             ;   in Loop: Header=BB6_6244 Depth=2
	v_and_b32_e32 v50, 0x7fffffff, v10
	v_cmp_gt_u64_e32 vcc, s[56:57], v[50:51]
	v_and_b32_sdwa v2, v10, s50 dst_sel:DWORD dst_unused:UNUSED_PAD src0_sel:BYTE_3 src1_sel:DWORD
                                        ; implicit-def: $vgpr11
                                        ; kill: killed $vgpr11
	s_and_saveexec_b64 s[18:19], vcc
	s_xor_b64 s[78:79], exec, s[18:19]
	s_cbranch_execz .LBB6_7655
; %bb.7646:                             ;   in Loop: Header=BB6_6244 Depth=2
	v_mov_b32_e32 v11, 0
	v_cmp_ne_u32_e32 vcc, 0, v10
	buffer_store_dword v11, off, s[0:3], s33 offset:132 ; 4-byte Folded Spill
	s_and_saveexec_b64 s[88:89], vcc
	s_cbranch_execz .LBB6_7654
; %bb.7647:                             ;   in Loop: Header=BB6_6244 Depth=2
	v_bfe_u32 v13, v10, 23, 8
	v_and_b32_e32 v11, 0x7fffff, v10
	v_cmp_gt_u32_e64 s[18:19], s51, v13
	v_sub_u32_e32 v10, 0x79, v13
	v_cmp_eq_u32_e32 vcc, 0, v13
	v_cndmask_b32_e64 v10, 0, v10, s[18:19]
	v_mov_b32_e32 v14, 0x78
	v_cndmask_b32_e32 v14, v10, v14, vcc
	v_or_b32_e32 v12, 0x800000, v11
	v_add_u32_e32 v10, 20, v14
	v_cndmask_b32_e32 v50, v12, v11, vcc
	v_lshlrev_b64 v[10:11], v10, -1
	v_add_u32_e32 v12, 19, v14
	v_lshlrev_b64 v[15:16], v12, 1
	v_bfi_b32 v11, v11, 0, 0
	v_bfi_b32 v10, v10, 0, v50
	v_cmp_eq_u64_e64 s[18:19], v[10:11], v[15:16]
	v_lshrrev_b64 v[10:11], v14, v[50:51]
	v_mov_b32_e32 v12, v11
	v_mov_b32_e32 v11, v10
	s_and_saveexec_b64 s[90:91], s[18:19]
; %bb.7648:                             ;   in Loop: Header=BB6_6244 Depth=2
	v_bfe_u32 v11, v10, 20, 1
	v_add_co_u32_e64 v11, s[18:19], v10, v11
	v_add_co_u32_e64 v11, s[18:19], -1, v11
; %bb.7649:                             ;   in Loop: Header=BB6_6244 Depth=2
	s_or_b64 exec, exec, s[90:91]
	v_add_u32_e32 v12, 0xffffff81, v13
	v_mov_b32_e32 v13, 0xffffff82
	v_cndmask_b32_e32 v12, v12, v13, vcc
	v_lshrrev_b32_e32 v13, 23, v10
	v_add3_u32 v14, v14, v12, v13
	v_add_u32_e32 v13, 6, v14
	v_and_b32_e32 v11, 0xfffff, v11
	v_add_u32_e32 v50, v11, v10
	v_cmp_ne_u32_e32 vcc, 0, v13
                                        ; implicit-def: $vgpr10_vgpr11
                                        ; implicit-def: $vgpr12
	s_and_saveexec_b64 s[18:19], vcc
	s_xor_b64 s[18:19], exec, s[18:19]
; %bb.7650:                             ;   in Loop: Header=BB6_6244 Depth=2
	v_cmp_lt_u64_e32 vcc, s[58:59], v[50:51]
	v_add_u32_e32 v10, 7, v14
	v_cndmask_b32_e32 v12, v13, v10, vcc
	v_cndmask_b32_e64 v10, 0, 1, vcc
	v_lshrrev_b64 v[10:11], v10, v[50:51]
; %bb.7651:                             ;   in Loop: Header=BB6_6244 Depth=2
	s_andn2_saveexec_b64 s[18:19], s[18:19]
; %bb.7652:                             ;   in Loop: Header=BB6_6244 Depth=2
	v_mov_b32_e32 v10, v50
	v_bfe_u32 v12, v50, 23, 1
	v_mov_b32_e32 v11, v51
; %bb.7653:                             ;   in Loop: Header=BB6_6244 Depth=2
	s_or_b64 exec, exec, s[18:19]
	v_lshrrev_b64 v[10:11], 20, v[10:11]
	v_cmp_gt_i32_e32 vcc, 16, v12
	v_cndmask_b32_e32 v11, 0, v11, vcc
	v_cndmask_b32_e32 v10, 7, v10, vcc
	v_cmp_eq_u64_e64 s[18:19], 0, v[10:11]
	v_min_i32_e32 v11, 15, v12
	v_lshlrev_b32_e32 v11, 3, v11
	v_cmp_eq_u32_e32 vcc, 0, v12
	v_and_b32_e32 v11, 0xf8, v11
	v_and_or_b32 v10, v10, 7, v11
	s_and_b64 s[18:19], vcc, s[18:19]
	v_cndmask_b32_e64 v10, v10, 0, s[18:19]
	v_or_b32_e32 v2, v10, v2
	buffer_store_dword v2, off, s[0:3], s33 offset:132 ; 4-byte Folded Spill
.LBB6_7654:                             ;   in Loop: Header=BB6_6244 Depth=2
	s_or_b64 exec, exec, s[88:89]
                                        ; implicit-def: $vgpr2
.LBB6_7655:                             ;   in Loop: Header=BB6_6244 Depth=2
	s_andn2_saveexec_b64 s[18:19], s[78:79]
	s_cbranch_execz .LBB6_7657
; %bb.7656:                             ;   in Loop: Header=BB6_6244 Depth=2
	v_or_b32_e32 v2, 0x7e, v2
	buffer_store_dword v2, off, s[0:3], s33 offset:132 ; 4-byte Folded Spill
.LBB6_7657:                             ;   in Loop: Header=BB6_6244 Depth=2
	s_or_b64 exec, exec, s[18:19]
                                        ; implicit-def: $vgpr10
.LBB6_7658:                             ;   in Loop: Header=BB6_6244 Depth=2
	s_andn2_saveexec_b64 s[18:19], s[76:77]
	s_cbranch_execz .LBB6_7660
; %bb.7659:                             ;   in Loop: Header=BB6_6244 Depth=2
	v_or_b32_sdwa v2, v10, s39 dst_sel:DWORD dst_unused:UNUSED_PAD src0_sel:BYTE_3 src1_sel:DWORD
	buffer_store_dword v2, off, s[0:3], s33 offset:132 ; 4-byte Folded Spill
.LBB6_7660:                             ;   in Loop: Header=BB6_6244 Depth=2
	s_or_b64 exec, exec, s[18:19]
	global_load_dwordx4 v[22:25], v[46:47], off glc slc
	global_load_dwordx4 v[18:21], v[46:47], off offset:1024 glc slc
	global_load_dwordx4 v[14:17], v[46:47], off offset:2048 glc slc
	;; [unrolled: 1-line block ×3, first 2 shown]
	v_lshl_or_b32 v2, v57, 8, v30
	v_lshlrev_b32_e32 v38, 16, v58
	v_lshlrev_b32_e32 v39, 24, v59
	v_or3_b32 v50, v38, v39, v2
	v_cmp_ne_u32_e32 vcc, 0, v30
	v_mov_b32_e32 v38, 0
	v_mov_b32_e32 v39, 0
	s_and_saveexec_b64 s[18:19], vcc
	s_cbranch_execz .LBB6_7666
; %bb.7661:                             ;   in Loop: Header=BB6_6244 Depth=2
	v_cmp_ne_u32_e32 vcc, s50, v30
	v_bfrev_b32_e32 v39, 1
	s_and_saveexec_b64 s[76:77], vcc
	s_cbranch_execz .LBB6_7665
; %bb.7662:                             ;   in Loop: Header=BB6_6244 Depth=2
	v_and_b32_e32 v52, 0x7f, v30
	v_cmp_ne_u32_e32 vcc, s39, v52
	v_mov_b32_e32 v39, 0x7f800001
	s_and_saveexec_b64 s[78:79], vcc
	s_cbranch_execz .LBB6_7664
; %bb.7663:                             ;   in Loop: Header=BB6_6244 Depth=2
	v_and_b32_e32 v30, 7, v30
	v_ffbh_u32_e32 v30, v30
	v_min_u32_e32 v30, 32, v30
	v_lshrrev_b32_e32 v39, 3, v52
	v_cmp_gt_u32_e32 vcc, 8, v52
	v_subrev_u32_e32 v52, 28, v30
	v_sub_u32_e32 v30, 29, v30
	v_cndmask_b32_e32 v30, v39, v30, vcc
	v_cndmask_b32_e32 v39, 0, v52, vcc
	v_lshlrev_b64 v[52:53], v39, v[50:51]
	v_lshl_add_u32 v30, v30, 23, v62
	v_lshlrev_b32_e32 v39, 20, v52
	v_lshlrev_b32_e32 v52, 24, v50
	v_and_b32_e32 v39, 0x700000, v39
	v_and_b32_e32 v52, 0x80000000, v52
	v_or3_b32 v39, v52, v30, v39
.LBB6_7664:                             ;   in Loop: Header=BB6_6244 Depth=2
	s_or_b64 exec, exec, s[78:79]
.LBB6_7665:                             ;   in Loop: Header=BB6_6244 Depth=2
	s_or_b64 exec, exec, s[76:77]
.LBB6_7666:                             ;   in Loop: Header=BB6_6244 Depth=2
	s_or_b64 exec, exec, s[18:19]
	s_waitcnt vmcnt(3)
	v_cmp_ne_u16_sdwa s[76:77], v22, v51 src0_sel:BYTE_0 src1_sel:DWORD
	s_and_saveexec_b64 s[18:19], s[76:77]
	s_cbranch_execz .LBB6_7672
; %bb.7667:                             ;   in Loop: Header=BB6_6244 Depth=2
	v_cmp_ne_u16_sdwa s[78:79], v22, s50 src0_sel:BYTE_0 src1_sel:DWORD
	v_bfrev_b32_e32 v38, 1
	s_and_saveexec_b64 s[76:77], s[78:79]
	s_cbranch_execz .LBB6_7671
; %bb.7668:                             ;   in Loop: Header=BB6_6244 Depth=2
	v_and_b32_e32 v30, 0x7f, v22
	v_cmp_ne_u32_e32 vcc, s39, v30
	v_mov_b32_e32 v38, 0x7f800001
	s_and_saveexec_b64 s[78:79], vcc
	s_cbranch_execz .LBB6_7670
; %bb.7669:                             ;   in Loop: Header=BB6_6244 Depth=2
	v_and_b32_e32 v38, 7, v22
	v_lshrrev_b32_e32 v52, 3, v30
	v_cmp_gt_u32_e32 vcc, 8, v30
	v_ffbh_u32_e32 v30, v38
	v_min_u32_e32 v30, 32, v30
	v_subrev_u32_e32 v38, 28, v30
	v_sub_u32_e32 v30, 29, v30
	v_cndmask_b32_e32 v38, 0, v38, vcc
	v_cndmask_b32_e32 v30, v52, v30, vcc
	v_lshlrev_b64 v[52:53], v38, v[22:23]
	v_lshl_add_u32 v30, v30, 23, v62
	v_lshlrev_b32_e32 v38, 20, v52
	v_lshlrev_b32_e32 v52, 24, v22
	v_and_b32_e32 v38, 0x700000, v38
	v_and_b32_e32 v52, 0x80000000, v52
	v_or3_b32 v38, v52, v30, v38
.LBB6_7670:                             ;   in Loop: Header=BB6_6244 Depth=2
	s_or_b64 exec, exec, s[78:79]
.LBB6_7671:                             ;   in Loop: Header=BB6_6244 Depth=2
	s_or_b64 exec, exec, s[76:77]
.LBB6_7672:                             ;   in Loop: Header=BB6_6244 Depth=2
	s_or_b64 exec, exec, s[18:19]
	v_add_f32_e32 v38, v39, v38
	v_and_b32_e32 v52, 0x7f800000, v38
	v_mov_b32_e32 v53, v51
	v_cmp_ne_u64_e32 vcc, s[46:47], v[52:53]
                                        ; implicit-def: $vgpr30
                                        ; kill: killed $vgpr30
	s_and_saveexec_b64 s[18:19], vcc
	s_xor_b64 s[76:77], exec, s[18:19]
	s_cbranch_execz .LBB6_7686
; %bb.7673:                             ;   in Loop: Header=BB6_6244 Depth=2
	v_and_b32_e32 v52, 0x7fffffff, v38
	v_mov_b32_e32 v53, v51
	v_cmp_gt_u64_e32 vcc, s[56:57], v[52:53]
	v_and_b32_sdwa v30, v38, s50 dst_sel:DWORD dst_unused:UNUSED_PAD src0_sel:BYTE_3 src1_sel:DWORD
                                        ; implicit-def: $vgpr39
                                        ; kill: killed $vgpr39
	s_and_saveexec_b64 s[18:19], vcc
	s_xor_b64 s[78:79], exec, s[18:19]
	s_cbranch_execz .LBB6_7683
; %bb.7674:                             ;   in Loop: Header=BB6_6244 Depth=2
	v_mov_b32_e32 v39, 0
	v_cmp_ne_u32_e32 vcc, 0, v38
	buffer_store_dword v39, off, s[0:3], s33 offset:104 ; 4-byte Folded Spill
	s_and_saveexec_b64 s[88:89], vcc
	s_cbranch_execz .LBB6_7682
; %bb.7675:                             ;   in Loop: Header=BB6_6244 Depth=2
	v_and_b32_e32 v52, 0x7fffff, v38
	v_bfe_u32 v38, v38, 23, 8
	v_cmp_gt_u32_e64 s[18:19], s51, v38
	v_sub_u32_e32 v39, 0x79, v38
	v_cmp_eq_u32_e32 vcc, 0, v38
	v_cndmask_b32_e64 v39, 0, v39, s[18:19]
	v_mov_b32_e32 v57, 0x78
	v_cndmask_b32_e32 v39, v39, v57, vcc
	v_add_u32_e32 v57, 20, v39
	v_or_b32_e32 v53, 0x800000, v52
	v_lshlrev_b64 v[57:58], v57, -1
	v_add_u32_e32 v59, 19, v39
	v_cndmask_b32_e32 v52, v53, v52, vcc
	v_lshlrev_b64 v[59:60], v59, 1
	v_mov_b32_e32 v53, v51
	v_bfi_b32 v58, v58, 0, 0
	v_bfi_b32 v57, v57, 0, v52
	v_cmp_eq_u64_e64 s[18:19], v[57:58], v[59:60]
	v_lshrrev_b64 v[57:58], v39, v[52:53]
	v_mov_b32_e32 v59, v58
	v_mov_b32_e32 v58, v57
	s_and_saveexec_b64 s[90:91], s[18:19]
; %bb.7676:                             ;   in Loop: Header=BB6_6244 Depth=2
	v_bfe_u32 v52, v57, 20, 1
	v_add_co_u32_e64 v52, s[18:19], v57, v52
	v_add_co_u32_e64 v58, s[18:19], -1, v52
; %bb.7677:                             ;   in Loop: Header=BB6_6244 Depth=2
	s_or_b64 exec, exec, s[90:91]
	v_add_u32_e32 v38, 0xffffff81, v38
	v_mov_b32_e32 v52, 0xffffff82
	v_cndmask_b32_e32 v38, v38, v52, vcc
	v_lshrrev_b32_e32 v52, 23, v57
	v_add3_u32 v52, v39, v38, v52
	v_add_u32_e32 v39, 6, v52
	v_and_b32_e32 v38, 0xfffff, v58
	v_add_u32_e32 v57, v38, v57
	v_mov_b32_e32 v58, v51
	v_cmp_ne_u32_e32 vcc, 0, v39
                                        ; implicit-def: $vgpr38
	s_and_saveexec_b64 s[18:19], vcc
	s_xor_b64 s[18:19], exec, s[18:19]
; %bb.7678:                             ;   in Loop: Header=BB6_6244 Depth=2
	v_cmp_lt_u64_e32 vcc, s[58:59], v[57:58]
	v_add_u32_e32 v38, 7, v52
	v_cndmask_b32_e32 v38, v39, v38, vcc
	v_cndmask_b32_e64 v39, 0, 1, vcc
	v_lshrrev_b64 v[57:58], v39, v[57:58]
; %bb.7679:                             ;   in Loop: Header=BB6_6244 Depth=2
	s_andn2_saveexec_b64 s[18:19], s[18:19]
; %bb.7680:                             ;   in Loop: Header=BB6_6244 Depth=2
	v_bfe_u32 v38, v57, 23, 1
; %bb.7681:                             ;   in Loop: Header=BB6_6244 Depth=2
	s_or_b64 exec, exec, s[18:19]
	v_lshrrev_b64 v[52:53], 20, v[57:58]
	v_cmp_gt_i32_e32 vcc, 16, v38
	v_cndmask_b32_e32 v53, 0, v53, vcc
	v_cndmask_b32_e32 v52, 7, v52, vcc
	v_cmp_eq_u32_e32 vcc, 0, v38
	v_min_i32_e32 v38, 15, v38
	v_cmp_eq_u64_e64 s[18:19], 0, v[52:53]
	v_lshlrev_b32_e32 v38, 3, v38
	v_and_b32_e32 v38, 0xf8, v38
	v_and_or_b32 v38, v52, 7, v38
	s_and_b64 s[18:19], vcc, s[18:19]
	v_cndmask_b32_e64 v38, v38, 0, s[18:19]
	v_or_b32_e32 v30, v38, v30
	buffer_store_dword v30, off, s[0:3], s33 offset:104 ; 4-byte Folded Spill
.LBB6_7682:                             ;   in Loop: Header=BB6_6244 Depth=2
	s_or_b64 exec, exec, s[88:89]
                                        ; implicit-def: $vgpr30
.LBB6_7683:                             ;   in Loop: Header=BB6_6244 Depth=2
	s_andn2_saveexec_b64 s[18:19], s[78:79]
	s_cbranch_execz .LBB6_7685
; %bb.7684:                             ;   in Loop: Header=BB6_6244 Depth=2
	v_or_b32_e32 v30, 0x7e, v30
	buffer_store_dword v30, off, s[0:3], s33 offset:104 ; 4-byte Folded Spill
.LBB6_7685:                             ;   in Loop: Header=BB6_6244 Depth=2
	s_or_b64 exec, exec, s[18:19]
                                        ; implicit-def: $vgpr38
.LBB6_7686:                             ;   in Loop: Header=BB6_6244 Depth=2
	s_andn2_saveexec_b64 s[18:19], s[76:77]
	s_cbranch_execz .LBB6_7688
; %bb.7687:                             ;   in Loop: Header=BB6_6244 Depth=2
	v_or_b32_sdwa v30, v38, s39 dst_sel:DWORD dst_unused:UNUSED_PAD src0_sel:BYTE_3 src1_sel:DWORD
	buffer_store_dword v30, off, s[0:3], s33 offset:104 ; 4-byte Folded Spill
.LBB6_7688:                             ;   in Loop: Header=BB6_6244 Depth=2
	s_or_b64 exec, exec, s[18:19]
	v_lshrrev_b16_e32 v30, 8, v2
	v_cmp_ne_u16_e32 vcc, 0, v30
	v_mov_b32_e32 v38, 0
	v_mov_b32_e32 v39, 0
	s_and_saveexec_b64 s[18:19], vcc
	s_cbranch_execz .LBB6_7694
; %bb.7689:                             ;   in Loop: Header=BB6_6244 Depth=2
	v_cmp_ne_u16_e32 vcc, s50, v30
	v_bfrev_b32_e32 v39, 1
	s_and_saveexec_b64 s[76:77], vcc
	s_cbranch_execz .LBB6_7693
; %bb.7690:                             ;   in Loop: Header=BB6_6244 Depth=2
	v_and_b32_e32 v52, 0x7f, v30
	v_cmp_ne_u32_e32 vcc, s39, v52
	v_mov_b32_e32 v39, 0x7f800001
	s_and_saveexec_b64 s[78:79], vcc
	s_cbranch_execz .LBB6_7692
; %bb.7691:                             ;   in Loop: Header=BB6_6244 Depth=2
	v_and_b32_e32 v39, 7, v30
	v_lshrrev_b32_e32 v57, 3, v52
	v_cmp_gt_u32_e32 vcc, 8, v52
	v_ffbh_u32_e32 v52, v39
	v_min_u32_e32 v58, 32, v52
	v_subrev_u32_e32 v52, 28, v58
	v_lshlrev_b64 v[52:53], v52, v[30:31]
	v_sub_u32_e32 v30, 29, v58
	v_and_b32_e32 v52, 7, v52
	v_cndmask_b32_e32 v30, v57, v30, vcc
	v_cndmask_b32_e32 v39, v39, v52, vcc
	v_lshlrev_b32_e32 v2, 16, v2
	v_lshlrev_b32_e32 v39, 20, v39
	v_and_b32_e32 v2, 0x80000000, v2
	v_lshl_add_u32 v30, v30, 23, v62
	v_or3_b32 v39, v2, v30, v39
.LBB6_7692:                             ;   in Loop: Header=BB6_6244 Depth=2
	s_or_b64 exec, exec, s[78:79]
.LBB6_7693:                             ;   in Loop: Header=BB6_6244 Depth=2
	s_or_b64 exec, exec, s[76:77]
.LBB6_7694:                             ;   in Loop: Header=BB6_6244 Depth=2
	s_or_b64 exec, exec, s[18:19]
	v_lshrrev_b16_e32 v30, 8, v22
	v_cmp_ne_u16_e32 vcc, 0, v30
	s_and_saveexec_b64 s[18:19], vcc
	s_cbranch_execz .LBB6_7700
; %bb.7695:                             ;   in Loop: Header=BB6_6244 Depth=2
	v_cmp_ne_u16_e32 vcc, s50, v30
	v_bfrev_b32_e32 v38, 1
	s_and_saveexec_b64 s[76:77], vcc
	s_cbranch_execz .LBB6_7699
; %bb.7696:                             ;   in Loop: Header=BB6_6244 Depth=2
	v_and_b32_e32 v2, 0x7f, v30
	v_cmp_ne_u32_e32 vcc, s39, v2
	v_mov_b32_e32 v38, 0x7f800001
	s_and_saveexec_b64 s[78:79], vcc
	s_cbranch_execz .LBB6_7698
; %bb.7697:                             ;   in Loop: Header=BB6_6244 Depth=2
	v_and_b32_e32 v38, 7, v30
	v_lshrrev_b32_e32 v57, 3, v2
	v_cmp_gt_u32_e32 vcc, 8, v2
	v_ffbh_u32_e32 v2, v38
	v_min_u32_e32 v2, 32, v2
	v_subrev_u32_e32 v52, 28, v2
	v_lshlrev_b64 v[52:53], v52, v[30:31]
	v_sub_u32_e32 v2, 29, v2
	v_and_b32_e32 v30, 7, v52
	v_cndmask_b32_e32 v2, v57, v2, vcc
	v_cndmask_b32_e32 v30, v38, v30, vcc
	v_lshlrev_b32_e32 v38, 16, v22
	v_lshlrev_b32_e32 v30, 20, v30
	v_and_b32_e32 v38, 0x80000000, v38
	v_lshl_add_u32 v2, v2, 23, v62
	v_or3_b32 v38, v38, v2, v30
.LBB6_7698:                             ;   in Loop: Header=BB6_6244 Depth=2
	s_or_b64 exec, exec, s[78:79]
.LBB6_7699:                             ;   in Loop: Header=BB6_6244 Depth=2
	s_or_b64 exec, exec, s[76:77]
.LBB6_7700:                             ;   in Loop: Header=BB6_6244 Depth=2
	s_or_b64 exec, exec, s[18:19]
	v_add_f32_e32 v30, v39, v38
	v_and_b32_e32 v38, 0x7f800000, v30
	v_mov_b32_e32 v39, v51
	v_cmp_ne_u64_e32 vcc, s[46:47], v[38:39]
                                        ; implicit-def: $vgpr2
                                        ; kill: killed $vgpr2
	s_and_saveexec_b64 s[18:19], vcc
	s_xor_b64 s[76:77], exec, s[18:19]
	s_cbranch_execz .LBB6_7714
; %bb.7701:                             ;   in Loop: Header=BB6_6244 Depth=2
	v_and_b32_e32 v38, 0x7fffffff, v30
	v_mov_b32_e32 v39, v51
	v_cmp_gt_u64_e32 vcc, s[56:57], v[38:39]
	v_and_b32_sdwa v2, v30, s50 dst_sel:DWORD dst_unused:UNUSED_PAD src0_sel:BYTE_3 src1_sel:DWORD
                                        ; implicit-def: $vgpr38
                                        ; kill: killed $vgpr38
	s_and_saveexec_b64 s[18:19], vcc
	s_xor_b64 s[78:79], exec, s[18:19]
	s_cbranch_execz .LBB6_7711
; %bb.7702:                             ;   in Loop: Header=BB6_6244 Depth=2
	v_mov_b32_e32 v38, 0
	v_cmp_ne_u32_e32 vcc, 0, v30
	buffer_store_dword v38, off, s[0:3], s33 offset:108 ; 4-byte Folded Spill
	s_and_saveexec_b64 s[88:89], vcc
	s_cbranch_execz .LBB6_7710
; %bb.7703:                             ;   in Loop: Header=BB6_6244 Depth=2
	v_and_b32_e32 v39, 0x7fffff, v30
	v_bfe_u32 v30, v30, 23, 8
	v_cmp_gt_u32_e64 s[18:19], s51, v30
	v_sub_u32_e32 v38, 0x79, v30
	v_cmp_eq_u32_e32 vcc, 0, v30
	v_cndmask_b32_e64 v38, 0, v38, s[18:19]
	v_mov_b32_e32 v53, 0x78
	v_or_b32_e32 v52, 0x800000, v39
	v_cndmask_b32_e32 v38, v38, v53, vcc
	v_cndmask_b32_e32 v52, v52, v39, vcc
	v_add_u32_e32 v39, 20, v38
	v_lshlrev_b64 v[57:58], v39, -1
	v_add_u32_e32 v39, 19, v38
	v_lshlrev_b64 v[59:60], v39, 1
	v_mov_b32_e32 v53, v51
	v_bfi_b32 v58, v58, 0, 0
	v_bfi_b32 v57, v57, 0, v52
	v_cmp_eq_u64_e64 s[18:19], v[57:58], v[59:60]
	v_lshrrev_b64 v[57:58], v38, v[52:53]
	v_mov_b32_e32 v59, v58
	v_mov_b32_e32 v58, v57
	s_and_saveexec_b64 s[90:91], s[18:19]
; %bb.7704:                             ;   in Loop: Header=BB6_6244 Depth=2
	v_bfe_u32 v39, v57, 20, 1
	v_add_co_u32_e64 v39, s[18:19], v57, v39
	v_add_co_u32_e64 v58, s[18:19], -1, v39
; %bb.7705:                             ;   in Loop: Header=BB6_6244 Depth=2
	s_or_b64 exec, exec, s[90:91]
	v_add_u32_e32 v30, 0xffffff81, v30
	v_mov_b32_e32 v39, 0xffffff82
	v_cndmask_b32_e32 v30, v30, v39, vcc
	v_lshrrev_b32_e32 v39, 23, v57
	v_add3_u32 v39, v38, v30, v39
	v_add_u32_e32 v38, 6, v39
	v_and_b32_e32 v30, 0xfffff, v58
	v_add_u32_e32 v57, v30, v57
	v_mov_b32_e32 v58, v51
	v_cmp_ne_u32_e32 vcc, 0, v38
                                        ; implicit-def: $vgpr30
	s_and_saveexec_b64 s[18:19], vcc
	s_xor_b64 s[18:19], exec, s[18:19]
; %bb.7706:                             ;   in Loop: Header=BB6_6244 Depth=2
	v_cmp_lt_u64_e32 vcc, s[58:59], v[57:58]
	v_add_u32_e32 v30, 7, v39
	v_cndmask_b32_e32 v30, v38, v30, vcc
	v_cndmask_b32_e64 v38, 0, 1, vcc
	v_lshrrev_b64 v[57:58], v38, v[57:58]
; %bb.7707:                             ;   in Loop: Header=BB6_6244 Depth=2
	s_andn2_saveexec_b64 s[18:19], s[18:19]
; %bb.7708:                             ;   in Loop: Header=BB6_6244 Depth=2
	v_bfe_u32 v30, v57, 23, 1
; %bb.7709:                             ;   in Loop: Header=BB6_6244 Depth=2
	s_or_b64 exec, exec, s[18:19]
	v_lshrrev_b64 v[38:39], 20, v[57:58]
	v_cmp_gt_i32_e32 vcc, 16, v30
	v_cndmask_b32_e32 v39, 0, v39, vcc
	v_cndmask_b32_e32 v38, 7, v38, vcc
	v_cmp_eq_u32_e32 vcc, 0, v30
	v_min_i32_e32 v30, 15, v30
	v_cmp_eq_u64_e64 s[18:19], 0, v[38:39]
	v_lshlrev_b32_e32 v30, 3, v30
	v_and_b32_e32 v30, 0xf8, v30
	v_and_or_b32 v30, v38, 7, v30
	s_and_b64 s[18:19], vcc, s[18:19]
	v_cndmask_b32_e64 v30, v30, 0, s[18:19]
	v_or_b32_e32 v2, v30, v2
	buffer_store_dword v2, off, s[0:3], s33 offset:108 ; 4-byte Folded Spill
.LBB6_7710:                             ;   in Loop: Header=BB6_6244 Depth=2
	s_or_b64 exec, exec, s[88:89]
                                        ; implicit-def: $vgpr2
.LBB6_7711:                             ;   in Loop: Header=BB6_6244 Depth=2
	s_andn2_saveexec_b64 s[18:19], s[78:79]
	s_cbranch_execz .LBB6_7713
; %bb.7712:                             ;   in Loop: Header=BB6_6244 Depth=2
	v_or_b32_e32 v2, 0x7e, v2
	buffer_store_dword v2, off, s[0:3], s33 offset:108 ; 4-byte Folded Spill
.LBB6_7713:                             ;   in Loop: Header=BB6_6244 Depth=2
	s_or_b64 exec, exec, s[18:19]
                                        ; implicit-def: $vgpr30
.LBB6_7714:                             ;   in Loop: Header=BB6_6244 Depth=2
	s_andn2_saveexec_b64 s[18:19], s[76:77]
	s_cbranch_execz .LBB6_7716
; %bb.7715:                             ;   in Loop: Header=BB6_6244 Depth=2
	v_or_b32_sdwa v2, v30, s39 dst_sel:DWORD dst_unused:UNUSED_PAD src0_sel:BYTE_3 src1_sel:DWORD
	buffer_store_dword v2, off, s[0:3], s33 offset:108 ; 4-byte Folded Spill
.LBB6_7716:                             ;   in Loop: Header=BB6_6244 Depth=2
	s_or_b64 exec, exec, s[18:19]
	v_lshrrev_b32_e32 v30, 16, v50
	v_cmp_ne_u16_sdwa s[76:77], v30, v51 src0_sel:BYTE_0 src1_sel:DWORD
	v_mov_b32_e32 v2, 0
	v_mov_b32_e32 v38, 0
	s_and_saveexec_b64 s[18:19], s[76:77]
	s_cbranch_execz .LBB6_7722
; %bb.7717:                             ;   in Loop: Header=BB6_6244 Depth=2
	v_cmp_ne_u16_sdwa s[78:79], v30, s50 src0_sel:BYTE_0 src1_sel:DWORD
	v_bfrev_b32_e32 v38, 1
	s_and_saveexec_b64 s[76:77], s[78:79]
	s_cbranch_execz .LBB6_7721
; %bb.7718:                             ;   in Loop: Header=BB6_6244 Depth=2
	v_bfe_u32 v39, v50, 16, 7
	v_cmp_ne_u32_e32 vcc, s39, v39
	v_mov_b32_e32 v38, 0x7f800001
	s_and_saveexec_b64 s[78:79], vcc
	s_cbranch_execz .LBB6_7720
; %bb.7719:                             ;   in Loop: Header=BB6_6244 Depth=2
	v_and_b32_e32 v52, 7, v30
	v_ffbh_u32_e32 v38, v52
	v_min_u32_e32 v57, 32, v38
	v_subrev_u32_e32 v38, 28, v57
	v_lshrrev_b32_e32 v53, 3, v39
	v_cmp_gt_u32_e32 vcc, 8, v39
	v_lshlrev_b64 v[38:39], v38, v[30:31]
	v_sub_u32_e32 v39, 29, v57
	v_and_b32_e32 v38, 7, v38
	v_cndmask_b32_e32 v39, v53, v39, vcc
	v_cndmask_b32_e32 v38, v52, v38, vcc
	v_lshlrev_b32_e32 v30, 24, v30
	v_lshlrev_b32_e32 v38, 20, v38
	v_and_b32_e32 v30, 0x80000000, v30
	v_lshl_add_u32 v39, v39, 23, v62
	v_or3_b32 v38, v30, v39, v38
.LBB6_7720:                             ;   in Loop: Header=BB6_6244 Depth=2
	s_or_b64 exec, exec, s[78:79]
.LBB6_7721:                             ;   in Loop: Header=BB6_6244 Depth=2
	s_or_b64 exec, exec, s[76:77]
.LBB6_7722:                             ;   in Loop: Header=BB6_6244 Depth=2
	s_or_b64 exec, exec, s[18:19]
	v_lshrrev_b32_e32 v30, 16, v22
	v_cmp_ne_u16_sdwa s[76:77], v30, v51 src0_sel:BYTE_0 src1_sel:DWORD
	s_and_saveexec_b64 s[18:19], s[76:77]
	s_cbranch_execz .LBB6_7728
; %bb.7723:                             ;   in Loop: Header=BB6_6244 Depth=2
	v_cmp_ne_u16_sdwa s[78:79], v30, s50 src0_sel:BYTE_0 src1_sel:DWORD
	v_bfrev_b32_e32 v2, 1
	s_and_saveexec_b64 s[76:77], s[78:79]
	s_cbranch_execz .LBB6_7727
; %bb.7724:                             ;   in Loop: Header=BB6_6244 Depth=2
	v_bfe_u32 v39, v22, 16, 7
	v_cmp_ne_u32_e32 vcc, s39, v39
	v_mov_b32_e32 v2, 0x7f800001
	s_and_saveexec_b64 s[78:79], vcc
	s_cbranch_execz .LBB6_7726
; %bb.7725:                             ;   in Loop: Header=BB6_6244 Depth=2
	v_and_b32_e32 v2, 7, v30
	v_lshrrev_b32_e32 v57, 3, v39
	v_cmp_gt_u32_e32 vcc, 8, v39
	v_ffbh_u32_e32 v39, v2
	v_min_u32_e32 v39, 32, v39
	v_subrev_u32_e32 v52, 28, v39
	v_lshlrev_b64 v[52:53], v52, v[30:31]
	v_sub_u32_e32 v30, 29, v39
	v_and_b32_e32 v39, 7, v52
	v_cndmask_b32_e32 v30, v57, v30, vcc
	v_cndmask_b32_e32 v2, v2, v39, vcc
	v_lshlrev_b32_e32 v39, 8, v22
	v_lshlrev_b32_e32 v2, 20, v2
	v_and_b32_e32 v39, 0x80000000, v39
	v_lshl_add_u32 v30, v30, 23, v62
	v_or3_b32 v2, v39, v30, v2
.LBB6_7726:                             ;   in Loop: Header=BB6_6244 Depth=2
	s_or_b64 exec, exec, s[78:79]
.LBB6_7727:                             ;   in Loop: Header=BB6_6244 Depth=2
	s_or_b64 exec, exec, s[76:77]
.LBB6_7728:                             ;   in Loop: Header=BB6_6244 Depth=2
	s_or_b64 exec, exec, s[18:19]
	v_add_f32_e32 v30, v38, v2
	v_and_b32_e32 v38, 0x7f800000, v30
	v_mov_b32_e32 v39, v51
	v_cmp_ne_u64_e32 vcc, s[46:47], v[38:39]
                                        ; implicit-def: $vgpr2
                                        ; kill: killed $vgpr2
	s_and_saveexec_b64 s[18:19], vcc
	s_xor_b64 s[76:77], exec, s[18:19]
	s_cbranch_execz .LBB6_7742
; %bb.7729:                             ;   in Loop: Header=BB6_6244 Depth=2
	v_and_b32_e32 v38, 0x7fffffff, v30
	v_mov_b32_e32 v39, v51
	v_cmp_gt_u64_e32 vcc, s[56:57], v[38:39]
	v_and_b32_sdwa v2, v30, s50 dst_sel:DWORD dst_unused:UNUSED_PAD src0_sel:BYTE_3 src1_sel:DWORD
                                        ; implicit-def: $vgpr38
                                        ; kill: killed $vgpr38
	s_and_saveexec_b64 s[18:19], vcc
	s_xor_b64 s[78:79], exec, s[18:19]
	s_cbranch_execz .LBB6_7739
; %bb.7730:                             ;   in Loop: Header=BB6_6244 Depth=2
	v_mov_b32_e32 v38, 0
	v_cmp_ne_u32_e32 vcc, 0, v30
	buffer_store_dword v38, off, s[0:3], s33 offset:116 ; 4-byte Folded Spill
	s_and_saveexec_b64 s[88:89], vcc
	s_cbranch_execz .LBB6_7738
; %bb.7731:                             ;   in Loop: Header=BB6_6244 Depth=2
	v_and_b32_e32 v39, 0x7fffff, v30
	v_bfe_u32 v30, v30, 23, 8
	v_cmp_gt_u32_e64 s[18:19], s51, v30
	v_sub_u32_e32 v38, 0x79, v30
	v_cmp_eq_u32_e32 vcc, 0, v30
	v_cndmask_b32_e64 v38, 0, v38, s[18:19]
	v_mov_b32_e32 v53, 0x78
	v_or_b32_e32 v52, 0x800000, v39
	v_cndmask_b32_e32 v38, v38, v53, vcc
	v_cndmask_b32_e32 v52, v52, v39, vcc
	v_add_u32_e32 v39, 20, v38
	v_lshlrev_b64 v[57:58], v39, -1
	v_add_u32_e32 v39, 19, v38
	v_lshlrev_b64 v[59:60], v39, 1
	v_mov_b32_e32 v53, v51
	v_bfi_b32 v58, v58, 0, 0
	v_bfi_b32 v57, v57, 0, v52
	v_cmp_eq_u64_e64 s[18:19], v[57:58], v[59:60]
	v_lshrrev_b64 v[57:58], v38, v[52:53]
	v_mov_b32_e32 v59, v58
	v_mov_b32_e32 v58, v57
	s_and_saveexec_b64 s[90:91], s[18:19]
; %bb.7732:                             ;   in Loop: Header=BB6_6244 Depth=2
	v_bfe_u32 v39, v57, 20, 1
	v_add_co_u32_e64 v39, s[18:19], v57, v39
	v_add_co_u32_e64 v58, s[18:19], -1, v39
; %bb.7733:                             ;   in Loop: Header=BB6_6244 Depth=2
	s_or_b64 exec, exec, s[90:91]
	v_add_u32_e32 v30, 0xffffff81, v30
	v_mov_b32_e32 v39, 0xffffff82
	v_cndmask_b32_e32 v30, v30, v39, vcc
	v_lshrrev_b32_e32 v39, 23, v57
	v_add3_u32 v39, v38, v30, v39
	v_add_u32_e32 v38, 6, v39
	v_and_b32_e32 v30, 0xfffff, v58
	v_add_u32_e32 v57, v30, v57
	v_mov_b32_e32 v58, v51
	v_cmp_ne_u32_e32 vcc, 0, v38
                                        ; implicit-def: $vgpr30
	s_and_saveexec_b64 s[18:19], vcc
	s_xor_b64 s[18:19], exec, s[18:19]
; %bb.7734:                             ;   in Loop: Header=BB6_6244 Depth=2
	v_cmp_lt_u64_e32 vcc, s[58:59], v[57:58]
	v_add_u32_e32 v30, 7, v39
	v_cndmask_b32_e32 v30, v38, v30, vcc
	v_cndmask_b32_e64 v38, 0, 1, vcc
	v_lshrrev_b64 v[57:58], v38, v[57:58]
; %bb.7735:                             ;   in Loop: Header=BB6_6244 Depth=2
	s_andn2_saveexec_b64 s[18:19], s[18:19]
; %bb.7736:                             ;   in Loop: Header=BB6_6244 Depth=2
	v_bfe_u32 v30, v57, 23, 1
; %bb.7737:                             ;   in Loop: Header=BB6_6244 Depth=2
	s_or_b64 exec, exec, s[18:19]
	v_lshrrev_b64 v[38:39], 20, v[57:58]
	v_cmp_gt_i32_e32 vcc, 16, v30
	v_cndmask_b32_e32 v39, 0, v39, vcc
	v_cndmask_b32_e32 v38, 7, v38, vcc
	v_cmp_eq_u32_e32 vcc, 0, v30
	v_min_i32_e32 v30, 15, v30
	v_cmp_eq_u64_e64 s[18:19], 0, v[38:39]
	v_lshlrev_b32_e32 v30, 3, v30
	v_and_b32_e32 v30, 0xf8, v30
	v_and_or_b32 v30, v38, 7, v30
	s_and_b64 s[18:19], vcc, s[18:19]
	v_cndmask_b32_e64 v30, v30, 0, s[18:19]
	v_or_b32_e32 v2, v30, v2
	buffer_store_dword v2, off, s[0:3], s33 offset:116 ; 4-byte Folded Spill
.LBB6_7738:                             ;   in Loop: Header=BB6_6244 Depth=2
	s_or_b64 exec, exec, s[88:89]
                                        ; implicit-def: $vgpr2
.LBB6_7739:                             ;   in Loop: Header=BB6_6244 Depth=2
	s_andn2_saveexec_b64 s[18:19], s[78:79]
	s_cbranch_execz .LBB6_7741
; %bb.7740:                             ;   in Loop: Header=BB6_6244 Depth=2
	v_or_b32_e32 v2, 0x7e, v2
	buffer_store_dword v2, off, s[0:3], s33 offset:116 ; 4-byte Folded Spill
.LBB6_7741:                             ;   in Loop: Header=BB6_6244 Depth=2
	s_or_b64 exec, exec, s[18:19]
                                        ; implicit-def: $vgpr30
.LBB6_7742:                             ;   in Loop: Header=BB6_6244 Depth=2
	s_andn2_saveexec_b64 s[18:19], s[76:77]
	s_cbranch_execz .LBB6_7744
; %bb.7743:                             ;   in Loop: Header=BB6_6244 Depth=2
	v_or_b32_sdwa v2, v30, s39 dst_sel:DWORD dst_unused:UNUSED_PAD src0_sel:BYTE_3 src1_sel:DWORD
	buffer_store_dword v2, off, s[0:3], s33 offset:116 ; 4-byte Folded Spill
.LBB6_7744:                             ;   in Loop: Header=BB6_6244 Depth=2
	s_or_b64 exec, exec, s[18:19]
	v_cmp_lt_u32_e32 vcc, s61, v50
	v_mov_b32_e32 v2, 0
	v_mov_b32_e32 v38, 0
	s_and_saveexec_b64 s[18:19], vcc
	s_cbranch_execz .LBB6_7750
; %bb.7745:                             ;   in Loop: Header=BB6_6244 Depth=2
	v_lshrrev_b32_e32 v30, 24, v50
	v_cmp_ne_u32_sdwa s[78:79], v50, s50 src0_sel:BYTE_3 src1_sel:DWORD
	v_bfrev_b32_e32 v38, 1
	s_and_saveexec_b64 s[76:77], s[78:79]
	s_cbranch_execz .LBB6_7749
; %bb.7746:                             ;   in Loop: Header=BB6_6244 Depth=2
	v_bfe_u32 v39, v50, 24, 7
	v_cmp_ne_u32_e32 vcc, s39, v39
	v_mov_b32_e32 v38, 0x7f800001
	s_and_saveexec_b64 s[78:79], vcc
	s_cbranch_execz .LBB6_7748
; %bb.7747:                             ;   in Loop: Header=BB6_6244 Depth=2
	v_and_b32_e32 v52, 7, v30
	v_ffbh_u32_e32 v38, v52
	v_min_u32_e32 v57, 32, v38
	v_subrev_u32_e32 v38, 28, v57
	v_lshrrev_b32_e32 v53, 3, v39
	v_cmp_gt_u32_e32 vcc, 8, v39
	v_lshlrev_b64 v[38:39], v38, v[30:31]
	v_sub_u32_e32 v30, 29, v57
	v_and_b32_e32 v38, 7, v38
	v_mov_b32_e32 v39, 24
	v_cndmask_b32_e32 v30, v53, v30, vcc
	v_cndmask_b32_e32 v38, v52, v38, vcc
	v_lshlrev_b32_sdwa v39, v39, v50 dst_sel:DWORD dst_unused:UNUSED_PAD src0_sel:DWORD src1_sel:BYTE_3
	v_lshlrev_b32_e32 v38, 20, v38
	v_and_b32_e32 v39, 0x80000000, v39
	v_lshl_add_u32 v30, v30, 23, v62
	v_or3_b32 v38, v39, v30, v38
.LBB6_7748:                             ;   in Loop: Header=BB6_6244 Depth=2
	s_or_b64 exec, exec, s[78:79]
.LBB6_7749:                             ;   in Loop: Header=BB6_6244 Depth=2
	s_or_b64 exec, exec, s[76:77]
.LBB6_7750:                             ;   in Loop: Header=BB6_6244 Depth=2
	s_or_b64 exec, exec, s[18:19]
	v_cmp_lt_u32_e32 vcc, s61, v22
	s_and_saveexec_b64 s[18:19], vcc
	s_cbranch_execz .LBB6_7756
; %bb.7751:                             ;   in Loop: Header=BB6_6244 Depth=2
	v_lshrrev_b32_e32 v30, 24, v22
	v_cmp_ne_u32_e32 vcc, s50, v30
	v_bfrev_b32_e32 v2, 1
	s_and_saveexec_b64 s[76:77], vcc
	s_cbranch_execz .LBB6_7755
; %bb.7752:                             ;   in Loop: Header=BB6_6244 Depth=2
	v_bfe_u32 v39, v22, 24, 7
	v_cmp_ne_u32_e32 vcc, s39, v39
	v_mov_b32_e32 v2, 0x7f800001
	s_and_saveexec_b64 s[78:79], vcc
	s_cbranch_execz .LBB6_7754
; %bb.7753:                             ;   in Loop: Header=BB6_6244 Depth=2
	v_and_b32_e32 v2, 7, v30
	v_lshrrev_b32_e32 v50, 3, v39
	v_cmp_gt_u32_e32 vcc, 8, v39
	v_ffbh_u32_e32 v39, v2
	v_min_u32_e32 v39, 32, v39
	v_subrev_u32_e32 v52, 28, v39
	v_lshlrev_b64 v[52:53], v52, v[30:31]
	v_sub_u32_e32 v39, 29, v39
	v_and_b32_e32 v52, 7, v52
	v_cndmask_b32_e32 v39, v50, v39, vcc
	v_cndmask_b32_e32 v2, v2, v52, vcc
	v_lshlrev_b32_e32 v30, 24, v30
	v_lshlrev_b32_e32 v2, 20, v2
	v_and_b32_e32 v30, 0x80000000, v30
	v_lshl_add_u32 v39, v39, 23, v62
	v_or3_b32 v2, v30, v39, v2
.LBB6_7754:                             ;   in Loop: Header=BB6_6244 Depth=2
	s_or_b64 exec, exec, s[78:79]
.LBB6_7755:                             ;   in Loop: Header=BB6_6244 Depth=2
	s_or_b64 exec, exec, s[76:77]
.LBB6_7756:                             ;   in Loop: Header=BB6_6244 Depth=2
	s_or_b64 exec, exec, s[18:19]
	v_add_f32_e32 v30, v38, v2
	v_and_b32_e32 v50, 0x7f800000, v30
	v_cmp_ne_u64_e32 vcc, s[46:47], v[50:51]
                                        ; implicit-def: $vgpr2
                                        ; kill: killed $vgpr2
	s_and_saveexec_b64 s[18:19], vcc
	s_xor_b64 s[76:77], exec, s[18:19]
	s_cbranch_execz .LBB6_7770
; %bb.7757:                             ;   in Loop: Header=BB6_6244 Depth=2
	v_and_b32_e32 v50, 0x7fffffff, v30
	v_cmp_gt_u64_e32 vcc, s[56:57], v[50:51]
	v_and_b32_sdwa v2, v30, s50 dst_sel:DWORD dst_unused:UNUSED_PAD src0_sel:BYTE_3 src1_sel:DWORD
                                        ; implicit-def: $vgpr38
                                        ; kill: killed $vgpr38
	s_and_saveexec_b64 s[18:19], vcc
	s_xor_b64 s[78:79], exec, s[18:19]
	s_cbranch_execz .LBB6_7767
; %bb.7758:                             ;   in Loop: Header=BB6_6244 Depth=2
	v_mov_b32_e32 v38, 0
	v_cmp_ne_u32_e32 vcc, 0, v30
	buffer_store_dword v38, off, s[0:3], s33 offset:304 ; 4-byte Folded Spill
	s_and_saveexec_b64 s[88:89], vcc
	s_cbranch_execz .LBB6_7766
; %bb.7759:                             ;   in Loop: Header=BB6_6244 Depth=2
	v_and_b32_e32 v39, 0x7fffff, v30
	v_bfe_u32 v30, v30, 23, 8
	v_cmp_gt_u32_e64 s[18:19], s51, v30
	v_sub_u32_e32 v38, 0x79, v30
	v_cmp_eq_u32_e32 vcc, 0, v30
	v_cndmask_b32_e64 v38, 0, v38, s[18:19]
	v_mov_b32_e32 v52, 0x78
	v_or_b32_e32 v50, 0x800000, v39
	v_cndmask_b32_e32 v38, v38, v52, vcc
	v_cndmask_b32_e32 v50, v50, v39, vcc
	v_add_u32_e32 v39, 20, v38
	v_lshlrev_b64 v[52:53], v39, -1
	v_add_u32_e32 v39, 19, v38
	v_lshlrev_b64 v[57:58], v39, 1
	v_bfi_b32 v53, v53, 0, 0
	v_bfi_b32 v52, v52, 0, v50
	v_cmp_eq_u64_e64 s[18:19], v[52:53], v[57:58]
	v_lshrrev_b64 v[57:58], v38, v[50:51]
	v_mov_b32_e32 v59, v58
	v_mov_b32_e32 v58, v57
	s_and_saveexec_b64 s[90:91], s[18:19]
; %bb.7760:                             ;   in Loop: Header=BB6_6244 Depth=2
	v_bfe_u32 v39, v57, 20, 1
	v_add_co_u32_e64 v39, s[18:19], v57, v39
	v_add_co_u32_e64 v58, s[18:19], -1, v39
; %bb.7761:                             ;   in Loop: Header=BB6_6244 Depth=2
	s_or_b64 exec, exec, s[90:91]
	v_add_u32_e32 v30, 0xffffff81, v30
	v_mov_b32_e32 v39, 0xffffff82
	v_cndmask_b32_e32 v30, v30, v39, vcc
	v_lshrrev_b32_e32 v39, 23, v57
	v_add3_u32 v39, v38, v30, v39
	v_add_u32_e32 v38, 6, v39
	v_and_b32_e32 v30, 0xfffff, v58
	v_add_u32_e32 v50, v30, v57
	v_cmp_ne_u32_e32 vcc, 0, v38
                                        ; implicit-def: $vgpr57_vgpr58
                                        ; implicit-def: $vgpr30
	s_and_saveexec_b64 s[18:19], vcc
	s_xor_b64 s[18:19], exec, s[18:19]
; %bb.7762:                             ;   in Loop: Header=BB6_6244 Depth=2
	v_cmp_lt_u64_e32 vcc, s[58:59], v[50:51]
	v_add_u32_e32 v30, 7, v39
	v_cndmask_b32_e32 v30, v38, v30, vcc
	v_cndmask_b32_e64 v38, 0, 1, vcc
	v_lshrrev_b64 v[57:58], v38, v[50:51]
; %bb.7763:                             ;   in Loop: Header=BB6_6244 Depth=2
	s_andn2_saveexec_b64 s[18:19], s[18:19]
; %bb.7764:                             ;   in Loop: Header=BB6_6244 Depth=2
	v_mov_b32_e32 v58, v51
	v_bfe_u32 v30, v50, 23, 1
	v_mov_b32_e32 v57, v50
; %bb.7765:                             ;   in Loop: Header=BB6_6244 Depth=2
	s_or_b64 exec, exec, s[18:19]
	v_lshrrev_b64 v[38:39], 20, v[57:58]
	v_cmp_gt_i32_e32 vcc, 16, v30
	v_cndmask_b32_e32 v39, 0, v39, vcc
	v_cndmask_b32_e32 v38, 7, v38, vcc
	v_cmp_eq_u32_e32 vcc, 0, v30
	v_min_i32_e32 v30, 15, v30
	v_cmp_eq_u64_e64 s[18:19], 0, v[38:39]
	v_lshlrev_b32_e32 v30, 3, v30
	v_and_b32_e32 v30, 0xf8, v30
	v_and_or_b32 v30, v38, 7, v30
	s_and_b64 s[18:19], vcc, s[18:19]
	v_cndmask_b32_e64 v30, v30, 0, s[18:19]
	v_or_b32_e32 v2, v30, v2
	buffer_store_dword v2, off, s[0:3], s33 offset:304 ; 4-byte Folded Spill
.LBB6_7766:                             ;   in Loop: Header=BB6_6244 Depth=2
	s_or_b64 exec, exec, s[88:89]
                                        ; implicit-def: $vgpr2
.LBB6_7767:                             ;   in Loop: Header=BB6_6244 Depth=2
	s_andn2_saveexec_b64 s[18:19], s[78:79]
	s_cbranch_execz .LBB6_7769
; %bb.7768:                             ;   in Loop: Header=BB6_6244 Depth=2
	v_or_b32_e32 v2, 0x7e, v2
	buffer_store_dword v2, off, s[0:3], s33 offset:304 ; 4-byte Folded Spill
.LBB6_7769:                             ;   in Loop: Header=BB6_6244 Depth=2
	s_or_b64 exec, exec, s[18:19]
                                        ; implicit-def: $vgpr30
.LBB6_7770:                             ;   in Loop: Header=BB6_6244 Depth=2
	s_andn2_saveexec_b64 s[18:19], s[76:77]
	s_cbranch_execz .LBB6_7772
; %bb.7771:                             ;   in Loop: Header=BB6_6244 Depth=2
	v_or_b32_sdwa v2, v30, s39 dst_sel:DWORD dst_unused:UNUSED_PAD src0_sel:BYTE_3 src1_sel:DWORD
	buffer_store_dword v2, off, s[0:3], s33 offset:304 ; 4-byte Folded Spill
.LBB6_7772:                             ;   in Loop: Header=BB6_6244 Depth=2
	s_or_b64 exec, exec, s[18:19]
	v_lshl_or_b32 v2, v54, 8, v31
	v_lshlrev_b32_e32 v30, 16, v32
	v_lshlrev_b32_e32 v32, 24, v37
	v_or3_b32 v50, v30, v32, v2
	v_cmp_ne_u32_e32 vcc, 0, v31
	v_mov_b32_e32 v32, 0
	v_mov_b32_e32 v30, 0
	s_and_saveexec_b64 s[18:19], vcc
	s_cbranch_execz .LBB6_7778
; %bb.7773:                             ;   in Loop: Header=BB6_6244 Depth=2
	v_cmp_ne_u32_e32 vcc, s50, v31
	v_bfrev_b32_e32 v30, 1
	s_and_saveexec_b64 s[76:77], vcc
	s_cbranch_execz .LBB6_7777
; %bb.7774:                             ;   in Loop: Header=BB6_6244 Depth=2
	v_and_b32_e32 v37, 0x7f, v31
	v_cmp_ne_u32_e32 vcc, s39, v37
	v_mov_b32_e32 v30, 0x7f800001
	s_and_saveexec_b64 s[78:79], vcc
	s_cbranch_execz .LBB6_7776
; %bb.7775:                             ;   in Loop: Header=BB6_6244 Depth=2
	v_and_b32_e32 v30, 7, v31
	v_ffbh_u32_e32 v30, v30
	v_min_u32_e32 v30, 32, v30
	v_lshrrev_b32_e32 v31, 3, v37
	v_cmp_gt_u32_e32 vcc, 8, v37
	v_subrev_u32_e32 v37, 28, v30
	v_sub_u32_e32 v30, 29, v30
	v_cndmask_b32_e32 v38, v31, v30, vcc
	v_cndmask_b32_e32 v30, 0, v37, vcc
	v_lshlrev_b64 v[30:31], v30, v[50:51]
	v_lshlrev_b32_e32 v31, 24, v50
	v_lshlrev_b32_e32 v30, 20, v30
	v_and_b32_e32 v30, 0x700000, v30
	v_and_b32_e32 v31, 0x80000000, v31
	v_lshl_add_u32 v37, v38, 23, v62
	v_or3_b32 v30, v31, v37, v30
.LBB6_7776:                             ;   in Loop: Header=BB6_6244 Depth=2
	s_or_b64 exec, exec, s[78:79]
.LBB6_7777:                             ;   in Loop: Header=BB6_6244 Depth=2
	s_or_b64 exec, exec, s[76:77]
.LBB6_7778:                             ;   in Loop: Header=BB6_6244 Depth=2
	s_or_b64 exec, exec, s[18:19]
	v_cmp_ne_u16_sdwa s[76:77], v23, v51 src0_sel:BYTE_0 src1_sel:DWORD
	s_and_saveexec_b64 s[18:19], s[76:77]
	s_cbranch_execz .LBB6_7784
; %bb.7779:                             ;   in Loop: Header=BB6_6244 Depth=2
	v_cmp_ne_u16_sdwa s[78:79], v23, s50 src0_sel:BYTE_0 src1_sel:DWORD
	v_bfrev_b32_e32 v32, 1
	s_and_saveexec_b64 s[76:77], s[78:79]
	s_cbranch_execz .LBB6_7783
; %bb.7780:                             ;   in Loop: Header=BB6_6244 Depth=2
	v_and_b32_e32 v31, 0x7f, v23
	v_cmp_ne_u32_e32 vcc, s39, v31
	v_mov_b32_e32 v32, 0x7f800001
	s_and_saveexec_b64 s[78:79], vcc
	s_cbranch_execz .LBB6_7782
; %bb.7781:                             ;   in Loop: Header=BB6_6244 Depth=2
	v_and_b32_e32 v32, 7, v23
	v_lshrrev_b32_e32 v39, 3, v31
	v_cmp_gt_u32_e32 vcc, 8, v31
	v_ffbh_u32_e32 v31, v32
	v_min_u32_e32 v31, 32, v31
	v_subrev_u32_e32 v32, 28, v31
	v_sub_u32_e32 v31, 29, v31
	v_mov_b32_e32 v37, v23
	v_mov_b32_e32 v38, v51
	v_cndmask_b32_e32 v39, v39, v31, vcc
	v_cndmask_b32_e32 v31, 0, v32, vcc
	v_lshlrev_b64 v[31:32], v31, v[37:38]
	v_lshlrev_b32_e32 v32, 24, v37
	v_lshlrev_b32_e32 v31, 20, v31
	v_and_b32_e32 v31, 0x700000, v31
	v_and_b32_e32 v32, 0x80000000, v32
	v_lshl_add_u32 v37, v39, 23, v62
	v_or3_b32 v32, v32, v37, v31
.LBB6_7782:                             ;   in Loop: Header=BB6_6244 Depth=2
	s_or_b64 exec, exec, s[78:79]
.LBB6_7783:                             ;   in Loop: Header=BB6_6244 Depth=2
	s_or_b64 exec, exec, s[76:77]
.LBB6_7784:                             ;   in Loop: Header=BB6_6244 Depth=2
	s_or_b64 exec, exec, s[18:19]
	v_add_f32_e32 v31, v30, v32
	v_and_b32_e32 v37, 0x7f800000, v31
	v_mov_b32_e32 v38, v51
	v_cmp_ne_u64_e32 vcc, s[46:47], v[37:38]
                                        ; implicit-def: $vgpr30
                                        ; kill: killed $vgpr30
	s_and_saveexec_b64 s[18:19], vcc
	s_xor_b64 s[76:77], exec, s[18:19]
	s_cbranch_execz .LBB6_7798
; %bb.7785:                             ;   in Loop: Header=BB6_6244 Depth=2
	v_and_b32_e32 v37, 0x7fffffff, v31
	v_mov_b32_e32 v38, v51
	v_cmp_gt_u64_e32 vcc, s[56:57], v[37:38]
	v_and_b32_sdwa v30, v31, s50 dst_sel:DWORD dst_unused:UNUSED_PAD src0_sel:BYTE_3 src1_sel:DWORD
                                        ; implicit-def: $vgpr32
                                        ; kill: killed $vgpr32
	s_and_saveexec_b64 s[18:19], vcc
	s_xor_b64 s[78:79], exec, s[18:19]
	s_cbranch_execz .LBB6_7795
; %bb.7786:                             ;   in Loop: Header=BB6_6244 Depth=2
	v_mov_b32_e32 v32, 0
	v_cmp_ne_u32_e32 vcc, 0, v31
	buffer_store_dword v32, off, s[0:3], s33 offset:148 ; 4-byte Folded Spill
	s_and_saveexec_b64 s[88:89], vcc
	s_cbranch_execz .LBB6_7794
; %bb.7787:                             ;   in Loop: Header=BB6_6244 Depth=2
	v_and_b32_e32 v37, 0x7fffff, v31
	v_bfe_u32 v31, v31, 23, 8
	v_cmp_gt_u32_e64 s[18:19], s51, v31
	v_sub_u32_e32 v32, 0x79, v31
	v_cmp_eq_u32_e32 vcc, 0, v31
	v_cndmask_b32_e64 v32, 0, v32, s[18:19]
	v_mov_b32_e32 v39, 0x78
	v_cndmask_b32_e32 v32, v32, v39, vcc
	v_add_u32_e32 v39, 20, v32
	v_or_b32_e32 v38, 0x800000, v37
	v_lshlrev_b64 v[52:53], v39, -1
	v_add_u32_e32 v39, 19, v32
	v_cndmask_b32_e32 v37, v38, v37, vcc
	v_lshlrev_b64 v[57:58], v39, 1
	v_mov_b32_e32 v38, v51
	v_bfi_b32 v53, v53, 0, 0
	v_bfi_b32 v52, v52, 0, v37
	v_cmp_eq_u64_e64 s[18:19], v[52:53], v[57:58]
	v_lshrrev_b64 v[57:58], v32, v[37:38]
	v_mov_b32_e32 v59, v58
	v_mov_b32_e32 v58, v57
	s_and_saveexec_b64 s[90:91], s[18:19]
; %bb.7788:                             ;   in Loop: Header=BB6_6244 Depth=2
	v_bfe_u32 v37, v57, 20, 1
	v_add_co_u32_e64 v37, s[18:19], v57, v37
	v_add_co_u32_e64 v58, s[18:19], -1, v37
; %bb.7789:                             ;   in Loop: Header=BB6_6244 Depth=2
	s_or_b64 exec, exec, s[90:91]
	v_add_u32_e32 v31, 0xffffff81, v31
	v_mov_b32_e32 v37, 0xffffff82
	v_cndmask_b32_e32 v31, v31, v37, vcc
	v_lshrrev_b32_e32 v37, 23, v57
	v_add3_u32 v37, v32, v31, v37
	v_add_u32_e32 v32, 6, v37
	v_and_b32_e32 v31, 0xfffff, v58
	v_add_u32_e32 v57, v31, v57
	v_mov_b32_e32 v58, v51
	v_cmp_ne_u32_e32 vcc, 0, v32
                                        ; implicit-def: $vgpr31
	s_and_saveexec_b64 s[18:19], vcc
	s_xor_b64 s[18:19], exec, s[18:19]
; %bb.7790:                             ;   in Loop: Header=BB6_6244 Depth=2
	v_cmp_lt_u64_e32 vcc, s[58:59], v[57:58]
	v_add_u32_e32 v31, 7, v37
	v_cndmask_b32_e32 v31, v32, v31, vcc
	v_cndmask_b32_e64 v32, 0, 1, vcc
	v_lshrrev_b64 v[57:58], v32, v[57:58]
; %bb.7791:                             ;   in Loop: Header=BB6_6244 Depth=2
	s_andn2_saveexec_b64 s[18:19], s[18:19]
; %bb.7792:                             ;   in Loop: Header=BB6_6244 Depth=2
	v_bfe_u32 v31, v57, 23, 1
; %bb.7793:                             ;   in Loop: Header=BB6_6244 Depth=2
	s_or_b64 exec, exec, s[18:19]
	v_lshrrev_b64 v[37:38], 20, v[57:58]
	v_cmp_gt_i32_e32 vcc, 16, v31
	v_cndmask_b32_e32 v38, 0, v38, vcc
	v_cndmask_b32_e32 v37, 7, v37, vcc
	v_cmp_eq_u32_e32 vcc, 0, v31
	v_min_i32_e32 v31, 15, v31
	v_cmp_eq_u64_e64 s[18:19], 0, v[37:38]
	v_lshlrev_b32_e32 v31, 3, v31
	v_and_b32_e32 v31, 0xf8, v31
	v_and_or_b32 v31, v37, 7, v31
	s_and_b64 s[18:19], vcc, s[18:19]
	v_cndmask_b32_e64 v31, v31, 0, s[18:19]
	v_or_b32_e32 v30, v31, v30
	buffer_store_dword v30, off, s[0:3], s33 offset:148 ; 4-byte Folded Spill
.LBB6_7794:                             ;   in Loop: Header=BB6_6244 Depth=2
	s_or_b64 exec, exec, s[88:89]
                                        ; implicit-def: $vgpr30
.LBB6_7795:                             ;   in Loop: Header=BB6_6244 Depth=2
	s_andn2_saveexec_b64 s[18:19], s[78:79]
	s_cbranch_execz .LBB6_7797
; %bb.7796:                             ;   in Loop: Header=BB6_6244 Depth=2
	v_or_b32_e32 v30, 0x7e, v30
	buffer_store_dword v30, off, s[0:3], s33 offset:148 ; 4-byte Folded Spill
.LBB6_7797:                             ;   in Loop: Header=BB6_6244 Depth=2
	s_or_b64 exec, exec, s[18:19]
                                        ; implicit-def: $vgpr31
.LBB6_7798:                             ;   in Loop: Header=BB6_6244 Depth=2
	s_andn2_saveexec_b64 s[18:19], s[76:77]
	s_cbranch_execz .LBB6_7800
; %bb.7799:                             ;   in Loop: Header=BB6_6244 Depth=2
	v_or_b32_sdwa v30, v31, s39 dst_sel:DWORD dst_unused:UNUSED_PAD src0_sel:BYTE_3 src1_sel:DWORD
	buffer_store_dword v30, off, s[0:3], s33 offset:148 ; 4-byte Folded Spill
.LBB6_7800:                             ;   in Loop: Header=BB6_6244 Depth=2
	s_or_b64 exec, exec, s[18:19]
	v_lshrrev_b16_e32 v30, 8, v2
	v_cmp_ne_u16_e32 vcc, 0, v30
	v_mov_b32_e32 v31, 0
	v_mov_b32_e32 v32, 0
	s_and_saveexec_b64 s[18:19], vcc
	s_cbranch_execz .LBB6_7806
; %bb.7801:                             ;   in Loop: Header=BB6_6244 Depth=2
	v_cmp_ne_u16_e32 vcc, s50, v30
	v_bfrev_b32_e32 v32, 1
	s_and_saveexec_b64 s[76:77], vcc
	s_cbranch_execz .LBB6_7805
; %bb.7802:                             ;   in Loop: Header=BB6_6244 Depth=2
	v_and_b32_e32 v37, 0x7f, v30
	v_cmp_ne_u32_e32 vcc, s39, v37
	v_mov_b32_e32 v32, 0x7f800001
	s_and_saveexec_b64 s[78:79], vcc
	s_cbranch_execz .LBB6_7804
; %bb.7803:                             ;   in Loop: Header=BB6_6244 Depth=2
	v_and_b32_e32 v32, 7, v30
	v_lshrrev_b32_e32 v39, 3, v37
	v_cmp_gt_u32_e32 vcc, 8, v37
	v_ffbh_u32_e32 v37, v32
	v_min_u32_e32 v52, 32, v37
	v_subrev_u32_e32 v37, 28, v52
	v_lshlrev_b64 v[37:38], v37, v[30:31]
	v_sub_u32_e32 v30, 29, v52
	v_and_b32_e32 v37, 7, v37
	v_cndmask_b32_e32 v30, v39, v30, vcc
	v_cndmask_b32_e32 v32, v32, v37, vcc
	v_lshlrev_b32_e32 v2, 16, v2
	v_lshlrev_b32_e32 v32, 20, v32
	v_and_b32_e32 v2, 0x80000000, v2
	v_lshl_add_u32 v30, v30, 23, v62
	v_or3_b32 v32, v2, v30, v32
.LBB6_7804:                             ;   in Loop: Header=BB6_6244 Depth=2
	s_or_b64 exec, exec, s[78:79]
.LBB6_7805:                             ;   in Loop: Header=BB6_6244 Depth=2
	s_or_b64 exec, exec, s[76:77]
.LBB6_7806:                             ;   in Loop: Header=BB6_6244 Depth=2
	s_or_b64 exec, exec, s[18:19]
	v_lshrrev_b16_e32 v30, 8, v23
	v_cmp_ne_u16_e32 vcc, 0, v30
	s_and_saveexec_b64 s[18:19], vcc
	s_cbranch_execz .LBB6_7812
; %bb.7807:                             ;   in Loop: Header=BB6_6244 Depth=2
	v_cmp_ne_u16_e32 vcc, s50, v30
	v_bfrev_b32_e32 v31, 1
	s_and_saveexec_b64 s[76:77], vcc
	s_cbranch_execz .LBB6_7811
; %bb.7808:                             ;   in Loop: Header=BB6_6244 Depth=2
	v_and_b32_e32 v2, 0x7f, v30
	v_cmp_ne_u32_e32 vcc, s39, v2
	v_mov_b32_e32 v31, 0x7f800001
	s_and_saveexec_b64 s[78:79], vcc
	s_cbranch_execz .LBB6_7810
; %bb.7809:                             ;   in Loop: Header=BB6_6244 Depth=2
	v_and_b32_e32 v37, 7, v30
	v_lshrrev_b32_e32 v38, 3, v2
	v_cmp_gt_u32_e32 vcc, 8, v2
	v_ffbh_u32_e32 v2, v37
	v_min_u32_e32 v2, 32, v2
	v_subrev_u32_e32 v31, 28, v2
	v_lshlrev_b64 v[30:31], v31, v[30:31]
	v_sub_u32_e32 v2, 29, v2
	v_and_b32_e32 v30, 7, v30
	v_cndmask_b32_e32 v2, v38, v2, vcc
	v_cndmask_b32_e32 v30, v37, v30, vcc
	v_lshlrev_b32_e32 v31, 16, v23
	v_lshlrev_b32_e32 v30, 20, v30
	v_and_b32_e32 v31, 0x80000000, v31
	v_lshl_add_u32 v2, v2, 23, v62
	v_or3_b32 v31, v31, v2, v30
.LBB6_7810:                             ;   in Loop: Header=BB6_6244 Depth=2
	s_or_b64 exec, exec, s[78:79]
.LBB6_7811:                             ;   in Loop: Header=BB6_6244 Depth=2
	s_or_b64 exec, exec, s[76:77]
.LBB6_7812:                             ;   in Loop: Header=BB6_6244 Depth=2
	s_or_b64 exec, exec, s[18:19]
	v_add_f32_e32 v30, v32, v31
	v_and_b32_e32 v31, 0x7f800000, v30
	v_mov_b32_e32 v32, v51
	v_cmp_ne_u64_e32 vcc, s[46:47], v[31:32]
                                        ; implicit-def: $vgpr2
                                        ; kill: killed $vgpr2
	s_and_saveexec_b64 s[18:19], vcc
	s_xor_b64 s[76:77], exec, s[18:19]
	s_cbranch_execz .LBB6_7826
; %bb.7813:                             ;   in Loop: Header=BB6_6244 Depth=2
	v_and_b32_e32 v31, 0x7fffffff, v30
	v_mov_b32_e32 v32, v51
	v_cmp_gt_u64_e32 vcc, s[56:57], v[31:32]
	v_and_b32_sdwa v2, v30, s50 dst_sel:DWORD dst_unused:UNUSED_PAD src0_sel:BYTE_3 src1_sel:DWORD
                                        ; implicit-def: $vgpr31
                                        ; kill: killed $vgpr31
	s_and_saveexec_b64 s[18:19], vcc
	s_xor_b64 s[78:79], exec, s[18:19]
	s_cbranch_execz .LBB6_7823
; %bb.7814:                             ;   in Loop: Header=BB6_6244 Depth=2
	v_mov_b32_e32 v31, 0
	v_cmp_ne_u32_e32 vcc, 0, v30
	buffer_store_dword v31, off, s[0:3], s33 offset:168 ; 4-byte Folded Spill
	s_and_saveexec_b64 s[88:89], vcc
	s_cbranch_execz .LBB6_7822
; %bb.7815:                             ;   in Loop: Header=BB6_6244 Depth=2
	v_and_b32_e32 v32, 0x7fffff, v30
	v_bfe_u32 v30, v30, 23, 8
	v_cmp_gt_u32_e64 s[18:19], s51, v30
	v_sub_u32_e32 v31, 0x79, v30
	v_cmp_eq_u32_e32 vcc, 0, v30
	v_cndmask_b32_e64 v31, 0, v31, s[18:19]
	v_mov_b32_e32 v38, 0x78
	v_or_b32_e32 v37, 0x800000, v32
	v_cndmask_b32_e32 v31, v31, v38, vcc
	v_cndmask_b32_e32 v37, v37, v32, vcc
	v_add_u32_e32 v32, 20, v31
	v_lshlrev_b64 v[52:53], v32, -1
	v_add_u32_e32 v32, 19, v31
	v_lshlrev_b64 v[57:58], v32, 1
	v_mov_b32_e32 v38, v51
	v_bfi_b32 v53, v53, 0, 0
	v_bfi_b32 v52, v52, 0, v37
	v_cmp_eq_u64_e64 s[18:19], v[52:53], v[57:58]
	v_lshrrev_b64 v[57:58], v31, v[37:38]
	v_mov_b32_e32 v59, v58
	v_mov_b32_e32 v58, v57
	s_and_saveexec_b64 s[90:91], s[18:19]
; %bb.7816:                             ;   in Loop: Header=BB6_6244 Depth=2
	v_bfe_u32 v32, v57, 20, 1
	v_add_co_u32_e64 v32, s[18:19], v57, v32
	v_add_co_u32_e64 v58, s[18:19], -1, v32
; %bb.7817:                             ;   in Loop: Header=BB6_6244 Depth=2
	s_or_b64 exec, exec, s[90:91]
	v_add_u32_e32 v30, 0xffffff81, v30
	v_mov_b32_e32 v32, 0xffffff82
	v_cndmask_b32_e32 v30, v30, v32, vcc
	v_lshrrev_b32_e32 v32, 23, v57
	v_add3_u32 v32, v31, v30, v32
	v_add_u32_e32 v31, 6, v32
	v_and_b32_e32 v30, 0xfffff, v58
	v_add_u32_e32 v57, v30, v57
	v_mov_b32_e32 v58, v51
	v_cmp_ne_u32_e32 vcc, 0, v31
                                        ; implicit-def: $vgpr30
	s_and_saveexec_b64 s[18:19], vcc
	s_xor_b64 s[18:19], exec, s[18:19]
; %bb.7818:                             ;   in Loop: Header=BB6_6244 Depth=2
	v_cmp_lt_u64_e32 vcc, s[58:59], v[57:58]
	v_add_u32_e32 v30, 7, v32
	v_cndmask_b32_e32 v30, v31, v30, vcc
	v_cndmask_b32_e64 v31, 0, 1, vcc
	v_lshrrev_b64 v[57:58], v31, v[57:58]
; %bb.7819:                             ;   in Loop: Header=BB6_6244 Depth=2
	s_andn2_saveexec_b64 s[18:19], s[18:19]
; %bb.7820:                             ;   in Loop: Header=BB6_6244 Depth=2
	v_bfe_u32 v30, v57, 23, 1
; %bb.7821:                             ;   in Loop: Header=BB6_6244 Depth=2
	s_or_b64 exec, exec, s[18:19]
	v_lshrrev_b64 v[31:32], 20, v[57:58]
	v_cmp_gt_i32_e32 vcc, 16, v30
	v_cndmask_b32_e32 v32, 0, v32, vcc
	v_cndmask_b32_e32 v31, 7, v31, vcc
	v_cmp_eq_u32_e32 vcc, 0, v30
	v_min_i32_e32 v30, 15, v30
	v_cmp_eq_u64_e64 s[18:19], 0, v[31:32]
	v_lshlrev_b32_e32 v30, 3, v30
	v_and_b32_e32 v30, 0xf8, v30
	v_and_or_b32 v30, v31, 7, v30
	s_and_b64 s[18:19], vcc, s[18:19]
	v_cndmask_b32_e64 v30, v30, 0, s[18:19]
	v_or_b32_e32 v2, v30, v2
	buffer_store_dword v2, off, s[0:3], s33 offset:168 ; 4-byte Folded Spill
.LBB6_7822:                             ;   in Loop: Header=BB6_6244 Depth=2
	s_or_b64 exec, exec, s[88:89]
                                        ; implicit-def: $vgpr2
.LBB6_7823:                             ;   in Loop: Header=BB6_6244 Depth=2
	s_andn2_saveexec_b64 s[18:19], s[78:79]
	s_cbranch_execz .LBB6_7825
; %bb.7824:                             ;   in Loop: Header=BB6_6244 Depth=2
	v_or_b32_e32 v2, 0x7e, v2
	buffer_store_dword v2, off, s[0:3], s33 offset:168 ; 4-byte Folded Spill
.LBB6_7825:                             ;   in Loop: Header=BB6_6244 Depth=2
	s_or_b64 exec, exec, s[18:19]
                                        ; implicit-def: $vgpr30
.LBB6_7826:                             ;   in Loop: Header=BB6_6244 Depth=2
	s_andn2_saveexec_b64 s[18:19], s[76:77]
	s_cbranch_execz .LBB6_7828
; %bb.7827:                             ;   in Loop: Header=BB6_6244 Depth=2
	v_or_b32_sdwa v2, v30, s39 dst_sel:DWORD dst_unused:UNUSED_PAD src0_sel:BYTE_3 src1_sel:DWORD
	buffer_store_dword v2, off, s[0:3], s33 offset:168 ; 4-byte Folded Spill
.LBB6_7828:                             ;   in Loop: Header=BB6_6244 Depth=2
	s_or_b64 exec, exec, s[18:19]
	v_lshrrev_b32_e32 v30, 16, v50
	v_cmp_ne_u16_sdwa s[76:77], v30, v51 src0_sel:BYTE_0 src1_sel:DWORD
	v_mov_b32_e32 v2, 0
	v_mov_b32_e32 v31, 0
	s_and_saveexec_b64 s[18:19], s[76:77]
	s_cbranch_execz .LBB6_7834
; %bb.7829:                             ;   in Loop: Header=BB6_6244 Depth=2
	v_cmp_ne_u16_sdwa s[78:79], v30, s50 src0_sel:BYTE_0 src1_sel:DWORD
	v_bfrev_b32_e32 v31, 1
	s_and_saveexec_b64 s[76:77], s[78:79]
	s_cbranch_execz .LBB6_7833
; %bb.7830:                             ;   in Loop: Header=BB6_6244 Depth=2
	v_bfe_u32 v32, v50, 16, 7
	v_cmp_ne_u32_e32 vcc, s39, v32
	v_mov_b32_e32 v31, 0x7f800001
	s_and_saveexec_b64 s[78:79], vcc
	s_cbranch_execz .LBB6_7832
; %bb.7831:                             ;   in Loop: Header=BB6_6244 Depth=2
	v_and_b32_e32 v37, 7, v30
	v_ffbh_u32_e32 v31, v37
	v_min_u32_e32 v39, 32, v31
	v_subrev_u32_e32 v31, 28, v39
	v_lshrrev_b32_e32 v38, 3, v32
	v_cmp_gt_u32_e32 vcc, 8, v32
	v_lshlrev_b64 v[31:32], v31, v[30:31]
	v_sub_u32_e32 v32, 29, v39
	v_and_b32_e32 v31, 7, v31
	v_cndmask_b32_e32 v32, v38, v32, vcc
	v_cndmask_b32_e32 v31, v37, v31, vcc
	v_lshlrev_b32_e32 v30, 24, v30
	v_lshlrev_b32_e32 v31, 20, v31
	v_and_b32_e32 v30, 0x80000000, v30
	v_lshl_add_u32 v32, v32, 23, v62
	v_or3_b32 v31, v30, v32, v31
.LBB6_7832:                             ;   in Loop: Header=BB6_6244 Depth=2
	s_or_b64 exec, exec, s[78:79]
.LBB6_7833:                             ;   in Loop: Header=BB6_6244 Depth=2
	s_or_b64 exec, exec, s[76:77]
.LBB6_7834:                             ;   in Loop: Header=BB6_6244 Depth=2
	s_or_b64 exec, exec, s[18:19]
	v_lshrrev_b32_e32 v30, 16, v23
	v_cmp_ne_u16_sdwa s[76:77], v30, v51 src0_sel:BYTE_0 src1_sel:DWORD
	s_and_saveexec_b64 s[18:19], s[76:77]
	s_cbranch_execz .LBB6_7840
; %bb.7835:                             ;   in Loop: Header=BB6_6244 Depth=2
	v_cmp_ne_u16_sdwa s[78:79], v30, s50 src0_sel:BYTE_0 src1_sel:DWORD
	v_bfrev_b32_e32 v2, 1
	s_and_saveexec_b64 s[76:77], s[78:79]
	s_cbranch_execz .LBB6_7839
; %bb.7836:                             ;   in Loop: Header=BB6_6244 Depth=2
	v_bfe_u32 v32, v23, 16, 7
	v_cmp_ne_u32_e32 vcc, s39, v32
	v_mov_b32_e32 v2, 0x7f800001
	s_and_saveexec_b64 s[78:79], vcc
	s_cbranch_execz .LBB6_7838
; %bb.7837:                             ;   in Loop: Header=BB6_6244 Depth=2
	v_and_b32_e32 v2, 7, v30
	v_lshrrev_b32_e32 v39, 3, v32
	v_cmp_gt_u32_e32 vcc, 8, v32
	v_ffbh_u32_e32 v32, v2
	v_min_u32_e32 v32, 32, v32
	v_subrev_u32_e32 v37, 28, v32
	v_lshlrev_b64 v[37:38], v37, v[30:31]
	v_sub_u32_e32 v30, 29, v32
	v_and_b32_e32 v32, 7, v37
	v_cndmask_b32_e32 v30, v39, v30, vcc
	v_cndmask_b32_e32 v2, v2, v32, vcc
	v_lshlrev_b32_e32 v32, 8, v23
	v_lshlrev_b32_e32 v2, 20, v2
	v_and_b32_e32 v32, 0x80000000, v32
	v_lshl_add_u32 v30, v30, 23, v62
	v_or3_b32 v2, v32, v30, v2
.LBB6_7838:                             ;   in Loop: Header=BB6_6244 Depth=2
	s_or_b64 exec, exec, s[78:79]
.LBB6_7839:                             ;   in Loop: Header=BB6_6244 Depth=2
	s_or_b64 exec, exec, s[76:77]
.LBB6_7840:                             ;   in Loop: Header=BB6_6244 Depth=2
	s_or_b64 exec, exec, s[18:19]
	v_add_f32_e32 v30, v31, v2
	v_and_b32_e32 v31, 0x7f800000, v30
	v_mov_b32_e32 v32, v51
	v_cmp_ne_u64_e32 vcc, s[46:47], v[31:32]
                                        ; implicit-def: $vgpr2
                                        ; kill: killed $vgpr2
	s_and_saveexec_b64 s[18:19], vcc
	s_xor_b64 s[76:77], exec, s[18:19]
	s_cbranch_execz .LBB6_7854
; %bb.7841:                             ;   in Loop: Header=BB6_6244 Depth=2
	v_and_b32_e32 v31, 0x7fffffff, v30
	v_mov_b32_e32 v32, v51
	v_cmp_gt_u64_e32 vcc, s[56:57], v[31:32]
	v_and_b32_sdwa v2, v30, s50 dst_sel:DWORD dst_unused:UNUSED_PAD src0_sel:BYTE_3 src1_sel:DWORD
                                        ; implicit-def: $vgpr31
                                        ; kill: killed $vgpr31
	s_and_saveexec_b64 s[18:19], vcc
	s_xor_b64 s[78:79], exec, s[18:19]
	s_cbranch_execz .LBB6_7851
; %bb.7842:                             ;   in Loop: Header=BB6_6244 Depth=2
	v_mov_b32_e32 v31, 0
	v_cmp_ne_u32_e32 vcc, 0, v30
	buffer_store_dword v31, off, s[0:3], s33 offset:196 ; 4-byte Folded Spill
	s_and_saveexec_b64 s[88:89], vcc
	s_cbranch_execz .LBB6_7850
; %bb.7843:                             ;   in Loop: Header=BB6_6244 Depth=2
	v_and_b32_e32 v32, 0x7fffff, v30
	v_bfe_u32 v30, v30, 23, 8
	v_cmp_gt_u32_e64 s[18:19], s51, v30
	v_sub_u32_e32 v31, 0x79, v30
	v_cmp_eq_u32_e32 vcc, 0, v30
	v_cndmask_b32_e64 v31, 0, v31, s[18:19]
	v_mov_b32_e32 v38, 0x78
	v_or_b32_e32 v37, 0x800000, v32
	v_cndmask_b32_e32 v31, v31, v38, vcc
	v_cndmask_b32_e32 v37, v37, v32, vcc
	v_add_u32_e32 v32, 20, v31
	v_lshlrev_b64 v[52:53], v32, -1
	v_add_u32_e32 v32, 19, v31
	v_lshlrev_b64 v[57:58], v32, 1
	v_mov_b32_e32 v38, v51
	v_bfi_b32 v53, v53, 0, 0
	v_bfi_b32 v52, v52, 0, v37
	v_cmp_eq_u64_e64 s[18:19], v[52:53], v[57:58]
	v_lshrrev_b64 v[57:58], v31, v[37:38]
	v_mov_b32_e32 v59, v58
	v_mov_b32_e32 v58, v57
	s_and_saveexec_b64 s[90:91], s[18:19]
; %bb.7844:                             ;   in Loop: Header=BB6_6244 Depth=2
	v_bfe_u32 v32, v57, 20, 1
	v_add_co_u32_e64 v32, s[18:19], v57, v32
	v_add_co_u32_e64 v58, s[18:19], -1, v32
; %bb.7845:                             ;   in Loop: Header=BB6_6244 Depth=2
	s_or_b64 exec, exec, s[90:91]
	v_add_u32_e32 v30, 0xffffff81, v30
	v_mov_b32_e32 v32, 0xffffff82
	v_cndmask_b32_e32 v30, v30, v32, vcc
	v_lshrrev_b32_e32 v32, 23, v57
	v_add3_u32 v32, v31, v30, v32
	v_add_u32_e32 v31, 6, v32
	v_and_b32_e32 v30, 0xfffff, v58
	v_add_u32_e32 v57, v30, v57
	v_mov_b32_e32 v58, v51
	v_cmp_ne_u32_e32 vcc, 0, v31
                                        ; implicit-def: $vgpr30
	s_and_saveexec_b64 s[18:19], vcc
	s_xor_b64 s[18:19], exec, s[18:19]
; %bb.7846:                             ;   in Loop: Header=BB6_6244 Depth=2
	v_cmp_lt_u64_e32 vcc, s[58:59], v[57:58]
	v_add_u32_e32 v30, 7, v32
	v_cndmask_b32_e32 v30, v31, v30, vcc
	v_cndmask_b32_e64 v31, 0, 1, vcc
	v_lshrrev_b64 v[57:58], v31, v[57:58]
; %bb.7847:                             ;   in Loop: Header=BB6_6244 Depth=2
	s_andn2_saveexec_b64 s[18:19], s[18:19]
; %bb.7848:                             ;   in Loop: Header=BB6_6244 Depth=2
	v_bfe_u32 v30, v57, 23, 1
; %bb.7849:                             ;   in Loop: Header=BB6_6244 Depth=2
	s_or_b64 exec, exec, s[18:19]
	v_lshrrev_b64 v[31:32], 20, v[57:58]
	v_cmp_gt_i32_e32 vcc, 16, v30
	v_cndmask_b32_e32 v32, 0, v32, vcc
	v_cndmask_b32_e32 v31, 7, v31, vcc
	v_cmp_eq_u32_e32 vcc, 0, v30
	v_min_i32_e32 v30, 15, v30
	v_cmp_eq_u64_e64 s[18:19], 0, v[31:32]
	v_lshlrev_b32_e32 v30, 3, v30
	v_and_b32_e32 v30, 0xf8, v30
	v_and_or_b32 v30, v31, 7, v30
	s_and_b64 s[18:19], vcc, s[18:19]
	v_cndmask_b32_e64 v30, v30, 0, s[18:19]
	v_or_b32_e32 v2, v30, v2
	buffer_store_dword v2, off, s[0:3], s33 offset:196 ; 4-byte Folded Spill
.LBB6_7850:                             ;   in Loop: Header=BB6_6244 Depth=2
	s_or_b64 exec, exec, s[88:89]
                                        ; implicit-def: $vgpr2
.LBB6_7851:                             ;   in Loop: Header=BB6_6244 Depth=2
	s_andn2_saveexec_b64 s[18:19], s[78:79]
	s_cbranch_execz .LBB6_7853
; %bb.7852:                             ;   in Loop: Header=BB6_6244 Depth=2
	v_or_b32_e32 v2, 0x7e, v2
	buffer_store_dword v2, off, s[0:3], s33 offset:196 ; 4-byte Folded Spill
.LBB6_7853:                             ;   in Loop: Header=BB6_6244 Depth=2
	s_or_b64 exec, exec, s[18:19]
                                        ; implicit-def: $vgpr30
.LBB6_7854:                             ;   in Loop: Header=BB6_6244 Depth=2
	s_andn2_saveexec_b64 s[18:19], s[76:77]
	s_cbranch_execz .LBB6_7856
; %bb.7855:                             ;   in Loop: Header=BB6_6244 Depth=2
	v_or_b32_sdwa v2, v30, s39 dst_sel:DWORD dst_unused:UNUSED_PAD src0_sel:BYTE_3 src1_sel:DWORD
	buffer_store_dword v2, off, s[0:3], s33 offset:196 ; 4-byte Folded Spill
.LBB6_7856:                             ;   in Loop: Header=BB6_6244 Depth=2
	s_or_b64 exec, exec, s[18:19]
	v_cmp_lt_u32_e32 vcc, s61, v50
	v_mov_b32_e32 v2, 0
	v_mov_b32_e32 v31, 0
	s_and_saveexec_b64 s[18:19], vcc
	s_cbranch_execz .LBB6_7862
; %bb.7857:                             ;   in Loop: Header=BB6_6244 Depth=2
	v_lshrrev_b32_e32 v30, 24, v50
	v_cmp_ne_u32_sdwa s[78:79], v50, s50 src0_sel:BYTE_3 src1_sel:DWORD
	v_bfrev_b32_e32 v31, 1
	s_and_saveexec_b64 s[76:77], s[78:79]
	s_cbranch_execz .LBB6_7861
; %bb.7858:                             ;   in Loop: Header=BB6_6244 Depth=2
	v_bfe_u32 v32, v50, 24, 7
	v_cmp_ne_u32_e32 vcc, s39, v32
	v_mov_b32_e32 v31, 0x7f800001
	s_and_saveexec_b64 s[78:79], vcc
	s_cbranch_execz .LBB6_7860
; %bb.7859:                             ;   in Loop: Header=BB6_6244 Depth=2
	v_and_b32_e32 v37, 7, v30
	v_ffbh_u32_e32 v31, v37
	v_lshrrev_b32_e32 v38, 3, v32
	v_cmp_gt_u32_e32 vcc, 8, v32
	v_min_u32_e32 v32, 32, v31
	v_subrev_u32_e32 v31, 28, v32
	v_lshlrev_b64 v[30:31], v31, v[30:31]
	v_sub_u32_e32 v31, 29, v32
	v_and_b32_e32 v30, 7, v30
	v_mov_b32_e32 v32, 24
	v_cndmask_b32_e32 v31, v38, v31, vcc
	v_cndmask_b32_e32 v30, v37, v30, vcc
	v_lshlrev_b32_sdwa v32, v32, v50 dst_sel:DWORD dst_unused:UNUSED_PAD src0_sel:DWORD src1_sel:BYTE_3
	v_lshlrev_b32_e32 v30, 20, v30
	v_and_b32_e32 v32, 0x80000000, v32
	v_lshl_add_u32 v31, v31, 23, v62
	v_or3_b32 v31, v32, v31, v30
.LBB6_7860:                             ;   in Loop: Header=BB6_6244 Depth=2
	s_or_b64 exec, exec, s[78:79]
.LBB6_7861:                             ;   in Loop: Header=BB6_6244 Depth=2
	s_or_b64 exec, exec, s[76:77]
.LBB6_7862:                             ;   in Loop: Header=BB6_6244 Depth=2
	s_or_b64 exec, exec, s[18:19]
	v_cmp_lt_u64_e32 vcc, s[60:61], v[22:23]
	s_and_saveexec_b64 s[18:19], vcc
	s_cbranch_execz .LBB6_7868
; %bb.7863:                             ;   in Loop: Header=BB6_6244 Depth=2
	v_lshrrev_b32_e32 v22, 24, v23
	v_cmp_ne_u32_e32 vcc, s50, v22
	v_bfrev_b32_e32 v2, 1
	s_and_saveexec_b64 s[76:77], vcc
	s_cbranch_execz .LBB6_7867
; %bb.7864:                             ;   in Loop: Header=BB6_6244 Depth=2
	v_bfe_u32 v23, v23, 24, 7
	v_cmp_ne_u32_e32 vcc, s39, v23
	v_mov_b32_e32 v2, 0x7f800001
	s_and_saveexec_b64 s[78:79], vcc
	s_cbranch_execz .LBB6_7866
; %bb.7865:                             ;   in Loop: Header=BB6_6244 Depth=2
	v_and_b32_e32 v2, 7, v22
	v_lshrrev_b32_e32 v30, 3, v23
	v_cmp_gt_u32_e32 vcc, 8, v23
	v_ffbh_u32_e32 v23, v2
	v_min_u32_e32 v23, 32, v23
	v_subrev_u32_e32 v32, 28, v23
	v_lshlrev_b64 v[37:38], v32, v[22:23]
	v_sub_u32_e32 v23, 29, v23
	v_and_b32_e32 v32, 7, v37
	v_cndmask_b32_e32 v23, v30, v23, vcc
	v_cndmask_b32_e32 v2, v2, v32, vcc
	v_lshlrev_b32_e32 v22, 24, v22
	v_lshlrev_b32_e32 v2, 20, v2
	v_and_b32_e32 v22, 0x80000000, v22
	v_lshl_add_u32 v23, v23, 23, v62
	v_or3_b32 v2, v22, v23, v2
.LBB6_7866:                             ;   in Loop: Header=BB6_6244 Depth=2
	s_or_b64 exec, exec, s[78:79]
.LBB6_7867:                             ;   in Loop: Header=BB6_6244 Depth=2
	s_or_b64 exec, exec, s[76:77]
.LBB6_7868:                             ;   in Loop: Header=BB6_6244 Depth=2
	s_or_b64 exec, exec, s[18:19]
	v_add_f32_e32 v22, v31, v2
	v_and_b32_e32 v50, 0x7f800000, v22
	v_cmp_ne_u64_e32 vcc, s[46:47], v[50:51]
                                        ; implicit-def: $vgpr2
                                        ; kill: killed $vgpr2
	s_and_saveexec_b64 s[18:19], vcc
	s_xor_b64 s[76:77], exec, s[18:19]
	s_cbranch_execz .LBB6_7882
; %bb.7869:                             ;   in Loop: Header=BB6_6244 Depth=2
	v_and_b32_e32 v50, 0x7fffffff, v22
	v_cmp_gt_u64_e32 vcc, s[56:57], v[50:51]
	v_and_b32_sdwa v2, v22, s50 dst_sel:DWORD dst_unused:UNUSED_PAD src0_sel:BYTE_3 src1_sel:DWORD
                                        ; implicit-def: $vgpr23
                                        ; kill: killed $vgpr23
	s_and_saveexec_b64 s[18:19], vcc
	s_xor_b64 s[78:79], exec, s[18:19]
	s_cbranch_execz .LBB6_7879
; %bb.7870:                             ;   in Loop: Header=BB6_6244 Depth=2
	v_mov_b32_e32 v23, 0
	v_cmp_ne_u32_e32 vcc, 0, v22
	buffer_store_dword v23, off, s[0:3], s33 offset:220 ; 4-byte Folded Spill
	s_and_saveexec_b64 s[88:89], vcc
	s_cbranch_execz .LBB6_7878
; %bb.7871:                             ;   in Loop: Header=BB6_6244 Depth=2
	v_bfe_u32 v30, v22, 23, 8
	v_and_b32_e32 v23, 0x7fffff, v22
	v_cmp_gt_u32_e64 s[18:19], s51, v30
	v_sub_u32_e32 v22, 0x79, v30
	v_cmp_eq_u32_e32 vcc, 0, v30
	v_cndmask_b32_e64 v22, 0, v22, s[18:19]
	v_mov_b32_e32 v31, 0x78
	v_cndmask_b32_e32 v31, v22, v31, vcc
	v_or_b32_e32 v32, 0x800000, v23
	v_add_u32_e32 v22, 20, v31
	v_cndmask_b32_e32 v50, v32, v23, vcc
	v_lshlrev_b64 v[22:23], v22, -1
	v_add_u32_e32 v32, 19, v31
	v_lshlrev_b64 v[37:38], v32, 1
	v_bfi_b32 v23, v23, 0, 0
	v_bfi_b32 v22, v22, 0, v50
	v_cmp_eq_u64_e64 s[18:19], v[22:23], v[37:38]
	v_lshrrev_b64 v[22:23], v31, v[50:51]
	v_mov_b32_e32 v58, v23
	v_mov_b32_e32 v57, v22
	s_and_saveexec_b64 s[90:91], s[18:19]
; %bb.7872:                             ;   in Loop: Header=BB6_6244 Depth=2
	v_bfe_u32 v23, v22, 20, 1
	v_add_co_u32_e64 v23, s[18:19], v22, v23
	v_add_co_u32_e64 v57, s[18:19], -1, v23
; %bb.7873:                             ;   in Loop: Header=BB6_6244 Depth=2
	s_or_b64 exec, exec, s[90:91]
	v_add_u32_e32 v23, 0xffffff81, v30
	v_mov_b32_e32 v30, 0xffffff82
	v_cndmask_b32_e32 v23, v23, v30, vcc
	v_lshrrev_b32_e32 v30, 23, v22
	v_add3_u32 v32, v31, v23, v30
	v_add_u32_e32 v31, 6, v32
	v_and_b32_e32 v23, 0xfffff, v57
	v_add_u32_e32 v50, v23, v22
	v_cmp_ne_u32_e32 vcc, 0, v31
                                        ; implicit-def: $vgpr22_vgpr23
                                        ; implicit-def: $vgpr30
	s_and_saveexec_b64 s[18:19], vcc
	s_xor_b64 s[18:19], exec, s[18:19]
; %bb.7874:                             ;   in Loop: Header=BB6_6244 Depth=2
	v_cmp_lt_u64_e32 vcc, s[58:59], v[50:51]
	v_add_u32_e32 v22, 7, v32
	v_cndmask_b32_e32 v30, v31, v22, vcc
	v_cndmask_b32_e64 v22, 0, 1, vcc
	v_lshrrev_b64 v[22:23], v22, v[50:51]
; %bb.7875:                             ;   in Loop: Header=BB6_6244 Depth=2
	s_andn2_saveexec_b64 s[18:19], s[18:19]
; %bb.7876:                             ;   in Loop: Header=BB6_6244 Depth=2
	v_mov_b32_e32 v22, v50
	v_bfe_u32 v30, v50, 23, 1
	v_mov_b32_e32 v23, v51
; %bb.7877:                             ;   in Loop: Header=BB6_6244 Depth=2
	s_or_b64 exec, exec, s[18:19]
	v_lshrrev_b64 v[22:23], 20, v[22:23]
	v_cmp_gt_i32_e32 vcc, 16, v30
	v_cndmask_b32_e32 v23, 0, v23, vcc
	v_cndmask_b32_e32 v22, 7, v22, vcc
	v_cmp_eq_u64_e64 s[18:19], 0, v[22:23]
	v_min_i32_e32 v23, 15, v30
	v_lshlrev_b32_e32 v23, 3, v23
	v_cmp_eq_u32_e32 vcc, 0, v30
	v_and_b32_e32 v23, 0xf8, v23
	v_and_or_b32 v22, v22, 7, v23
	s_and_b64 s[18:19], vcc, s[18:19]
	v_cndmask_b32_e64 v22, v22, 0, s[18:19]
	v_or_b32_e32 v2, v22, v2
	buffer_store_dword v2, off, s[0:3], s33 offset:220 ; 4-byte Folded Spill
.LBB6_7878:                             ;   in Loop: Header=BB6_6244 Depth=2
	s_or_b64 exec, exec, s[88:89]
                                        ; implicit-def: $vgpr2
.LBB6_7879:                             ;   in Loop: Header=BB6_6244 Depth=2
	s_andn2_saveexec_b64 s[18:19], s[78:79]
	s_cbranch_execz .LBB6_7881
; %bb.7880:                             ;   in Loop: Header=BB6_6244 Depth=2
	v_or_b32_e32 v2, 0x7e, v2
	buffer_store_dword v2, off, s[0:3], s33 offset:220 ; 4-byte Folded Spill
.LBB6_7881:                             ;   in Loop: Header=BB6_6244 Depth=2
	s_or_b64 exec, exec, s[18:19]
                                        ; implicit-def: $vgpr22
.LBB6_7882:                             ;   in Loop: Header=BB6_6244 Depth=2
	s_andn2_saveexec_b64 s[18:19], s[76:77]
	s_cbranch_execz .LBB6_7884
; %bb.7883:                             ;   in Loop: Header=BB6_6244 Depth=2
	v_or_b32_sdwa v2, v22, s39 dst_sel:DWORD dst_unused:UNUSED_PAD src0_sel:BYTE_3 src1_sel:DWORD
	buffer_store_dword v2, off, s[0:3], s33 offset:220 ; 4-byte Folded Spill
.LBB6_7884:                             ;   in Loop: Header=BB6_6244 Depth=2
	s_or_b64 exec, exec, s[18:19]
	v_lshl_or_b32 v2, v43, 8, v3
	v_lshlrev_b32_e32 v7, 16, v7
	v_lshlrev_b32_e32 v22, 24, v33
	v_or3_b32 v50, v7, v22, v2
	v_cmp_ne_u32_e32 vcc, 0, v3
	v_mov_b32_e32 v7, 0
	v_mov_b32_e32 v22, 0
	s_and_saveexec_b64 s[18:19], vcc
	s_cbranch_execz .LBB6_7890
; %bb.7885:                             ;   in Loop: Header=BB6_6244 Depth=2
	v_cmp_ne_u32_e32 vcc, s50, v3
	v_bfrev_b32_e32 v22, 1
	s_and_saveexec_b64 s[76:77], vcc
	s_cbranch_execz .LBB6_7889
; %bb.7886:                             ;   in Loop: Header=BB6_6244 Depth=2
	v_and_b32_e32 v23, 0x7f, v3
	v_cmp_ne_u32_e32 vcc, s39, v23
	v_mov_b32_e32 v22, 0x7f800001
	s_and_saveexec_b64 s[78:79], vcc
	s_cbranch_execz .LBB6_7888
; %bb.7887:                             ;   in Loop: Header=BB6_6244 Depth=2
	v_and_b32_e32 v3, 7, v3
	v_ffbh_u32_e32 v3, v3
	v_min_u32_e32 v3, 32, v3
	v_lshrrev_b32_e32 v22, 3, v23
	v_cmp_gt_u32_e32 vcc, 8, v23
	v_subrev_u32_e32 v23, 28, v3
	v_sub_u32_e32 v3, 29, v3
	v_cndmask_b32_e32 v3, v22, v3, vcc
	v_cndmask_b32_e32 v22, 0, v23, vcc
	v_lshlrev_b64 v[22:23], v22, v[50:51]
	v_lshlrev_b32_e32 v23, 24, v50
	v_lshlrev_b32_e32 v22, 20, v22
	v_and_b32_e32 v22, 0x700000, v22
	v_and_b32_e32 v23, 0x80000000, v23
	v_lshl_add_u32 v3, v3, 23, v62
	v_or3_b32 v22, v23, v3, v22
.LBB6_7888:                             ;   in Loop: Header=BB6_6244 Depth=2
	s_or_b64 exec, exec, s[78:79]
.LBB6_7889:                             ;   in Loop: Header=BB6_6244 Depth=2
	s_or_b64 exec, exec, s[76:77]
.LBB6_7890:                             ;   in Loop: Header=BB6_6244 Depth=2
	s_or_b64 exec, exec, s[18:19]
	v_cmp_ne_u16_sdwa s[76:77], v24, v51 src0_sel:BYTE_0 src1_sel:DWORD
	s_and_saveexec_b64 s[18:19], s[76:77]
	s_cbranch_execz .LBB6_7896
; %bb.7891:                             ;   in Loop: Header=BB6_6244 Depth=2
	v_cmp_ne_u16_sdwa s[78:79], v24, s50 src0_sel:BYTE_0 src1_sel:DWORD
	v_bfrev_b32_e32 v7, 1
	s_and_saveexec_b64 s[76:77], s[78:79]
	s_cbranch_execz .LBB6_7895
; %bb.7892:                             ;   in Loop: Header=BB6_6244 Depth=2
	v_and_b32_e32 v3, 0x7f, v24
	v_cmp_ne_u32_e32 vcc, s39, v3
	v_mov_b32_e32 v7, 0x7f800001
	s_and_saveexec_b64 s[78:79], vcc
	s_cbranch_execz .LBB6_7894
; %bb.7893:                             ;   in Loop: Header=BB6_6244 Depth=2
	v_and_b32_e32 v7, 7, v24
	v_lshrrev_b32_e32 v23, 3, v3
	v_cmp_gt_u32_e32 vcc, 8, v3
	v_ffbh_u32_e32 v3, v7
	v_min_u32_e32 v3, 32, v3
	v_subrev_u32_e32 v7, 28, v3
	v_cndmask_b32_e32 v7, 0, v7, vcc
	v_lshlrev_b64 v[30:31], v7, v[24:25]
	v_sub_u32_e32 v3, 29, v3
	v_cndmask_b32_e32 v3, v23, v3, vcc
	v_lshlrev_b32_e32 v7, 20, v30
	v_lshlrev_b32_e32 v23, 24, v24
	v_and_b32_e32 v7, 0x700000, v7
	v_and_b32_e32 v23, 0x80000000, v23
	v_lshl_add_u32 v3, v3, 23, v62
	v_or3_b32 v7, v23, v3, v7
.LBB6_7894:                             ;   in Loop: Header=BB6_6244 Depth=2
	s_or_b64 exec, exec, s[78:79]
.LBB6_7895:                             ;   in Loop: Header=BB6_6244 Depth=2
	s_or_b64 exec, exec, s[76:77]
.LBB6_7896:                             ;   in Loop: Header=BB6_6244 Depth=2
	s_or_b64 exec, exec, s[18:19]
	v_add_f32_e32 v7, v22, v7
	v_and_b32_e32 v22, 0x7f800000, v7
	v_mov_b32_e32 v23, v51
	v_cmp_ne_u64_e32 vcc, s[46:47], v[22:23]
                                        ; implicit-def: $vgpr3
                                        ; kill: killed $vgpr3
	s_and_saveexec_b64 s[18:19], vcc
	s_xor_b64 s[76:77], exec, s[18:19]
	s_cbranch_execz .LBB6_7910
; %bb.7897:                             ;   in Loop: Header=BB6_6244 Depth=2
	v_and_b32_e32 v22, 0x7fffffff, v7
	v_mov_b32_e32 v23, v51
	v_cmp_gt_u64_e32 vcc, s[56:57], v[22:23]
	v_and_b32_sdwa v3, v7, s50 dst_sel:DWORD dst_unused:UNUSED_PAD src0_sel:BYTE_3 src1_sel:DWORD
                                        ; implicit-def: $vgpr22
                                        ; kill: killed $vgpr22
	s_and_saveexec_b64 s[18:19], vcc
	s_xor_b64 s[78:79], exec, s[18:19]
	s_cbranch_execz .LBB6_7907
; %bb.7898:                             ;   in Loop: Header=BB6_6244 Depth=2
	v_mov_b32_e32 v22, 0
	v_cmp_ne_u32_e32 vcc, 0, v7
	buffer_store_dword v22, off, s[0:3], s33 offset:236 ; 4-byte Folded Spill
	s_and_saveexec_b64 s[88:89], vcc
	s_cbranch_execz .LBB6_7906
; %bb.7899:                             ;   in Loop: Header=BB6_6244 Depth=2
	v_and_b32_e32 v22, 0x7fffff, v7
	v_bfe_u32 v7, v7, 23, 8
	v_cmp_gt_u32_e64 s[18:19], s51, v7
	v_sub_u32_e32 v23, 0x79, v7
	v_cmp_eq_u32_e32 vcc, 0, v7
	v_cndmask_b32_e64 v23, 0, v23, s[18:19]
	v_mov_b32_e32 v30, 0x78
	v_or_b32_e32 v31, 0x800000, v22
	v_cndmask_b32_e32 v30, v23, v30, vcc
	v_cndmask_b32_e32 v22, v31, v22, vcc
	v_add_u32_e32 v31, 20, v30
	v_lshlrev_b64 v[31:32], v31, -1
	v_mov_b32_e32 v23, v51
	v_add_u32_e32 v33, 19, v30
	v_bfi_b32 v31, v31, 0, v22
	v_lshlrev_b64 v[37:38], v33, 1
	v_lshrrev_b64 v[22:23], v30, v[22:23]
	v_bfi_b32 v32, v32, 0, 0
	v_cmp_eq_u64_e64 s[18:19], v[31:32], v[37:38]
	v_mov_b32_e32 v58, v23
	v_mov_b32_e32 v57, v22
	s_and_saveexec_b64 s[90:91], s[18:19]
; %bb.7900:                             ;   in Loop: Header=BB6_6244 Depth=2
	v_bfe_u32 v23, v22, 20, 1
	v_add_co_u32_e64 v23, s[18:19], v22, v23
	v_add_co_u32_e64 v57, s[18:19], -1, v23
; %bb.7901:                             ;   in Loop: Header=BB6_6244 Depth=2
	s_or_b64 exec, exec, s[90:91]
	v_add_u32_e32 v7, 0xffffff81, v7
	v_mov_b32_e32 v23, 0xffffff82
	v_cndmask_b32_e32 v7, v7, v23, vcc
	v_lshrrev_b32_e32 v23, 23, v22
	v_add3_u32 v31, v30, v7, v23
	v_add_u32_e32 v30, 6, v31
	v_and_b32_e32 v7, 0xfffff, v57
	v_add_u32_e32 v22, v7, v22
	v_mov_b32_e32 v23, v51
	v_cmp_ne_u32_e32 vcc, 0, v30
                                        ; implicit-def: $vgpr7
	s_and_saveexec_b64 s[18:19], vcc
	s_xor_b64 s[18:19], exec, s[18:19]
; %bb.7902:                             ;   in Loop: Header=BB6_6244 Depth=2
	v_cmp_lt_u64_e32 vcc, s[58:59], v[22:23]
	v_add_u32_e32 v7, 7, v31
	v_cndmask_b32_e32 v7, v30, v7, vcc
	v_cndmask_b32_e64 v30, 0, 1, vcc
	v_lshrrev_b64 v[22:23], v30, v[22:23]
; %bb.7903:                             ;   in Loop: Header=BB6_6244 Depth=2
	s_andn2_saveexec_b64 s[18:19], s[18:19]
; %bb.7904:                             ;   in Loop: Header=BB6_6244 Depth=2
	v_bfe_u32 v7, v22, 23, 1
; %bb.7905:                             ;   in Loop: Header=BB6_6244 Depth=2
	s_or_b64 exec, exec, s[18:19]
	v_lshrrev_b64 v[22:23], 20, v[22:23]
	v_cmp_gt_i32_e32 vcc, 16, v7
	v_cndmask_b32_e32 v23, 0, v23, vcc
	v_cndmask_b32_e32 v22, 7, v22, vcc
	v_cmp_eq_u32_e32 vcc, 0, v7
	v_min_i32_e32 v7, 15, v7
	v_cmp_eq_u64_e64 s[18:19], 0, v[22:23]
	v_lshlrev_b32_e32 v7, 3, v7
	v_and_b32_e32 v7, 0xf8, v7
	v_and_or_b32 v7, v22, 7, v7
	s_and_b64 s[18:19], vcc, s[18:19]
	v_cndmask_b32_e64 v7, v7, 0, s[18:19]
	v_or_b32_e32 v3, v7, v3
	buffer_store_dword v3, off, s[0:3], s33 offset:236 ; 4-byte Folded Spill
.LBB6_7906:                             ;   in Loop: Header=BB6_6244 Depth=2
	s_or_b64 exec, exec, s[88:89]
                                        ; implicit-def: $vgpr3
.LBB6_7907:                             ;   in Loop: Header=BB6_6244 Depth=2
	s_andn2_saveexec_b64 s[18:19], s[78:79]
	s_cbranch_execz .LBB6_7909
; %bb.7908:                             ;   in Loop: Header=BB6_6244 Depth=2
	v_or_b32_e32 v3, 0x7e, v3
	buffer_store_dword v3, off, s[0:3], s33 offset:236 ; 4-byte Folded Spill
.LBB6_7909:                             ;   in Loop: Header=BB6_6244 Depth=2
	s_or_b64 exec, exec, s[18:19]
                                        ; implicit-def: $vgpr7
.LBB6_7910:                             ;   in Loop: Header=BB6_6244 Depth=2
	s_andn2_saveexec_b64 s[18:19], s[76:77]
	s_cbranch_execz .LBB6_7912
; %bb.7911:                             ;   in Loop: Header=BB6_6244 Depth=2
	v_or_b32_sdwa v3, v7, s39 dst_sel:DWORD dst_unused:UNUSED_PAD src0_sel:BYTE_3 src1_sel:DWORD
	buffer_store_dword v3, off, s[0:3], s33 offset:236 ; 4-byte Folded Spill
.LBB6_7912:                             ;   in Loop: Header=BB6_6244 Depth=2
	s_or_b64 exec, exec, s[18:19]
	v_lshrrev_b16_e32 v22, 8, v2
	v_cmp_ne_u16_e32 vcc, 0, v22
	v_mov_b32_e32 v3, 0
	v_mov_b32_e32 v7, 0
	s_and_saveexec_b64 s[18:19], vcc
	s_cbranch_execz .LBB6_7918
; %bb.7913:                             ;   in Loop: Header=BB6_6244 Depth=2
	v_cmp_ne_u16_e32 vcc, s50, v22
	v_bfrev_b32_e32 v7, 1
	s_and_saveexec_b64 s[76:77], vcc
	s_cbranch_execz .LBB6_7917
; %bb.7914:                             ;   in Loop: Header=BB6_6244 Depth=2
	v_and_b32_e32 v23, 0x7f, v22
	v_cmp_ne_u32_e32 vcc, s39, v23
	v_mov_b32_e32 v7, 0x7f800001
	s_and_saveexec_b64 s[78:79], vcc
	s_cbranch_execz .LBB6_7916
; %bb.7915:                             ;   in Loop: Header=BB6_6244 Depth=2
	v_and_b32_e32 v7, 7, v22
	v_lshrrev_b32_e32 v30, 3, v23
	v_cmp_gt_u32_e32 vcc, 8, v23
	v_ffbh_u32_e32 v23, v7
	v_min_u32_e32 v31, 32, v23
	v_subrev_u32_e32 v23, 28, v31
	v_lshlrev_b64 v[22:23], v23, v[22:23]
	v_sub_u32_e32 v23, 29, v31
	v_and_b32_e32 v22, 7, v22
	v_cndmask_b32_e32 v23, v30, v23, vcc
	v_cndmask_b32_e32 v7, v7, v22, vcc
	v_lshlrev_b32_e32 v2, 16, v2
	v_lshlrev_b32_e32 v7, 20, v7
	v_and_b32_e32 v2, 0x80000000, v2
	v_lshl_add_u32 v22, v23, 23, v62
	v_or3_b32 v7, v2, v22, v7
.LBB6_7916:                             ;   in Loop: Header=BB6_6244 Depth=2
	s_or_b64 exec, exec, s[78:79]
.LBB6_7917:                             ;   in Loop: Header=BB6_6244 Depth=2
	s_or_b64 exec, exec, s[76:77]
.LBB6_7918:                             ;   in Loop: Header=BB6_6244 Depth=2
	s_or_b64 exec, exec, s[18:19]
	v_lshrrev_b16_e32 v22, 8, v24
	v_cmp_ne_u16_e32 vcc, 0, v22
	s_and_saveexec_b64 s[18:19], vcc
	s_cbranch_execz .LBB6_7924
; %bb.7919:                             ;   in Loop: Header=BB6_6244 Depth=2
	v_cmp_ne_u16_e32 vcc, s50, v22
	v_bfrev_b32_e32 v3, 1
	s_and_saveexec_b64 s[76:77], vcc
	s_cbranch_execz .LBB6_7923
; %bb.7920:                             ;   in Loop: Header=BB6_6244 Depth=2
	v_and_b32_e32 v2, 0x7f, v22
	v_cmp_ne_u32_e32 vcc, s39, v2
	v_mov_b32_e32 v3, 0x7f800001
	s_and_saveexec_b64 s[78:79], vcc
	s_cbranch_execz .LBB6_7922
; %bb.7921:                             ;   in Loop: Header=BB6_6244 Depth=2
	v_and_b32_e32 v23, 7, v22
	v_lshrrev_b32_e32 v30, 3, v2
	v_cmp_gt_u32_e32 vcc, 8, v2
	v_ffbh_u32_e32 v2, v23
	v_min_u32_e32 v31, 32, v2
	v_subrev_u32_e32 v2, 28, v31
	v_lshlrev_b64 v[2:3], v2, v[22:23]
	v_sub_u32_e32 v3, 29, v31
	v_and_b32_e32 v2, 7, v2
	v_cndmask_b32_e32 v3, v30, v3, vcc
	v_cndmask_b32_e32 v2, v23, v2, vcc
	v_lshlrev_b32_e32 v22, 16, v24
	v_lshlrev_b32_e32 v2, 20, v2
	v_and_b32_e32 v22, 0x80000000, v22
	v_lshl_add_u32 v3, v3, 23, v62
	v_or3_b32 v3, v22, v3, v2
.LBB6_7922:                             ;   in Loop: Header=BB6_6244 Depth=2
	s_or_b64 exec, exec, s[78:79]
.LBB6_7923:                             ;   in Loop: Header=BB6_6244 Depth=2
	s_or_b64 exec, exec, s[76:77]
.LBB6_7924:                             ;   in Loop: Header=BB6_6244 Depth=2
	s_or_b64 exec, exec, s[18:19]
	v_add_f32_e32 v3, v7, v3
	v_and_b32_e32 v22, 0x7f800000, v3
	v_mov_b32_e32 v23, v51
	v_cmp_ne_u64_e32 vcc, s[46:47], v[22:23]
                                        ; implicit-def: $vgpr2
                                        ; kill: killed $vgpr2
	s_and_saveexec_b64 s[18:19], vcc
	s_xor_b64 s[76:77], exec, s[18:19]
	s_cbranch_execz .LBB6_7938
; %bb.7925:                             ;   in Loop: Header=BB6_6244 Depth=2
	v_and_b32_e32 v22, 0x7fffffff, v3
	v_mov_b32_e32 v23, v51
	v_cmp_gt_u64_e32 vcc, s[56:57], v[22:23]
	v_and_b32_sdwa v2, v3, s50 dst_sel:DWORD dst_unused:UNUSED_PAD src0_sel:BYTE_3 src1_sel:DWORD
                                        ; implicit-def: $vgpr7
                                        ; kill: killed $vgpr7
	s_and_saveexec_b64 s[18:19], vcc
	s_xor_b64 s[78:79], exec, s[18:19]
	s_cbranch_execz .LBB6_7935
; %bb.7926:                             ;   in Loop: Header=BB6_6244 Depth=2
	v_mov_b32_e32 v7, 0
	v_cmp_ne_u32_e32 vcc, 0, v3
	buffer_store_dword v7, off, s[0:3], s33 offset:256 ; 4-byte Folded Spill
	s_and_saveexec_b64 s[88:89], vcc
	s_cbranch_execz .LBB6_7934
; %bb.7927:                             ;   in Loop: Header=BB6_6244 Depth=2
	v_and_b32_e32 v22, 0x7fffff, v3
	v_bfe_u32 v3, v3, 23, 8
	v_cmp_gt_u32_e64 s[18:19], s51, v3
	v_sub_u32_e32 v7, 0x79, v3
	v_cmp_eq_u32_e32 vcc, 0, v3
	v_cndmask_b32_e64 v7, 0, v7, s[18:19]
	v_mov_b32_e32 v30, 0x78
	v_cndmask_b32_e32 v7, v7, v30, vcc
	v_add_u32_e32 v30, 20, v7
	v_or_b32_e32 v23, 0x800000, v22
	v_lshlrev_b64 v[30:31], v30, -1
	v_cndmask_b32_e32 v22, v23, v22, vcc
	v_mov_b32_e32 v23, v51
	v_add_u32_e32 v32, 19, v7
	v_bfi_b32 v30, v30, 0, v22
	v_lshlrev_b64 v[32:33], v32, 1
	v_lshrrev_b64 v[22:23], v7, v[22:23]
	v_bfi_b32 v31, v31, 0, 0
	v_cmp_eq_u64_e64 s[18:19], v[30:31], v[32:33]
	v_mov_b32_e32 v58, v23
	v_mov_b32_e32 v57, v22
	s_and_saveexec_b64 s[90:91], s[18:19]
; %bb.7928:                             ;   in Loop: Header=BB6_6244 Depth=2
	v_bfe_u32 v23, v22, 20, 1
	v_add_co_u32_e64 v23, s[18:19], v22, v23
	v_add_co_u32_e64 v57, s[18:19], -1, v23
; %bb.7929:                             ;   in Loop: Header=BB6_6244 Depth=2
	s_or_b64 exec, exec, s[90:91]
	v_add_u32_e32 v3, 0xffffff81, v3
	v_mov_b32_e32 v23, 0xffffff82
	v_cndmask_b32_e32 v3, v3, v23, vcc
	v_lshrrev_b32_e32 v23, 23, v22
	v_add3_u32 v30, v7, v3, v23
	v_add_u32_e32 v7, 6, v30
	v_and_b32_e32 v3, 0xfffff, v57
	v_add_u32_e32 v22, v3, v22
	v_mov_b32_e32 v23, v51
	v_cmp_ne_u32_e32 vcc, 0, v7
                                        ; implicit-def: $vgpr3
	s_and_saveexec_b64 s[18:19], vcc
	s_xor_b64 s[18:19], exec, s[18:19]
; %bb.7930:                             ;   in Loop: Header=BB6_6244 Depth=2
	v_cmp_lt_u64_e32 vcc, s[58:59], v[22:23]
	v_add_u32_e32 v3, 7, v30
	v_cndmask_b32_e32 v3, v7, v3, vcc
	v_cndmask_b32_e64 v7, 0, 1, vcc
	v_lshrrev_b64 v[22:23], v7, v[22:23]
; %bb.7931:                             ;   in Loop: Header=BB6_6244 Depth=2
	s_andn2_saveexec_b64 s[18:19], s[18:19]
; %bb.7932:                             ;   in Loop: Header=BB6_6244 Depth=2
	v_bfe_u32 v3, v22, 23, 1
; %bb.7933:                             ;   in Loop: Header=BB6_6244 Depth=2
	s_or_b64 exec, exec, s[18:19]
	v_lshrrev_b64 v[22:23], 20, v[22:23]
	v_cmp_gt_i32_e32 vcc, 16, v3
	v_cndmask_b32_e32 v23, 0, v23, vcc
	v_cndmask_b32_e32 v22, 7, v22, vcc
	v_cmp_eq_u32_e32 vcc, 0, v3
	v_min_i32_e32 v3, 15, v3
	v_cmp_eq_u64_e64 s[18:19], 0, v[22:23]
	v_lshlrev_b32_e32 v3, 3, v3
	v_and_b32_e32 v3, 0xf8, v3
	v_and_or_b32 v3, v22, 7, v3
	s_and_b64 s[18:19], vcc, s[18:19]
	v_cndmask_b32_e64 v3, v3, 0, s[18:19]
	v_or_b32_e32 v2, v3, v2
	buffer_store_dword v2, off, s[0:3], s33 offset:256 ; 4-byte Folded Spill
.LBB6_7934:                             ;   in Loop: Header=BB6_6244 Depth=2
	s_or_b64 exec, exec, s[88:89]
                                        ; implicit-def: $vgpr2
.LBB6_7935:                             ;   in Loop: Header=BB6_6244 Depth=2
	s_andn2_saveexec_b64 s[18:19], s[78:79]
	s_cbranch_execz .LBB6_7937
; %bb.7936:                             ;   in Loop: Header=BB6_6244 Depth=2
	v_or_b32_e32 v2, 0x7e, v2
	buffer_store_dword v2, off, s[0:3], s33 offset:256 ; 4-byte Folded Spill
.LBB6_7937:                             ;   in Loop: Header=BB6_6244 Depth=2
	s_or_b64 exec, exec, s[18:19]
                                        ; implicit-def: $vgpr3
.LBB6_7938:                             ;   in Loop: Header=BB6_6244 Depth=2
	s_andn2_saveexec_b64 s[18:19], s[76:77]
	s_cbranch_execz .LBB6_7940
; %bb.7939:                             ;   in Loop: Header=BB6_6244 Depth=2
	v_or_b32_sdwa v2, v3, s39 dst_sel:DWORD dst_unused:UNUSED_PAD src0_sel:BYTE_3 src1_sel:DWORD
	buffer_store_dword v2, off, s[0:3], s33 offset:256 ; 4-byte Folded Spill
.LBB6_7940:                             ;   in Loop: Header=BB6_6244 Depth=2
	s_or_b64 exec, exec, s[18:19]
	v_lshrrev_b32_e32 v22, 16, v50
	v_cmp_ne_u16_sdwa s[76:77], v22, v51 src0_sel:BYTE_0 src1_sel:DWORD
	v_mov_b32_e32 v2, 0
	v_mov_b32_e32 v3, 0
	s_and_saveexec_b64 s[18:19], s[76:77]
	s_cbranch_execz .LBB6_7946
; %bb.7941:                             ;   in Loop: Header=BB6_6244 Depth=2
	v_cmp_ne_u16_sdwa s[78:79], v22, s50 src0_sel:BYTE_0 src1_sel:DWORD
	v_bfrev_b32_e32 v3, 1
	s_and_saveexec_b64 s[76:77], s[78:79]
	s_cbranch_execz .LBB6_7945
; %bb.7942:                             ;   in Loop: Header=BB6_6244 Depth=2
	v_bfe_u32 v7, v50, 16, 7
	v_cmp_ne_u32_e32 vcc, s39, v7
	v_mov_b32_e32 v3, 0x7f800001
	s_and_saveexec_b64 s[78:79], vcc
	s_cbranch_execz .LBB6_7944
; %bb.7943:                             ;   in Loop: Header=BB6_6244 Depth=2
	v_and_b32_e32 v3, 7, v22
	v_lshrrev_b32_e32 v23, 3, v7
	v_cmp_gt_u32_e32 vcc, 8, v7
	v_ffbh_u32_e32 v7, v3
	v_min_u32_e32 v7, 32, v7
	v_subrev_u32_e32 v30, 28, v7
	v_lshlrev_b64 v[30:31], v30, v[22:23]
	v_sub_u32_e32 v7, 29, v7
	v_and_b32_e32 v30, 7, v30
	v_cndmask_b32_e32 v7, v23, v7, vcc
	v_cndmask_b32_e32 v3, v3, v30, vcc
	v_lshlrev_b32_e32 v22, 24, v22
	v_lshlrev_b32_e32 v3, 20, v3
	v_and_b32_e32 v22, 0x80000000, v22
	v_lshl_add_u32 v7, v7, 23, v62
	v_or3_b32 v3, v22, v7, v3
.LBB6_7944:                             ;   in Loop: Header=BB6_6244 Depth=2
	s_or_b64 exec, exec, s[78:79]
.LBB6_7945:                             ;   in Loop: Header=BB6_6244 Depth=2
	s_or_b64 exec, exec, s[76:77]
.LBB6_7946:                             ;   in Loop: Header=BB6_6244 Depth=2
	s_or_b64 exec, exec, s[18:19]
	v_lshrrev_b32_e32 v22, 16, v24
	v_cmp_ne_u16_sdwa s[76:77], v22, v51 src0_sel:BYTE_0 src1_sel:DWORD
	s_and_saveexec_b64 s[18:19], s[76:77]
	s_cbranch_execz .LBB6_7952
; %bb.7947:                             ;   in Loop: Header=BB6_6244 Depth=2
	v_cmp_ne_u16_sdwa s[78:79], v22, s50 src0_sel:BYTE_0 src1_sel:DWORD
	v_bfrev_b32_e32 v2, 1
	s_and_saveexec_b64 s[76:77], s[78:79]
	s_cbranch_execz .LBB6_7951
; %bb.7948:                             ;   in Loop: Header=BB6_6244 Depth=2
	v_bfe_u32 v7, v24, 16, 7
	v_cmp_ne_u32_e32 vcc, s39, v7
	v_mov_b32_e32 v2, 0x7f800001
	s_and_saveexec_b64 s[78:79], vcc
	s_cbranch_execz .LBB6_7950
; %bb.7949:                             ;   in Loop: Header=BB6_6244 Depth=2
	v_and_b32_e32 v2, 7, v22
	v_lshrrev_b32_e32 v30, 3, v7
	v_cmp_gt_u32_e32 vcc, 8, v7
	v_ffbh_u32_e32 v7, v2
	v_min_u32_e32 v7, 32, v7
	v_subrev_u32_e32 v23, 28, v7
	v_lshlrev_b64 v[22:23], v23, v[22:23]
	v_sub_u32_e32 v7, 29, v7
	v_and_b32_e32 v22, 7, v22
	v_cndmask_b32_e32 v7, v30, v7, vcc
	v_cndmask_b32_e32 v2, v2, v22, vcc
	v_lshlrev_b32_e32 v22, 8, v24
	v_lshlrev_b32_e32 v2, 20, v2
	v_and_b32_e32 v22, 0x80000000, v22
	v_lshl_add_u32 v7, v7, 23, v62
	v_or3_b32 v2, v22, v7, v2
.LBB6_7950:                             ;   in Loop: Header=BB6_6244 Depth=2
	s_or_b64 exec, exec, s[78:79]
.LBB6_7951:                             ;   in Loop: Header=BB6_6244 Depth=2
	s_or_b64 exec, exec, s[76:77]
.LBB6_7952:                             ;   in Loop: Header=BB6_6244 Depth=2
	s_or_b64 exec, exec, s[18:19]
	v_add_f32_e32 v3, v3, v2
	v_and_b32_e32 v22, 0x7f800000, v3
	v_mov_b32_e32 v23, v51
	v_cmp_ne_u64_e32 vcc, s[46:47], v[22:23]
                                        ; implicit-def: $vgpr2
                                        ; kill: killed $vgpr2
	s_and_saveexec_b64 s[18:19], vcc
	s_xor_b64 s[76:77], exec, s[18:19]
	s_cbranch_execz .LBB6_7966
; %bb.7953:                             ;   in Loop: Header=BB6_6244 Depth=2
	v_and_b32_e32 v22, 0x7fffffff, v3
	v_mov_b32_e32 v23, v51
	v_cmp_gt_u64_e32 vcc, s[56:57], v[22:23]
	v_and_b32_sdwa v2, v3, s50 dst_sel:DWORD dst_unused:UNUSED_PAD src0_sel:BYTE_3 src1_sel:DWORD
                                        ; implicit-def: $vgpr7
                                        ; kill: killed $vgpr7
	s_and_saveexec_b64 s[18:19], vcc
	s_xor_b64 s[78:79], exec, s[18:19]
	s_cbranch_execz .LBB6_7963
; %bb.7954:                             ;   in Loop: Header=BB6_6244 Depth=2
	v_mov_b32_e32 v7, 0
	v_cmp_ne_u32_e32 vcc, 0, v3
	buffer_store_dword v7, off, s[0:3], s33 offset:280 ; 4-byte Folded Spill
	s_and_saveexec_b64 s[88:89], vcc
	s_cbranch_execz .LBB6_7962
; %bb.7955:                             ;   in Loop: Header=BB6_6244 Depth=2
	v_and_b32_e32 v22, 0x7fffff, v3
	v_bfe_u32 v3, v3, 23, 8
	v_cmp_gt_u32_e64 s[18:19], s51, v3
	v_sub_u32_e32 v7, 0x79, v3
	v_cmp_eq_u32_e32 vcc, 0, v3
	v_cndmask_b32_e64 v7, 0, v7, s[18:19]
	v_mov_b32_e32 v30, 0x78
	v_cndmask_b32_e32 v7, v7, v30, vcc
	v_add_u32_e32 v30, 20, v7
	v_or_b32_e32 v23, 0x800000, v22
	v_lshlrev_b64 v[30:31], v30, -1
	v_cndmask_b32_e32 v22, v23, v22, vcc
	v_mov_b32_e32 v23, v51
	v_add_u32_e32 v32, 19, v7
	v_bfi_b32 v30, v30, 0, v22
	v_lshlrev_b64 v[32:33], v32, 1
	v_lshrrev_b64 v[22:23], v7, v[22:23]
	v_bfi_b32 v31, v31, 0, 0
	v_cmp_eq_u64_e64 s[18:19], v[30:31], v[32:33]
	v_mov_b32_e32 v58, v23
	v_mov_b32_e32 v57, v22
	s_and_saveexec_b64 s[90:91], s[18:19]
; %bb.7956:                             ;   in Loop: Header=BB6_6244 Depth=2
	v_bfe_u32 v23, v22, 20, 1
	v_add_co_u32_e64 v23, s[18:19], v22, v23
	v_add_co_u32_e64 v57, s[18:19], -1, v23
; %bb.7957:                             ;   in Loop: Header=BB6_6244 Depth=2
	s_or_b64 exec, exec, s[90:91]
	v_add_u32_e32 v3, 0xffffff81, v3
	v_mov_b32_e32 v23, 0xffffff82
	v_cndmask_b32_e32 v3, v3, v23, vcc
	v_lshrrev_b32_e32 v23, 23, v22
	v_add3_u32 v30, v7, v3, v23
	v_add_u32_e32 v7, 6, v30
	v_and_b32_e32 v3, 0xfffff, v57
	v_add_u32_e32 v22, v3, v22
	v_mov_b32_e32 v23, v51
	v_cmp_ne_u32_e32 vcc, 0, v7
                                        ; implicit-def: $vgpr3
	s_and_saveexec_b64 s[18:19], vcc
	s_xor_b64 s[18:19], exec, s[18:19]
; %bb.7958:                             ;   in Loop: Header=BB6_6244 Depth=2
	v_cmp_lt_u64_e32 vcc, s[58:59], v[22:23]
	v_add_u32_e32 v3, 7, v30
	v_cndmask_b32_e32 v3, v7, v3, vcc
	v_cndmask_b32_e64 v7, 0, 1, vcc
	v_lshrrev_b64 v[22:23], v7, v[22:23]
; %bb.7959:                             ;   in Loop: Header=BB6_6244 Depth=2
	s_andn2_saveexec_b64 s[18:19], s[18:19]
; %bb.7960:                             ;   in Loop: Header=BB6_6244 Depth=2
	v_bfe_u32 v3, v22, 23, 1
; %bb.7961:                             ;   in Loop: Header=BB6_6244 Depth=2
	s_or_b64 exec, exec, s[18:19]
	v_lshrrev_b64 v[22:23], 20, v[22:23]
	v_cmp_gt_i32_e32 vcc, 16, v3
	v_cndmask_b32_e32 v23, 0, v23, vcc
	v_cndmask_b32_e32 v22, 7, v22, vcc
	v_cmp_eq_u32_e32 vcc, 0, v3
	v_min_i32_e32 v3, 15, v3
	v_cmp_eq_u64_e64 s[18:19], 0, v[22:23]
	v_lshlrev_b32_e32 v3, 3, v3
	v_and_b32_e32 v3, 0xf8, v3
	v_and_or_b32 v3, v22, 7, v3
	s_and_b64 s[18:19], vcc, s[18:19]
	v_cndmask_b32_e64 v3, v3, 0, s[18:19]
	v_or_b32_e32 v2, v3, v2
	buffer_store_dword v2, off, s[0:3], s33 offset:280 ; 4-byte Folded Spill
.LBB6_7962:                             ;   in Loop: Header=BB6_6244 Depth=2
	s_or_b64 exec, exec, s[88:89]
                                        ; implicit-def: $vgpr2
.LBB6_7963:                             ;   in Loop: Header=BB6_6244 Depth=2
	s_andn2_saveexec_b64 s[18:19], s[78:79]
	s_cbranch_execz .LBB6_7965
; %bb.7964:                             ;   in Loop: Header=BB6_6244 Depth=2
	v_or_b32_e32 v2, 0x7e, v2
	buffer_store_dword v2, off, s[0:3], s33 offset:280 ; 4-byte Folded Spill
.LBB6_7965:                             ;   in Loop: Header=BB6_6244 Depth=2
	s_or_b64 exec, exec, s[18:19]
                                        ; implicit-def: $vgpr3
.LBB6_7966:                             ;   in Loop: Header=BB6_6244 Depth=2
	s_andn2_saveexec_b64 s[18:19], s[76:77]
	s_cbranch_execz .LBB6_7968
; %bb.7967:                             ;   in Loop: Header=BB6_6244 Depth=2
	v_or_b32_sdwa v2, v3, s39 dst_sel:DWORD dst_unused:UNUSED_PAD src0_sel:BYTE_3 src1_sel:DWORD
	buffer_store_dword v2, off, s[0:3], s33 offset:280 ; 4-byte Folded Spill
.LBB6_7968:                             ;   in Loop: Header=BB6_6244 Depth=2
	s_or_b64 exec, exec, s[18:19]
	v_cmp_lt_u32_e32 vcc, s61, v50
	v_mov_b32_e32 v2, 0
	v_mov_b32_e32 v3, 0
	s_and_saveexec_b64 s[18:19], vcc
	s_cbranch_execz .LBB6_7974
; %bb.7969:                             ;   in Loop: Header=BB6_6244 Depth=2
	v_lshrrev_b32_e32 v22, 24, v50
	v_cmp_ne_u32_sdwa s[78:79], v50, s50 src0_sel:BYTE_3 src1_sel:DWORD
	v_bfrev_b32_e32 v3, 1
	s_and_saveexec_b64 s[76:77], s[78:79]
	s_cbranch_execz .LBB6_7973
; %bb.7970:                             ;   in Loop: Header=BB6_6244 Depth=2
	v_bfe_u32 v7, v50, 24, 7
	v_cmp_ne_u32_e32 vcc, s39, v7
	v_mov_b32_e32 v3, 0x7f800001
	s_and_saveexec_b64 s[78:79], vcc
	s_cbranch_execz .LBB6_7972
; %bb.7971:                             ;   in Loop: Header=BB6_6244 Depth=2
	v_and_b32_e32 v3, 7, v22
	v_lshrrev_b32_e32 v30, 3, v7
	v_cmp_gt_u32_e32 vcc, 8, v7
	v_ffbh_u32_e32 v7, v3
	v_min_u32_e32 v7, 32, v7
	v_subrev_u32_e32 v23, 28, v7
	v_lshlrev_b64 v[22:23], v23, v[22:23]
	v_sub_u32_e32 v7, 29, v7
	v_and_b32_e32 v22, 7, v22
	v_cndmask_b32_e32 v3, v3, v22, vcc
	v_mov_b32_e32 v22, 24
	v_cndmask_b32_e32 v7, v30, v7, vcc
	v_lshlrev_b32_sdwa v22, v22, v50 dst_sel:DWORD dst_unused:UNUSED_PAD src0_sel:DWORD src1_sel:BYTE_3
	v_lshlrev_b32_e32 v3, 20, v3
	v_and_b32_e32 v22, 0x80000000, v22
	v_lshl_add_u32 v7, v7, 23, v62
	v_or3_b32 v3, v22, v7, v3
.LBB6_7972:                             ;   in Loop: Header=BB6_6244 Depth=2
	s_or_b64 exec, exec, s[78:79]
.LBB6_7973:                             ;   in Loop: Header=BB6_6244 Depth=2
	s_or_b64 exec, exec, s[76:77]
.LBB6_7974:                             ;   in Loop: Header=BB6_6244 Depth=2
	s_or_b64 exec, exec, s[18:19]
	v_cmp_lt_u32_e32 vcc, s61, v24
	s_and_saveexec_b64 s[18:19], vcc
	s_cbranch_execz .LBB6_7980
; %bb.7975:                             ;   in Loop: Header=BB6_6244 Depth=2
	v_lshrrev_b32_e32 v22, 24, v24
	v_cmp_ne_u32_e32 vcc, s50, v22
	v_bfrev_b32_e32 v2, 1
	s_and_saveexec_b64 s[76:77], vcc
	s_cbranch_execz .LBB6_7979
; %bb.7976:                             ;   in Loop: Header=BB6_6244 Depth=2
	v_bfe_u32 v7, v24, 24, 7
	v_cmp_ne_u32_e32 vcc, s39, v7
	v_mov_b32_e32 v2, 0x7f800001
	s_and_saveexec_b64 s[78:79], vcc
	s_cbranch_execz .LBB6_7978
; %bb.7977:                             ;   in Loop: Header=BB6_6244 Depth=2
	v_and_b32_e32 v2, 7, v22
	v_lshrrev_b32_e32 v23, 3, v7
	v_cmp_gt_u32_e32 vcc, 8, v7
	v_ffbh_u32_e32 v7, v2
	v_min_u32_e32 v7, 32, v7
	v_subrev_u32_e32 v30, 28, v7
	v_lshlrev_b64 v[30:31], v30, v[22:23]
	v_sub_u32_e32 v7, 29, v7
	v_and_b32_e32 v30, 7, v30
	v_cndmask_b32_e32 v7, v23, v7, vcc
	v_cndmask_b32_e32 v2, v2, v30, vcc
	v_lshlrev_b32_e32 v22, 24, v22
	v_lshlrev_b32_e32 v2, 20, v2
	v_and_b32_e32 v22, 0x80000000, v22
	v_lshl_add_u32 v7, v7, 23, v62
	v_or3_b32 v2, v22, v7, v2
.LBB6_7978:                             ;   in Loop: Header=BB6_6244 Depth=2
	s_or_b64 exec, exec, s[78:79]
.LBB6_7979:                             ;   in Loop: Header=BB6_6244 Depth=2
	s_or_b64 exec, exec, s[76:77]
.LBB6_7980:                             ;   in Loop: Header=BB6_6244 Depth=2
	s_or_b64 exec, exec, s[18:19]
	v_add_f32_e32 v3, v3, v2
	v_and_b32_e32 v50, 0x7f800000, v3
	v_cmp_ne_u64_e32 vcc, s[46:47], v[50:51]
                                        ; implicit-def: $vgpr2
                                        ; kill: killed $vgpr2
	s_and_saveexec_b64 s[18:19], vcc
	s_xor_b64 s[76:77], exec, s[18:19]
	s_cbranch_execz .LBB6_7994
; %bb.7981:                             ;   in Loop: Header=BB6_6244 Depth=2
	v_and_b32_e32 v50, 0x7fffffff, v3
	v_cmp_gt_u64_e32 vcc, s[56:57], v[50:51]
	v_and_b32_sdwa v2, v3, s50 dst_sel:DWORD dst_unused:UNUSED_PAD src0_sel:BYTE_3 src1_sel:DWORD
                                        ; implicit-def: $vgpr7
                                        ; kill: killed $vgpr7
	s_and_saveexec_b64 s[18:19], vcc
	s_xor_b64 s[78:79], exec, s[18:19]
	s_cbranch_execz .LBB6_7991
; %bb.7982:                             ;   in Loop: Header=BB6_6244 Depth=2
	v_mov_b32_e32 v7, 0
	v_cmp_ne_u32_e32 vcc, 0, v3
	buffer_store_dword v7, off, s[0:3], s33 offset:288 ; 4-byte Folded Spill
	s_and_saveexec_b64 s[88:89], vcc
	s_cbranch_execz .LBB6_7990
; %bb.7983:                             ;   in Loop: Header=BB6_6244 Depth=2
	v_and_b32_e32 v22, 0x7fffff, v3
	v_bfe_u32 v3, v3, 23, 8
	v_cmp_gt_u32_e64 s[18:19], s51, v3
	v_sub_u32_e32 v7, 0x79, v3
	v_cmp_eq_u32_e32 vcc, 0, v3
	v_cndmask_b32_e64 v7, 0, v7, s[18:19]
	v_mov_b32_e32 v30, 0x78
	v_or_b32_e32 v23, 0x800000, v22
	v_cndmask_b32_e32 v7, v7, v30, vcc
	v_cndmask_b32_e32 v50, v23, v22, vcc
	v_add_u32_e32 v22, 20, v7
	v_lshlrev_b64 v[22:23], v22, -1
	v_add_u32_e32 v30, 19, v7
	v_lshlrev_b64 v[30:31], v30, 1
	v_bfi_b32 v23, v23, 0, 0
	v_bfi_b32 v22, v22, 0, v50
	v_cmp_eq_u64_e64 s[18:19], v[22:23], v[30:31]
	v_lshrrev_b64 v[22:23], v7, v[50:51]
	v_mov_b32_e32 v58, v23
	v_mov_b32_e32 v57, v22
	s_and_saveexec_b64 s[90:91], s[18:19]
; %bb.7984:                             ;   in Loop: Header=BB6_6244 Depth=2
	v_bfe_u32 v23, v22, 20, 1
	v_add_co_u32_e64 v23, s[18:19], v22, v23
	v_add_co_u32_e64 v57, s[18:19], -1, v23
; %bb.7985:                             ;   in Loop: Header=BB6_6244 Depth=2
	s_or_b64 exec, exec, s[90:91]
	v_add_u32_e32 v3, 0xffffff81, v3
	v_mov_b32_e32 v23, 0xffffff82
	v_cndmask_b32_e32 v3, v3, v23, vcc
	v_lshrrev_b32_e32 v23, 23, v22
	v_add3_u32 v30, v7, v3, v23
	v_add_u32_e32 v7, 6, v30
	v_and_b32_e32 v3, 0xfffff, v57
	v_add_u32_e32 v50, v3, v22
	v_cmp_ne_u32_e32 vcc, 0, v7
                                        ; implicit-def: $vgpr22_vgpr23
                                        ; implicit-def: $vgpr3
	s_and_saveexec_b64 s[18:19], vcc
	s_xor_b64 s[18:19], exec, s[18:19]
; %bb.7986:                             ;   in Loop: Header=BB6_6244 Depth=2
	v_cmp_lt_u64_e32 vcc, s[58:59], v[50:51]
	v_add_u32_e32 v3, 7, v30
	v_cndmask_b32_e32 v3, v7, v3, vcc
	v_cndmask_b32_e64 v7, 0, 1, vcc
	v_lshrrev_b64 v[22:23], v7, v[50:51]
; %bb.7987:                             ;   in Loop: Header=BB6_6244 Depth=2
	s_andn2_saveexec_b64 s[18:19], s[18:19]
; %bb.7988:                             ;   in Loop: Header=BB6_6244 Depth=2
	v_mov_b32_e32 v22, v50
	v_bfe_u32 v3, v50, 23, 1
	v_mov_b32_e32 v23, v51
; %bb.7989:                             ;   in Loop: Header=BB6_6244 Depth=2
	s_or_b64 exec, exec, s[18:19]
	v_lshrrev_b64 v[22:23], 20, v[22:23]
	v_cmp_gt_i32_e32 vcc, 16, v3
	v_cndmask_b32_e32 v23, 0, v23, vcc
	v_cndmask_b32_e32 v22, 7, v22, vcc
	v_cmp_eq_u32_e32 vcc, 0, v3
	v_min_i32_e32 v3, 15, v3
	v_cmp_eq_u64_e64 s[18:19], 0, v[22:23]
	v_lshlrev_b32_e32 v3, 3, v3
	v_and_b32_e32 v3, 0xf8, v3
	v_and_or_b32 v3, v22, 7, v3
	s_and_b64 s[18:19], vcc, s[18:19]
	v_cndmask_b32_e64 v3, v3, 0, s[18:19]
	v_or_b32_e32 v2, v3, v2
	buffer_store_dword v2, off, s[0:3], s33 offset:288 ; 4-byte Folded Spill
.LBB6_7990:                             ;   in Loop: Header=BB6_6244 Depth=2
	s_or_b64 exec, exec, s[88:89]
                                        ; implicit-def: $vgpr2
.LBB6_7991:                             ;   in Loop: Header=BB6_6244 Depth=2
	s_andn2_saveexec_b64 s[18:19], s[78:79]
	s_cbranch_execz .LBB6_7993
; %bb.7992:                             ;   in Loop: Header=BB6_6244 Depth=2
	v_or_b32_e32 v2, 0x7e, v2
	buffer_store_dword v2, off, s[0:3], s33 offset:288 ; 4-byte Folded Spill
.LBB6_7993:                             ;   in Loop: Header=BB6_6244 Depth=2
	s_or_b64 exec, exec, s[18:19]
                                        ; implicit-def: $vgpr3
.LBB6_7994:                             ;   in Loop: Header=BB6_6244 Depth=2
	s_andn2_saveexec_b64 s[18:19], s[76:77]
	s_cbranch_execz .LBB6_7996
; %bb.7995:                             ;   in Loop: Header=BB6_6244 Depth=2
	v_or_b32_sdwa v2, v3, s39 dst_sel:DWORD dst_unused:UNUSED_PAD src0_sel:BYTE_3 src1_sel:DWORD
	buffer_store_dword v2, off, s[0:3], s33 offset:288 ; 4-byte Folded Spill
.LBB6_7996:                             ;   in Loop: Header=BB6_6244 Depth=2
	s_or_b64 exec, exec, s[18:19]
	v_lshlrev_b32_e32 v3, 16, v0
	buffer_load_dword v0, off, s[0:3], s33 offset:284 ; 4-byte Folded Reload
	v_lshlrev_b32_e32 v2, 24, v8
	v_cmp_ne_u32_e32 vcc, 0, v34
	s_waitcnt vmcnt(0)
	v_lshl_or_b32 v0, v0, 8, v34
	v_or3_b32 v50, v3, v2, v0
	v_mov_b32_e32 v3, 0
	v_mov_b32_e32 v2, 0
	s_and_saveexec_b64 s[18:19], vcc
	s_cbranch_execz .LBB6_8002
; %bb.7997:                             ;   in Loop: Header=BB6_6244 Depth=2
	v_cmp_ne_u32_e32 vcc, s50, v34
	v_bfrev_b32_e32 v2, 1
	s_and_saveexec_b64 s[76:77], vcc
	s_cbranch_execz .LBB6_8001
; %bb.7998:                             ;   in Loop: Header=BB6_6244 Depth=2
	v_and_b32_e32 v7, 0x7f, v34
	v_cmp_ne_u32_e32 vcc, s39, v7
	v_mov_b32_e32 v2, 0x7f800001
	s_and_saveexec_b64 s[78:79], vcc
	s_cbranch_execz .LBB6_8000
; %bb.7999:                             ;   in Loop: Header=BB6_6244 Depth=2
	v_and_b32_e32 v2, 7, v34
	v_ffbh_u32_e32 v2, v2
	v_min_u32_e32 v2, 32, v2
	v_lshrrev_b32_e32 v8, 3, v7
	v_cmp_gt_u32_e32 vcc, 8, v7
	v_subrev_u32_e32 v7, 28, v2
	v_sub_u32_e32 v2, 29, v2
	v_cndmask_b32_e32 v7, 0, v7, vcc
	v_cndmask_b32_e32 v2, v8, v2, vcc
	v_lshlrev_b64 v[7:8], v7, v[50:51]
	v_lshlrev_b32_e32 v8, 24, v50
	v_lshlrev_b32_e32 v7, 20, v7
	v_and_b32_e32 v7, 0x700000, v7
	v_and_b32_e32 v8, 0x80000000, v8
	v_lshl_add_u32 v2, v2, 23, v62
	v_or3_b32 v2, v8, v2, v7
.LBB6_8000:                             ;   in Loop: Header=BB6_6244 Depth=2
	s_or_b64 exec, exec, s[78:79]
.LBB6_8001:                             ;   in Loop: Header=BB6_6244 Depth=2
	s_or_b64 exec, exec, s[76:77]
.LBB6_8002:                             ;   in Loop: Header=BB6_6244 Depth=2
	s_or_b64 exec, exec, s[18:19]
	v_cmp_ne_u16_sdwa s[76:77], v25, v51 src0_sel:BYTE_0 src1_sel:DWORD
	s_and_saveexec_b64 s[18:19], s[76:77]
	s_cbranch_execz .LBB6_8008
; %bb.8003:                             ;   in Loop: Header=BB6_6244 Depth=2
	v_cmp_ne_u16_sdwa s[78:79], v25, s50 src0_sel:BYTE_0 src1_sel:DWORD
	v_bfrev_b32_e32 v3, 1
	s_and_saveexec_b64 s[76:77], s[78:79]
	s_cbranch_execz .LBB6_8007
; %bb.8004:                             ;   in Loop: Header=BB6_6244 Depth=2
	v_and_b32_e32 v7, 0x7f, v25
	v_cmp_ne_u32_e32 vcc, s39, v7
	v_mov_b32_e32 v3, 0x7f800001
	s_and_saveexec_b64 s[78:79], vcc
	s_cbranch_execz .LBB6_8006
; %bb.8005:                             ;   in Loop: Header=BB6_6244 Depth=2
	v_and_b32_e32 v3, 7, v25
	v_ffbh_u32_e32 v3, v3
	v_min_u32_e32 v3, 32, v3
	v_lshrrev_b32_e32 v8, 3, v7
	v_cmp_gt_u32_e32 vcc, 8, v7
	v_subrev_u32_e32 v7, 28, v3
	v_mov_b32_e32 v22, v25
	v_mov_b32_e32 v23, v51
	v_sub_u32_e32 v3, 29, v3
	v_cndmask_b32_e32 v7, 0, v7, vcc
	v_cndmask_b32_e32 v3, v8, v3, vcc
	v_lshlrev_b64 v[7:8], v7, v[22:23]
	v_lshlrev_b32_e32 v8, 24, v22
	v_lshlrev_b32_e32 v7, 20, v7
	v_and_b32_e32 v7, 0x700000, v7
	v_and_b32_e32 v8, 0x80000000, v8
	v_lshl_add_u32 v3, v3, 23, v62
	v_or3_b32 v3, v8, v3, v7
.LBB6_8006:                             ;   in Loop: Header=BB6_6244 Depth=2
	s_or_b64 exec, exec, s[78:79]
.LBB6_8007:                             ;   in Loop: Header=BB6_6244 Depth=2
	s_or_b64 exec, exec, s[76:77]
.LBB6_8008:                             ;   in Loop: Header=BB6_6244 Depth=2
	s_or_b64 exec, exec, s[18:19]
	v_add_f32_e32 v3, v2, v3
	v_and_b32_e32 v7, 0x7f800000, v3
	v_mov_b32_e32 v8, v51
	v_cmp_ne_u64_e32 vcc, s[46:47], v[7:8]
                                        ; implicit-def: $vgpr2
                                        ; kill: killed $vgpr2
	s_and_saveexec_b64 s[18:19], vcc
	s_xor_b64 s[76:77], exec, s[18:19]
	s_cbranch_execz .LBB6_8022
; %bb.8009:                             ;   in Loop: Header=BB6_6244 Depth=2
	v_and_b32_e32 v7, 0x7fffffff, v3
	v_mov_b32_e32 v8, v51
	v_cmp_gt_u64_e32 vcc, s[56:57], v[7:8]
	v_and_b32_sdwa v2, v3, s50 dst_sel:DWORD dst_unused:UNUSED_PAD src0_sel:BYTE_3 src1_sel:DWORD
                                        ; implicit-def: $vgpr7
                                        ; kill: killed $vgpr7
	s_and_saveexec_b64 s[18:19], vcc
	s_xor_b64 s[78:79], exec, s[18:19]
	s_cbranch_execz .LBB6_8019
; %bb.8010:                             ;   in Loop: Header=BB6_6244 Depth=2
	v_mov_b32_e32 v7, 0
	v_cmp_ne_u32_e32 vcc, 0, v3
	buffer_store_dword v7, off, s[0:3], s33 offset:284 ; 4-byte Folded Spill
	s_and_saveexec_b64 s[88:89], vcc
	s_cbranch_execz .LBB6_8018
; %bb.8011:                             ;   in Loop: Header=BB6_6244 Depth=2
	v_and_b32_e32 v8, 0x7fffff, v3
	v_bfe_u32 v3, v3, 23, 8
	v_cmp_gt_u32_e64 s[18:19], s51, v3
	v_sub_u32_e32 v7, 0x79, v3
	v_cmp_eq_u32_e32 vcc, 0, v3
	v_cndmask_b32_e64 v7, 0, v7, s[18:19]
	v_mov_b32_e32 v23, 0x78
	v_or_b32_e32 v22, 0x800000, v8
	v_cndmask_b32_e32 v7, v7, v23, vcc
	v_cndmask_b32_e32 v22, v22, v8, vcc
	v_add_u32_e32 v8, 20, v7
	v_lshlrev_b64 v[30:31], v8, -1
	v_mov_b32_e32 v23, v51
	v_add_u32_e32 v8, 19, v7
	v_bfi_b32 v30, v30, 0, v22
	v_lshlrev_b64 v[32:33], v8, 1
	v_lshrrev_b64 v[22:23], v7, v[22:23]
	v_bfi_b32 v31, v31, 0, 0
	v_cmp_eq_u64_e64 s[18:19], v[30:31], v[32:33]
	v_mov_b32_e32 v58, v23
	v_mov_b32_e32 v57, v22
	s_and_saveexec_b64 s[90:91], s[18:19]
; %bb.8012:                             ;   in Loop: Header=BB6_6244 Depth=2
	v_bfe_u32 v8, v22, 20, 1
	v_add_co_u32_e64 v8, s[18:19], v22, v8
	v_add_co_u32_e64 v57, s[18:19], -1, v8
; %bb.8013:                             ;   in Loop: Header=BB6_6244 Depth=2
	s_or_b64 exec, exec, s[90:91]
	v_add_u32_e32 v3, 0xffffff81, v3
	v_mov_b32_e32 v8, 0xffffff82
	v_cndmask_b32_e32 v3, v3, v8, vcc
	v_lshrrev_b32_e32 v8, 23, v22
	v_add3_u32 v8, v7, v3, v8
	v_add_u32_e32 v7, 6, v8
	v_and_b32_e32 v3, 0xfffff, v57
	v_add_u32_e32 v22, v3, v22
	v_mov_b32_e32 v23, v51
	v_cmp_ne_u32_e32 vcc, 0, v7
                                        ; implicit-def: $vgpr3
	s_and_saveexec_b64 s[18:19], vcc
	s_xor_b64 s[18:19], exec, s[18:19]
; %bb.8014:                             ;   in Loop: Header=BB6_6244 Depth=2
	v_cmp_lt_u64_e32 vcc, s[58:59], v[22:23]
	v_add_u32_e32 v3, 7, v8
	v_cndmask_b32_e32 v3, v7, v3, vcc
	v_cndmask_b32_e64 v7, 0, 1, vcc
	v_lshrrev_b64 v[22:23], v7, v[22:23]
; %bb.8015:                             ;   in Loop: Header=BB6_6244 Depth=2
	s_andn2_saveexec_b64 s[18:19], s[18:19]
; %bb.8016:                             ;   in Loop: Header=BB6_6244 Depth=2
	v_bfe_u32 v3, v22, 23, 1
; %bb.8017:                             ;   in Loop: Header=BB6_6244 Depth=2
	s_or_b64 exec, exec, s[18:19]
	v_lshrrev_b64 v[7:8], 20, v[22:23]
	v_cmp_gt_i32_e32 vcc, 16, v3
	v_cndmask_b32_e32 v8, 0, v8, vcc
	v_cndmask_b32_e32 v7, 7, v7, vcc
	v_cmp_eq_u32_e32 vcc, 0, v3
	v_min_i32_e32 v3, 15, v3
	v_cmp_eq_u64_e64 s[18:19], 0, v[7:8]
	v_lshlrev_b32_e32 v3, 3, v3
	v_and_b32_e32 v3, 0xf8, v3
	v_and_or_b32 v3, v7, 7, v3
	s_and_b64 s[18:19], vcc, s[18:19]
	v_cndmask_b32_e64 v3, v3, 0, s[18:19]
	v_or_b32_e32 v2, v3, v2
	buffer_store_dword v2, off, s[0:3], s33 offset:284 ; 4-byte Folded Spill
.LBB6_8018:                             ;   in Loop: Header=BB6_6244 Depth=2
	s_or_b64 exec, exec, s[88:89]
                                        ; implicit-def: $vgpr2
.LBB6_8019:                             ;   in Loop: Header=BB6_6244 Depth=2
	s_andn2_saveexec_b64 s[18:19], s[78:79]
	s_cbranch_execz .LBB6_8021
; %bb.8020:                             ;   in Loop: Header=BB6_6244 Depth=2
	v_or_b32_e32 v2, 0x7e, v2
	buffer_store_dword v2, off, s[0:3], s33 offset:284 ; 4-byte Folded Spill
.LBB6_8021:                             ;   in Loop: Header=BB6_6244 Depth=2
	s_or_b64 exec, exec, s[18:19]
                                        ; implicit-def: $vgpr3
.LBB6_8022:                             ;   in Loop: Header=BB6_6244 Depth=2
	s_andn2_saveexec_b64 s[18:19], s[76:77]
	s_cbranch_execz .LBB6_8024
; %bb.8023:                             ;   in Loop: Header=BB6_6244 Depth=2
	v_or_b32_sdwa v2, v3, s39 dst_sel:DWORD dst_unused:UNUSED_PAD src0_sel:BYTE_3 src1_sel:DWORD
	buffer_store_dword v2, off, s[0:3], s33 offset:284 ; 4-byte Folded Spill
.LBB6_8024:                             ;   in Loop: Header=BB6_6244 Depth=2
	s_or_b64 exec, exec, s[18:19]
	v_lshrrev_b16_e32 v22, 8, v0
	v_cmp_ne_u16_e32 vcc, 0, v22
	v_mov_b32_e32 v2, 0
	v_mov_b32_e32 v3, 0
	s_and_saveexec_b64 s[18:19], vcc
	s_cbranch_execz .LBB6_8030
; %bb.8025:                             ;   in Loop: Header=BB6_6244 Depth=2
	v_cmp_ne_u16_e32 vcc, s50, v22
	v_bfrev_b32_e32 v3, 1
	s_and_saveexec_b64 s[76:77], vcc
	s_cbranch_execz .LBB6_8029
; %bb.8026:                             ;   in Loop: Header=BB6_6244 Depth=2
	v_and_b32_e32 v7, 0x7f, v22
	v_cmp_ne_u32_e32 vcc, s39, v7
	v_mov_b32_e32 v3, 0x7f800001
	s_and_saveexec_b64 s[78:79], vcc
	s_cbranch_execz .LBB6_8028
; %bb.8027:                             ;   in Loop: Header=BB6_6244 Depth=2
	v_and_b32_e32 v3, 7, v22
	v_lshrrev_b32_e32 v23, 3, v7
	v_cmp_gt_u32_e32 vcc, 8, v7
	v_ffbh_u32_e32 v7, v3
	v_min_u32_e32 v30, 32, v7
	v_subrev_u32_e32 v7, 28, v30
	v_lshlrev_b64 v[7:8], v7, v[22:23]
	v_sub_u32_e32 v8, 29, v30
	v_and_b32_e32 v7, 7, v7
	v_cndmask_b32_e32 v8, v23, v8, vcc
	v_cndmask_b32_e32 v3, v3, v7, vcc
	v_lshlrev_b32_e32 v0, 16, v0
	v_lshlrev_b32_e32 v3, 20, v3
	v_and_b32_e32 v0, 0x80000000, v0
	v_lshl_add_u32 v7, v8, 23, v62
	v_or3_b32 v3, v0, v7, v3
.LBB6_8028:                             ;   in Loop: Header=BB6_6244 Depth=2
	s_or_b64 exec, exec, s[78:79]
.LBB6_8029:                             ;   in Loop: Header=BB6_6244 Depth=2
	s_or_b64 exec, exec, s[76:77]
.LBB6_8030:                             ;   in Loop: Header=BB6_6244 Depth=2
	s_or_b64 exec, exec, s[18:19]
	v_lshrrev_b16_e32 v22, 8, v25
	v_cmp_ne_u16_e32 vcc, 0, v22
	s_and_saveexec_b64 s[18:19], vcc
	s_cbranch_execz .LBB6_8036
; %bb.8031:                             ;   in Loop: Header=BB6_6244 Depth=2
	v_cmp_ne_u16_e32 vcc, s50, v22
	v_bfrev_b32_e32 v2, 1
	s_and_saveexec_b64 s[76:77], vcc
	s_cbranch_execz .LBB6_8035
; %bb.8032:                             ;   in Loop: Header=BB6_6244 Depth=2
	v_and_b32_e32 v0, 0x7f, v22
	v_cmp_ne_u32_e32 vcc, s39, v0
	v_mov_b32_e32 v2, 0x7f800001
	s_and_saveexec_b64 s[78:79], vcc
	s_cbranch_execz .LBB6_8034
; %bb.8033:                             ;   in Loop: Header=BB6_6244 Depth=2
	v_and_b32_e32 v2, 7, v22
	v_lshrrev_b32_e32 v23, 3, v0
	v_cmp_gt_u32_e32 vcc, 8, v0
	v_ffbh_u32_e32 v0, v2
	v_min_u32_e32 v0, 32, v0
	v_subrev_u32_e32 v7, 28, v0
	v_lshlrev_b64 v[7:8], v7, v[22:23]
	v_sub_u32_e32 v0, 29, v0
	v_and_b32_e32 v7, 7, v7
	v_cndmask_b32_e32 v0, v23, v0, vcc
	v_cndmask_b32_e32 v2, v2, v7, vcc
	v_lshlrev_b32_e32 v7, 16, v25
	v_lshlrev_b32_e32 v2, 20, v2
	v_and_b32_e32 v7, 0x80000000, v7
	v_lshl_add_u32 v0, v0, 23, v62
	v_or3_b32 v2, v7, v0, v2
.LBB6_8034:                             ;   in Loop: Header=BB6_6244 Depth=2
	s_or_b64 exec, exec, s[78:79]
.LBB6_8035:                             ;   in Loop: Header=BB6_6244 Depth=2
	s_or_b64 exec, exec, s[76:77]
.LBB6_8036:                             ;   in Loop: Header=BB6_6244 Depth=2
	s_or_b64 exec, exec, s[18:19]
	v_add_f32_e32 v2, v3, v2
	v_and_b32_e32 v7, 0x7f800000, v2
	v_mov_b32_e32 v8, v51
	v_cmp_ne_u64_e32 vcc, s[46:47], v[7:8]
                                        ; implicit-def: $vgpr0
                                        ; kill: killed $vgpr0
	s_and_saveexec_b64 s[18:19], vcc
	s_xor_b64 s[76:77], exec, s[18:19]
	s_cbranch_execz .LBB6_8050
; %bb.8037:                             ;   in Loop: Header=BB6_6244 Depth=2
	v_and_b32_e32 v7, 0x7fffffff, v2
	v_mov_b32_e32 v8, v51
	v_cmp_gt_u64_e32 vcc, s[56:57], v[7:8]
	v_and_b32_sdwa v0, v2, s50 dst_sel:DWORD dst_unused:UNUSED_PAD src0_sel:BYTE_3 src1_sel:DWORD
                                        ; implicit-def: $vgpr3
                                        ; kill: killed $vgpr3
	s_and_saveexec_b64 s[18:19], vcc
	s_xor_b64 s[78:79], exec, s[18:19]
	s_cbranch_execz .LBB6_8047
; %bb.8038:                             ;   in Loop: Header=BB6_6244 Depth=2
	v_mov_b32_e32 v3, 0
	v_cmp_ne_u32_e32 vcc, 0, v2
	buffer_store_dword v3, off, s[0:3], s33 offset:292 ; 4-byte Folded Spill
	s_and_saveexec_b64 s[88:89], vcc
	s_cbranch_execz .LBB6_8046
; %bb.8039:                             ;   in Loop: Header=BB6_6244 Depth=2
	v_and_b32_e32 v7, 0x7fffff, v2
	v_bfe_u32 v2, v2, 23, 8
	v_cmp_gt_u32_e64 s[18:19], s51, v2
	v_sub_u32_e32 v3, 0x79, v2
	v_cmp_eq_u32_e32 vcc, 0, v2
	v_cndmask_b32_e64 v3, 0, v3, s[18:19]
	v_mov_b32_e32 v22, 0x78
	v_cndmask_b32_e32 v3, v3, v22, vcc
	v_add_u32_e32 v22, 20, v3
	v_or_b32_e32 v8, 0x800000, v7
	v_lshlrev_b64 v[22:23], v22, -1
	v_add_u32_e32 v30, 19, v3
	v_cndmask_b32_e32 v7, v8, v7, vcc
	v_lshlrev_b64 v[30:31], v30, 1
	v_mov_b32_e32 v8, v51
	v_bfi_b32 v23, v23, 0, 0
	v_bfi_b32 v22, v22, 0, v7
	v_cmp_eq_u64_e64 s[18:19], v[22:23], v[30:31]
	v_lshrrev_b64 v[22:23], v3, v[7:8]
	v_mov_b32_e32 v58, v23
	v_mov_b32_e32 v57, v22
	s_and_saveexec_b64 s[90:91], s[18:19]
; %bb.8040:                             ;   in Loop: Header=BB6_6244 Depth=2
	v_bfe_u32 v7, v22, 20, 1
	v_add_co_u32_e64 v7, s[18:19], v22, v7
	v_add_co_u32_e64 v57, s[18:19], -1, v7
; %bb.8041:                             ;   in Loop: Header=BB6_6244 Depth=2
	s_or_b64 exec, exec, s[90:91]
	v_add_u32_e32 v2, 0xffffff81, v2
	v_mov_b32_e32 v7, 0xffffff82
	v_cndmask_b32_e32 v2, v2, v7, vcc
	v_lshrrev_b32_e32 v7, 23, v22
	v_add3_u32 v7, v3, v2, v7
	v_add_u32_e32 v3, 6, v7
	v_and_b32_e32 v2, 0xfffff, v57
	v_add_u32_e32 v22, v2, v22
	v_mov_b32_e32 v23, v51
	v_cmp_ne_u32_e32 vcc, 0, v3
                                        ; implicit-def: $vgpr2
	s_and_saveexec_b64 s[18:19], vcc
	s_xor_b64 s[18:19], exec, s[18:19]
; %bb.8042:                             ;   in Loop: Header=BB6_6244 Depth=2
	v_cmp_lt_u64_e32 vcc, s[58:59], v[22:23]
	v_add_u32_e32 v2, 7, v7
	v_cndmask_b32_e32 v2, v3, v2, vcc
	v_cndmask_b32_e64 v3, 0, 1, vcc
	v_lshrrev_b64 v[22:23], v3, v[22:23]
; %bb.8043:                             ;   in Loop: Header=BB6_6244 Depth=2
	s_andn2_saveexec_b64 s[18:19], s[18:19]
; %bb.8044:                             ;   in Loop: Header=BB6_6244 Depth=2
	v_bfe_u32 v2, v22, 23, 1
; %bb.8045:                             ;   in Loop: Header=BB6_6244 Depth=2
	s_or_b64 exec, exec, s[18:19]
	v_lshrrev_b64 v[7:8], 20, v[22:23]
	v_cmp_gt_i32_e32 vcc, 16, v2
	v_cndmask_b32_e32 v8, 0, v8, vcc
	v_cndmask_b32_e32 v7, 7, v7, vcc
	v_cmp_eq_u32_e32 vcc, 0, v2
	v_min_i32_e32 v2, 15, v2
	v_cmp_eq_u64_e64 s[18:19], 0, v[7:8]
	v_lshlrev_b32_e32 v2, 3, v2
	v_and_b32_e32 v2, 0xf8, v2
	v_and_or_b32 v2, v7, 7, v2
	s_and_b64 s[18:19], vcc, s[18:19]
	v_cndmask_b32_e64 v2, v2, 0, s[18:19]
	v_or_b32_e32 v0, v2, v0
	buffer_store_dword v0, off, s[0:3], s33 offset:292 ; 4-byte Folded Spill
.LBB6_8046:                             ;   in Loop: Header=BB6_6244 Depth=2
	s_or_b64 exec, exec, s[88:89]
                                        ; implicit-def: $vgpr0
.LBB6_8047:                             ;   in Loop: Header=BB6_6244 Depth=2
	s_andn2_saveexec_b64 s[18:19], s[78:79]
	s_cbranch_execz .LBB6_8049
; %bb.8048:                             ;   in Loop: Header=BB6_6244 Depth=2
	v_or_b32_e32 v0, 0x7e, v0
	buffer_store_dword v0, off, s[0:3], s33 offset:292 ; 4-byte Folded Spill
.LBB6_8049:                             ;   in Loop: Header=BB6_6244 Depth=2
	s_or_b64 exec, exec, s[18:19]
                                        ; implicit-def: $vgpr2
.LBB6_8050:                             ;   in Loop: Header=BB6_6244 Depth=2
	s_andn2_saveexec_b64 s[18:19], s[76:77]
	s_cbranch_execz .LBB6_8052
; %bb.8051:                             ;   in Loop: Header=BB6_6244 Depth=2
	v_or_b32_sdwa v0, v2, s39 dst_sel:DWORD dst_unused:UNUSED_PAD src0_sel:BYTE_3 src1_sel:DWORD
	buffer_store_dword v0, off, s[0:3], s33 offset:292 ; 4-byte Folded Spill
.LBB6_8052:                             ;   in Loop: Header=BB6_6244 Depth=2
	s_or_b64 exec, exec, s[18:19]
	v_lshrrev_b32_e32 v22, 16, v50
	v_cmp_ne_u16_sdwa s[76:77], v22, v51 src0_sel:BYTE_0 src1_sel:DWORD
	v_mov_b32_e32 v0, 0
	v_mov_b32_e32 v2, 0
	s_and_saveexec_b64 s[18:19], s[76:77]
	s_cbranch_execz .LBB6_8058
; %bb.8053:                             ;   in Loop: Header=BB6_6244 Depth=2
	v_cmp_ne_u16_sdwa s[78:79], v22, s50 src0_sel:BYTE_0 src1_sel:DWORD
	v_bfrev_b32_e32 v2, 1
	s_and_saveexec_b64 s[76:77], s[78:79]
	s_cbranch_execz .LBB6_8057
; %bb.8054:                             ;   in Loop: Header=BB6_6244 Depth=2
	v_bfe_u32 v3, v50, 16, 7
	v_cmp_ne_u32_e32 vcc, s39, v3
	v_mov_b32_e32 v2, 0x7f800001
	s_and_saveexec_b64 s[78:79], vcc
	s_cbranch_execz .LBB6_8056
; %bb.8055:                             ;   in Loop: Header=BB6_6244 Depth=2
	v_and_b32_e32 v7, 7, v22
	v_ffbh_u32_e32 v2, v7
	v_min_u32_e32 v23, 32, v2
	v_subrev_u32_e32 v2, 28, v23
	v_lshrrev_b32_e32 v8, 3, v3
	v_cmp_gt_u32_e32 vcc, 8, v3
	v_lshlrev_b64 v[2:3], v2, v[22:23]
	v_sub_u32_e32 v3, 29, v23
	v_and_b32_e32 v2, 7, v2
	v_cndmask_b32_e32 v3, v8, v3, vcc
	v_cndmask_b32_e32 v2, v7, v2, vcc
	v_lshlrev_b32_e32 v7, 24, v22
	v_lshlrev_b32_e32 v2, 20, v2
	v_and_b32_e32 v7, 0x80000000, v7
	v_lshl_add_u32 v3, v3, 23, v62
	v_or3_b32 v2, v7, v3, v2
.LBB6_8056:                             ;   in Loop: Header=BB6_6244 Depth=2
	s_or_b64 exec, exec, s[78:79]
.LBB6_8057:                             ;   in Loop: Header=BB6_6244 Depth=2
	s_or_b64 exec, exec, s[76:77]
.LBB6_8058:                             ;   in Loop: Header=BB6_6244 Depth=2
	s_or_b64 exec, exec, s[18:19]
	v_lshrrev_b32_e32 v22, 16, v25
	v_cmp_ne_u16_sdwa s[76:77], v22, v51 src0_sel:BYTE_0 src1_sel:DWORD
	s_and_saveexec_b64 s[18:19], s[76:77]
	s_cbranch_execz .LBB6_8064
; %bb.8059:                             ;   in Loop: Header=BB6_6244 Depth=2
	v_cmp_ne_u16_sdwa s[78:79], v22, s50 src0_sel:BYTE_0 src1_sel:DWORD
	v_bfrev_b32_e32 v0, 1
	s_and_saveexec_b64 s[76:77], s[78:79]
	s_cbranch_execz .LBB6_8063
; %bb.8060:                             ;   in Loop: Header=BB6_6244 Depth=2
	v_bfe_u32 v3, v25, 16, 7
	v_cmp_ne_u32_e32 vcc, s39, v3
	v_mov_b32_e32 v0, 0x7f800001
	s_and_saveexec_b64 s[78:79], vcc
	s_cbranch_execz .LBB6_8062
; %bb.8061:                             ;   in Loop: Header=BB6_6244 Depth=2
	v_and_b32_e32 v0, 7, v22
	v_lshrrev_b32_e32 v23, 3, v3
	v_cmp_gt_u32_e32 vcc, 8, v3
	v_ffbh_u32_e32 v3, v0
	v_min_u32_e32 v3, 32, v3
	v_subrev_u32_e32 v7, 28, v3
	v_lshlrev_b64 v[7:8], v7, v[22:23]
	v_sub_u32_e32 v3, 29, v3
	v_and_b32_e32 v7, 7, v7
	v_cndmask_b32_e32 v3, v23, v3, vcc
	v_cndmask_b32_e32 v0, v0, v7, vcc
	v_lshlrev_b32_e32 v7, 8, v25
	v_lshlrev_b32_e32 v0, 20, v0
	v_and_b32_e32 v7, 0x80000000, v7
	v_lshl_add_u32 v3, v3, 23, v62
	v_or3_b32 v0, v7, v3, v0
.LBB6_8062:                             ;   in Loop: Header=BB6_6244 Depth=2
	s_or_b64 exec, exec, s[78:79]
.LBB6_8063:                             ;   in Loop: Header=BB6_6244 Depth=2
	s_or_b64 exec, exec, s[76:77]
.LBB6_8064:                             ;   in Loop: Header=BB6_6244 Depth=2
	s_or_b64 exec, exec, s[18:19]
	v_add_f32_e32 v2, v2, v0
	v_and_b32_e32 v7, 0x7f800000, v2
	v_mov_b32_e32 v8, v51
	v_cmp_ne_u64_e32 vcc, s[46:47], v[7:8]
                                        ; implicit-def: $vgpr0
                                        ; kill: killed $vgpr0
	s_and_saveexec_b64 s[18:19], vcc
	s_xor_b64 s[76:77], exec, s[18:19]
	s_cbranch_execz .LBB6_8078
; %bb.8065:                             ;   in Loop: Header=BB6_6244 Depth=2
	v_and_b32_e32 v7, 0x7fffffff, v2
	v_mov_b32_e32 v8, v51
	v_cmp_gt_u64_e32 vcc, s[56:57], v[7:8]
	v_and_b32_sdwa v0, v2, s50 dst_sel:DWORD dst_unused:UNUSED_PAD src0_sel:BYTE_3 src1_sel:DWORD
                                        ; implicit-def: $vgpr3
                                        ; kill: killed $vgpr3
	s_and_saveexec_b64 s[18:19], vcc
	s_xor_b64 s[78:79], exec, s[18:19]
	s_cbranch_execz .LBB6_8075
; %bb.8066:                             ;   in Loop: Header=BB6_6244 Depth=2
	v_mov_b32_e32 v3, 0
	v_cmp_ne_u32_e32 vcc, 0, v2
	buffer_store_dword v3, off, s[0:3], s33 offset:296 ; 4-byte Folded Spill
	s_and_saveexec_b64 s[88:89], vcc
	s_cbranch_execz .LBB6_8074
; %bb.8067:                             ;   in Loop: Header=BB6_6244 Depth=2
	v_and_b32_e32 v7, 0x7fffff, v2
	v_bfe_u32 v2, v2, 23, 8
	v_cmp_gt_u32_e64 s[18:19], s51, v2
	v_sub_u32_e32 v3, 0x79, v2
	v_cmp_eq_u32_e32 vcc, 0, v2
	v_cndmask_b32_e64 v3, 0, v3, s[18:19]
	v_mov_b32_e32 v22, 0x78
	v_cndmask_b32_e32 v3, v3, v22, vcc
	v_add_u32_e32 v22, 20, v3
	v_or_b32_e32 v8, 0x800000, v7
	v_lshlrev_b64 v[22:23], v22, -1
	v_add_u32_e32 v30, 19, v3
	v_cndmask_b32_e32 v7, v8, v7, vcc
	v_lshlrev_b64 v[30:31], v30, 1
	v_mov_b32_e32 v8, v51
	v_bfi_b32 v23, v23, 0, 0
	v_bfi_b32 v22, v22, 0, v7
	v_cmp_eq_u64_e64 s[18:19], v[22:23], v[30:31]
	v_lshrrev_b64 v[22:23], v3, v[7:8]
	v_mov_b32_e32 v58, v23
	v_mov_b32_e32 v57, v22
	s_and_saveexec_b64 s[90:91], s[18:19]
; %bb.8068:                             ;   in Loop: Header=BB6_6244 Depth=2
	v_bfe_u32 v7, v22, 20, 1
	v_add_co_u32_e64 v7, s[18:19], v22, v7
	v_add_co_u32_e64 v57, s[18:19], -1, v7
; %bb.8069:                             ;   in Loop: Header=BB6_6244 Depth=2
	s_or_b64 exec, exec, s[90:91]
	v_add_u32_e32 v2, 0xffffff81, v2
	v_mov_b32_e32 v7, 0xffffff82
	v_cndmask_b32_e32 v2, v2, v7, vcc
	v_lshrrev_b32_e32 v7, 23, v22
	v_add3_u32 v7, v3, v2, v7
	v_add_u32_e32 v3, 6, v7
	v_and_b32_e32 v2, 0xfffff, v57
	v_add_u32_e32 v22, v2, v22
	v_mov_b32_e32 v23, v51
	v_cmp_ne_u32_e32 vcc, 0, v3
                                        ; implicit-def: $vgpr2
	s_and_saveexec_b64 s[18:19], vcc
	s_xor_b64 s[18:19], exec, s[18:19]
; %bb.8070:                             ;   in Loop: Header=BB6_6244 Depth=2
	v_cmp_lt_u64_e32 vcc, s[58:59], v[22:23]
	v_add_u32_e32 v2, 7, v7
	v_cndmask_b32_e32 v2, v3, v2, vcc
	v_cndmask_b32_e64 v3, 0, 1, vcc
	v_lshrrev_b64 v[22:23], v3, v[22:23]
; %bb.8071:                             ;   in Loop: Header=BB6_6244 Depth=2
	s_andn2_saveexec_b64 s[18:19], s[18:19]
; %bb.8072:                             ;   in Loop: Header=BB6_6244 Depth=2
	v_bfe_u32 v2, v22, 23, 1
; %bb.8073:                             ;   in Loop: Header=BB6_6244 Depth=2
	s_or_b64 exec, exec, s[18:19]
	v_lshrrev_b64 v[7:8], 20, v[22:23]
	v_cmp_gt_i32_e32 vcc, 16, v2
	v_cndmask_b32_e32 v8, 0, v8, vcc
	v_cndmask_b32_e32 v7, 7, v7, vcc
	v_cmp_eq_u32_e32 vcc, 0, v2
	v_min_i32_e32 v2, 15, v2
	v_cmp_eq_u64_e64 s[18:19], 0, v[7:8]
	v_lshlrev_b32_e32 v2, 3, v2
	v_and_b32_e32 v2, 0xf8, v2
	v_and_or_b32 v2, v7, 7, v2
	s_and_b64 s[18:19], vcc, s[18:19]
	v_cndmask_b32_e64 v2, v2, 0, s[18:19]
	v_or_b32_e32 v0, v2, v0
	buffer_store_dword v0, off, s[0:3], s33 offset:296 ; 4-byte Folded Spill
.LBB6_8074:                             ;   in Loop: Header=BB6_6244 Depth=2
	s_or_b64 exec, exec, s[88:89]
                                        ; implicit-def: $vgpr0
.LBB6_8075:                             ;   in Loop: Header=BB6_6244 Depth=2
	s_andn2_saveexec_b64 s[18:19], s[78:79]
	s_cbranch_execz .LBB6_8077
; %bb.8076:                             ;   in Loop: Header=BB6_6244 Depth=2
	v_or_b32_e32 v0, 0x7e, v0
	buffer_store_dword v0, off, s[0:3], s33 offset:296 ; 4-byte Folded Spill
.LBB6_8077:                             ;   in Loop: Header=BB6_6244 Depth=2
	s_or_b64 exec, exec, s[18:19]
                                        ; implicit-def: $vgpr2
.LBB6_8078:                             ;   in Loop: Header=BB6_6244 Depth=2
	s_andn2_saveexec_b64 s[18:19], s[76:77]
	s_cbranch_execz .LBB6_8080
; %bb.8079:                             ;   in Loop: Header=BB6_6244 Depth=2
	v_or_b32_sdwa v0, v2, s39 dst_sel:DWORD dst_unused:UNUSED_PAD src0_sel:BYTE_3 src1_sel:DWORD
	buffer_store_dword v0, off, s[0:3], s33 offset:296 ; 4-byte Folded Spill
.LBB6_8080:                             ;   in Loop: Header=BB6_6244 Depth=2
	s_or_b64 exec, exec, s[18:19]
	v_cmp_lt_u32_e32 vcc, s61, v50
	v_mov_b32_e32 v0, 0
	v_mov_b32_e32 v2, 0
	s_and_saveexec_b64 s[18:19], vcc
	s_cbranch_execz .LBB6_8086
; %bb.8081:                             ;   in Loop: Header=BB6_6244 Depth=2
	v_lshrrev_b32_e32 v22, 24, v50
	v_cmp_ne_u32_sdwa s[78:79], v50, s50 src0_sel:BYTE_3 src1_sel:DWORD
	v_bfrev_b32_e32 v2, 1
	s_and_saveexec_b64 s[76:77], s[78:79]
	s_cbranch_execz .LBB6_8085
; %bb.8082:                             ;   in Loop: Header=BB6_6244 Depth=2
	v_bfe_u32 v3, v50, 24, 7
	v_cmp_ne_u32_e32 vcc, s39, v3
	v_mov_b32_e32 v2, 0x7f800001
	s_and_saveexec_b64 s[78:79], vcc
	s_cbranch_execz .LBB6_8084
; %bb.8083:                             ;   in Loop: Header=BB6_6244 Depth=2
	v_and_b32_e32 v7, 7, v22
	v_ffbh_u32_e32 v2, v7
	v_min_u32_e32 v23, 32, v2
	v_subrev_u32_e32 v2, 28, v23
	v_lshrrev_b32_e32 v8, 3, v3
	v_cmp_gt_u32_e32 vcc, 8, v3
	v_lshlrev_b64 v[2:3], v2, v[22:23]
	v_sub_u32_e32 v3, 29, v23
	v_and_b32_e32 v2, 7, v2
	v_cndmask_b32_e32 v2, v7, v2, vcc
	v_mov_b32_e32 v7, 24
	v_cndmask_b32_e32 v3, v8, v3, vcc
	v_lshlrev_b32_sdwa v7, v7, v50 dst_sel:DWORD dst_unused:UNUSED_PAD src0_sel:DWORD src1_sel:BYTE_3
	v_lshlrev_b32_e32 v2, 20, v2
	v_and_b32_e32 v7, 0x80000000, v7
	v_lshl_add_u32 v3, v3, 23, v62
	v_or3_b32 v2, v7, v3, v2
.LBB6_8084:                             ;   in Loop: Header=BB6_6244 Depth=2
	s_or_b64 exec, exec, s[78:79]
.LBB6_8085:                             ;   in Loop: Header=BB6_6244 Depth=2
	s_or_b64 exec, exec, s[76:77]
.LBB6_8086:                             ;   in Loop: Header=BB6_6244 Depth=2
	s_or_b64 exec, exec, s[18:19]
	v_cmp_lt_u64_e32 vcc, s[60:61], v[24:25]
	s_and_saveexec_b64 s[18:19], vcc
	s_cbranch_execz .LBB6_8092
; %bb.8087:                             ;   in Loop: Header=BB6_6244 Depth=2
	v_lshrrev_b32_e32 v22, 24, v25
	v_cmp_ne_u32_e32 vcc, s50, v22
	v_bfrev_b32_e32 v0, 1
	s_and_saveexec_b64 s[76:77], vcc
	s_cbranch_execz .LBB6_8091
; %bb.8088:                             ;   in Loop: Header=BB6_6244 Depth=2
	v_bfe_u32 v3, v25, 24, 7
	v_cmp_ne_u32_e32 vcc, s39, v3
	v_mov_b32_e32 v0, 0x7f800001
	s_and_saveexec_b64 s[78:79], vcc
	s_cbranch_execz .LBB6_8090
; %bb.8089:                             ;   in Loop: Header=BB6_6244 Depth=2
	v_and_b32_e32 v0, 7, v22
	v_lshrrev_b32_e32 v23, 3, v3
	v_cmp_gt_u32_e32 vcc, 8, v3
	v_ffbh_u32_e32 v3, v0
	v_min_u32_e32 v3, 32, v3
	v_subrev_u32_e32 v7, 28, v3
	v_lshlrev_b64 v[7:8], v7, v[22:23]
	v_sub_u32_e32 v3, 29, v3
	v_and_b32_e32 v7, 7, v7
	v_cndmask_b32_e32 v3, v23, v3, vcc
	v_cndmask_b32_e32 v0, v0, v7, vcc
	v_lshlrev_b32_e32 v7, 24, v22
	v_lshlrev_b32_e32 v0, 20, v0
	v_and_b32_e32 v7, 0x80000000, v7
	v_lshl_add_u32 v3, v3, 23, v62
	v_or3_b32 v0, v7, v3, v0
.LBB6_8090:                             ;   in Loop: Header=BB6_6244 Depth=2
	s_or_b64 exec, exec, s[78:79]
.LBB6_8091:                             ;   in Loop: Header=BB6_6244 Depth=2
	s_or_b64 exec, exec, s[76:77]
.LBB6_8092:                             ;   in Loop: Header=BB6_6244 Depth=2
	s_or_b64 exec, exec, s[18:19]
	v_add_f32_e32 v2, v2, v0
	v_and_b32_e32 v50, 0x7f800000, v2
	v_cmp_ne_u64_e32 vcc, s[46:47], v[50:51]
                                        ; implicit-def: $vgpr0
                                        ; kill: killed $vgpr0
	s_and_saveexec_b64 s[18:19], vcc
	s_xor_b64 s[76:77], exec, s[18:19]
	s_cbranch_execz .LBB6_8106
; %bb.8093:                             ;   in Loop: Header=BB6_6244 Depth=2
	v_and_b32_e32 v50, 0x7fffffff, v2
	v_cmp_gt_u64_e32 vcc, s[56:57], v[50:51]
	v_and_b32_sdwa v0, v2, s50 dst_sel:DWORD dst_unused:UNUSED_PAD src0_sel:BYTE_3 src1_sel:DWORD
                                        ; implicit-def: $vgpr3
                                        ; kill: killed $vgpr3
	s_and_saveexec_b64 s[18:19], vcc
	s_xor_b64 s[78:79], exec, s[18:19]
	s_cbranch_execz .LBB6_8103
; %bb.8094:                             ;   in Loop: Header=BB6_6244 Depth=2
	v_mov_b32_e32 v3, 0
	v_cmp_ne_u32_e32 vcc, 0, v2
	buffer_store_dword v3, off, s[0:3], s33 offset:300 ; 4-byte Folded Spill
	s_and_saveexec_b64 s[88:89], vcc
	s_cbranch_execz .LBB6_8102
; %bb.8095:                             ;   in Loop: Header=BB6_6244 Depth=2
	v_and_b32_e32 v7, 0x7fffff, v2
	v_bfe_u32 v2, v2, 23, 8
	v_cmp_gt_u32_e64 s[18:19], s51, v2
	v_sub_u32_e32 v3, 0x79, v2
	v_cmp_eq_u32_e32 vcc, 0, v2
	v_cndmask_b32_e64 v3, 0, v3, s[18:19]
	v_mov_b32_e32 v22, 0x78
	v_or_b32_e32 v8, 0x800000, v7
	v_cndmask_b32_e32 v3, v3, v22, vcc
	v_cndmask_b32_e32 v50, v8, v7, vcc
	v_add_u32_e32 v7, 20, v3
	v_lshlrev_b64 v[7:8], v7, -1
	v_add_u32_e32 v22, 19, v3
	v_lshlrev_b64 v[22:23], v22, 1
	v_bfi_b32 v8, v8, 0, 0
	v_bfi_b32 v7, v7, 0, v50
	v_cmp_eq_u64_e64 s[18:19], v[7:8], v[22:23]
	v_lshrrev_b64 v[22:23], v3, v[50:51]
	v_mov_b32_e32 v24, v23
	v_mov_b32_e32 v23, v22
	s_and_saveexec_b64 s[90:91], s[18:19]
; %bb.8096:                             ;   in Loop: Header=BB6_6244 Depth=2
	v_bfe_u32 v7, v22, 20, 1
	v_add_co_u32_e64 v7, s[18:19], v22, v7
	v_add_co_u32_e64 v23, s[18:19], -1, v7
; %bb.8097:                             ;   in Loop: Header=BB6_6244 Depth=2
	s_or_b64 exec, exec, s[90:91]
	v_add_u32_e32 v2, 0xffffff81, v2
	v_mov_b32_e32 v7, 0xffffff82
	v_cndmask_b32_e32 v2, v2, v7, vcc
	v_lshrrev_b32_e32 v7, 23, v22
	v_add3_u32 v7, v3, v2, v7
	v_add_u32_e32 v3, 6, v7
	v_and_b32_e32 v2, 0xfffff, v23
	v_add_u32_e32 v50, v2, v22
	v_cmp_ne_u32_e32 vcc, 0, v3
                                        ; implicit-def: $vgpr22_vgpr23
                                        ; implicit-def: $vgpr2
	s_and_saveexec_b64 s[18:19], vcc
	s_xor_b64 s[18:19], exec, s[18:19]
; %bb.8098:                             ;   in Loop: Header=BB6_6244 Depth=2
	v_cmp_lt_u64_e32 vcc, s[58:59], v[50:51]
	v_add_u32_e32 v2, 7, v7
	v_cndmask_b32_e32 v2, v3, v2, vcc
	v_cndmask_b32_e64 v3, 0, 1, vcc
	v_lshrrev_b64 v[22:23], v3, v[50:51]
; %bb.8099:                             ;   in Loop: Header=BB6_6244 Depth=2
	s_andn2_saveexec_b64 s[18:19], s[18:19]
; %bb.8100:                             ;   in Loop: Header=BB6_6244 Depth=2
	v_mov_b32_e32 v22, v50
	v_bfe_u32 v2, v50, 23, 1
	v_mov_b32_e32 v23, v51
; %bb.8101:                             ;   in Loop: Header=BB6_6244 Depth=2
	s_or_b64 exec, exec, s[18:19]
	v_lshrrev_b64 v[7:8], 20, v[22:23]
	v_cmp_gt_i32_e32 vcc, 16, v2
	v_cndmask_b32_e32 v8, 0, v8, vcc
	v_cndmask_b32_e32 v7, 7, v7, vcc
	v_cmp_eq_u32_e32 vcc, 0, v2
	v_min_i32_e32 v2, 15, v2
	v_cmp_eq_u64_e64 s[18:19], 0, v[7:8]
	v_lshlrev_b32_e32 v2, 3, v2
	v_and_b32_e32 v2, 0xf8, v2
	v_and_or_b32 v2, v7, 7, v2
	s_and_b64 s[18:19], vcc, s[18:19]
	v_cndmask_b32_e64 v2, v2, 0, s[18:19]
	v_or_b32_e32 v0, v2, v0
	buffer_store_dword v0, off, s[0:3], s33 offset:300 ; 4-byte Folded Spill
.LBB6_8102:                             ;   in Loop: Header=BB6_6244 Depth=2
	s_or_b64 exec, exec, s[88:89]
                                        ; implicit-def: $vgpr0
.LBB6_8103:                             ;   in Loop: Header=BB6_6244 Depth=2
	s_andn2_saveexec_b64 s[18:19], s[78:79]
	s_cbranch_execz .LBB6_8105
; %bb.8104:                             ;   in Loop: Header=BB6_6244 Depth=2
	v_or_b32_e32 v0, 0x7e, v0
	buffer_store_dword v0, off, s[0:3], s33 offset:300 ; 4-byte Folded Spill
.LBB6_8105:                             ;   in Loop: Header=BB6_6244 Depth=2
	s_or_b64 exec, exec, s[18:19]
                                        ; implicit-def: $vgpr2
.LBB6_8106:                             ;   in Loop: Header=BB6_6244 Depth=2
	s_andn2_saveexec_b64 s[18:19], s[76:77]
	s_cbranch_execz .LBB6_8108
; %bb.8107:                             ;   in Loop: Header=BB6_6244 Depth=2
	v_or_b32_sdwa v0, v2, s39 dst_sel:DWORD dst_unused:UNUSED_PAD src0_sel:BYTE_3 src1_sel:DWORD
	buffer_store_dword v0, off, s[0:3], s33 offset:300 ; 4-byte Folded Spill
.LBB6_8108:                             ;   in Loop: Header=BB6_6244 Depth=2
	s_or_b64 exec, exec, s[18:19]
	buffer_load_dword v0, off, s[0:3], s33 offset:268 ; 4-byte Folded Reload
	v_lshlrev_b32_e32 v2, 16, v41
	v_lshlrev_b32_e32 v3, 24, v29
	v_cmp_ne_u32_e32 vcc, 0, v28
	s_waitcnt vmcnt(0)
	v_lshl_or_b32 v0, v0, 8, v28
	v_or3_b32 v50, v2, v3, v0
	v_mov_b32_e32 v2, 0
	v_mov_b32_e32 v3, 0
	s_and_saveexec_b64 s[18:19], vcc
	s_cbranch_execz .LBB6_8114
; %bb.8109:                             ;   in Loop: Header=BB6_6244 Depth=2
	v_cmp_ne_u32_e32 vcc, s50, v28
	v_bfrev_b32_e32 v3, 1
	s_and_saveexec_b64 s[76:77], vcc
	s_cbranch_execz .LBB6_8113
; %bb.8110:                             ;   in Loop: Header=BB6_6244 Depth=2
	v_and_b32_e32 v7, 0x7f, v28
	v_cmp_ne_u32_e32 vcc, s39, v7
	v_mov_b32_e32 v3, 0x7f800001
	s_and_saveexec_b64 s[78:79], vcc
	s_cbranch_execz .LBB6_8112
; %bb.8111:                             ;   in Loop: Header=BB6_6244 Depth=2
	v_and_b32_e32 v3, 7, v28
	v_ffbh_u32_e32 v3, v3
	v_min_u32_e32 v3, 32, v3
	v_lshrrev_b32_e32 v8, 3, v7
	v_cmp_gt_u32_e32 vcc, 8, v7
	v_subrev_u32_e32 v7, 28, v3
	v_sub_u32_e32 v3, 29, v3
	v_cndmask_b32_e32 v7, 0, v7, vcc
	v_cndmask_b32_e32 v3, v8, v3, vcc
	v_lshlrev_b64 v[7:8], v7, v[50:51]
	v_lshlrev_b32_e32 v8, 24, v50
	v_lshlrev_b32_e32 v7, 20, v7
	v_and_b32_e32 v7, 0x700000, v7
	v_and_b32_e32 v8, 0x80000000, v8
	v_lshl_add_u32 v3, v3, 23, v62
	v_or3_b32 v3, v8, v3, v7
.LBB6_8112:                             ;   in Loop: Header=BB6_6244 Depth=2
	s_or_b64 exec, exec, s[78:79]
.LBB6_8113:                             ;   in Loop: Header=BB6_6244 Depth=2
	s_or_b64 exec, exec, s[76:77]
.LBB6_8114:                             ;   in Loop: Header=BB6_6244 Depth=2
	s_or_b64 exec, exec, s[18:19]
	v_cmp_ne_u16_sdwa s[76:77], v18, v51 src0_sel:BYTE_0 src1_sel:DWORD
	s_and_saveexec_b64 s[18:19], s[76:77]
	s_cbranch_execz .LBB6_8120
; %bb.8115:                             ;   in Loop: Header=BB6_6244 Depth=2
	v_cmp_ne_u16_sdwa s[78:79], v18, s50 src0_sel:BYTE_0 src1_sel:DWORD
	v_bfrev_b32_e32 v2, 1
	s_and_saveexec_b64 s[76:77], s[78:79]
	s_cbranch_execz .LBB6_8119
; %bb.8116:                             ;   in Loop: Header=BB6_6244 Depth=2
	v_and_b32_e32 v7, 0x7f, v18
	v_cmp_ne_u32_e32 vcc, s39, v7
	v_mov_b32_e32 v2, 0x7f800001
	s_and_saveexec_b64 s[78:79], vcc
	s_cbranch_execz .LBB6_8118
; %bb.8117:                             ;   in Loop: Header=BB6_6244 Depth=2
	v_and_b32_e32 v2, 7, v18
	v_ffbh_u32_e32 v2, v2
	v_min_u32_e32 v2, 32, v2
	v_lshrrev_b32_e32 v8, 3, v7
	v_cmp_gt_u32_e32 vcc, 8, v7
	v_subrev_u32_e32 v7, 28, v2
	v_sub_u32_e32 v2, 29, v2
	v_cndmask_b32_e32 v7, 0, v7, vcc
	v_cndmask_b32_e32 v2, v8, v2, vcc
	v_lshlrev_b64 v[7:8], v7, v[18:19]
	v_lshlrev_b32_e32 v8, 24, v18
	v_lshlrev_b32_e32 v7, 20, v7
	v_and_b32_e32 v7, 0x700000, v7
	v_and_b32_e32 v8, 0x80000000, v8
	v_lshl_add_u32 v2, v2, 23, v62
	v_or3_b32 v2, v8, v2, v7
.LBB6_8118:                             ;   in Loop: Header=BB6_6244 Depth=2
	s_or_b64 exec, exec, s[78:79]
.LBB6_8119:                             ;   in Loop: Header=BB6_6244 Depth=2
	s_or_b64 exec, exec, s[76:77]
.LBB6_8120:                             ;   in Loop: Header=BB6_6244 Depth=2
	s_or_b64 exec, exec, s[18:19]
	v_add_f32_e32 v3, v3, v2
	v_and_b32_e32 v7, 0x7f800000, v3
	v_mov_b32_e32 v8, v51
	v_cmp_ne_u64_e32 vcc, s[46:47], v[7:8]
                                        ; implicit-def: $vgpr32
	s_and_saveexec_b64 s[18:19], vcc
	s_xor_b64 s[76:77], exec, s[18:19]
	s_cbranch_execz .LBB6_8134
; %bb.8121:                             ;   in Loop: Header=BB6_6244 Depth=2
	v_and_b32_e32 v7, 0x7fffffff, v3
	v_mov_b32_e32 v8, v51
	v_cmp_gt_u64_e32 vcc, s[56:57], v[7:8]
	v_and_b32_sdwa v2, v3, s50 dst_sel:DWORD dst_unused:UNUSED_PAD src0_sel:BYTE_3 src1_sel:DWORD
                                        ; implicit-def: $vgpr32
	s_and_saveexec_b64 s[18:19], vcc
	s_xor_b64 s[78:79], exec, s[18:19]
	s_cbranch_execz .LBB6_8131
; %bb.8122:                             ;   in Loop: Header=BB6_6244 Depth=2
	v_mov_b32_e32 v32, 0
	v_cmp_ne_u32_e32 vcc, 0, v3
	s_and_saveexec_b64 s[88:89], vcc
	s_cbranch_execz .LBB6_8130
; %bb.8123:                             ;   in Loop: Header=BB6_6244 Depth=2
	v_and_b32_e32 v8, 0x7fffff, v3
	v_bfe_u32 v3, v3, 23, 8
	v_cmp_gt_u32_e64 s[18:19], s51, v3
	v_sub_u32_e32 v7, 0x79, v3
	v_cmp_eq_u32_e32 vcc, 0, v3
	v_cndmask_b32_e64 v7, 0, v7, s[18:19]
	v_mov_b32_e32 v23, 0x78
	v_or_b32_e32 v22, 0x800000, v8
	v_cndmask_b32_e32 v7, v7, v23, vcc
	v_cndmask_b32_e32 v22, v22, v8, vcc
	v_add_u32_e32 v8, 20, v7
	v_lshlrev_b64 v[24:25], v8, -1
	v_mov_b32_e32 v23, v51
	v_add_u32_e32 v8, 19, v7
	v_bfi_b32 v24, v24, 0, v22
	v_lshlrev_b64 v[28:29], v8, 1
	v_lshrrev_b64 v[22:23], v7, v[22:23]
	v_bfi_b32 v25, v25, 0, 0
	v_cmp_eq_u64_e64 s[18:19], v[24:25], v[28:29]
	v_mov_b32_e32 v24, v23
	v_mov_b32_e32 v23, v22
	s_and_saveexec_b64 s[90:91], s[18:19]
; %bb.8124:                             ;   in Loop: Header=BB6_6244 Depth=2
	v_bfe_u32 v8, v22, 20, 1
	v_add_co_u32_e64 v8, s[18:19], v22, v8
	v_add_co_u32_e64 v23, s[18:19], -1, v8
; %bb.8125:                             ;   in Loop: Header=BB6_6244 Depth=2
	s_or_b64 exec, exec, s[90:91]
	v_add_u32_e32 v3, 0xffffff81, v3
	v_mov_b32_e32 v8, 0xffffff82
	v_cndmask_b32_e32 v3, v3, v8, vcc
	v_lshrrev_b32_e32 v8, 23, v22
	v_add3_u32 v8, v7, v3, v8
	v_add_u32_e32 v7, 6, v8
	v_and_b32_e32 v3, 0xfffff, v23
	v_add_u32_e32 v22, v3, v22
	v_mov_b32_e32 v23, v51
	v_cmp_ne_u32_e32 vcc, 0, v7
                                        ; implicit-def: $vgpr3
	s_and_saveexec_b64 s[18:19], vcc
	s_xor_b64 s[18:19], exec, s[18:19]
; %bb.8126:                             ;   in Loop: Header=BB6_6244 Depth=2
	v_cmp_lt_u64_e32 vcc, s[58:59], v[22:23]
	v_add_u32_e32 v3, 7, v8
	v_cndmask_b32_e32 v3, v7, v3, vcc
	v_cndmask_b32_e64 v7, 0, 1, vcc
	v_lshrrev_b64 v[22:23], v7, v[22:23]
; %bb.8127:                             ;   in Loop: Header=BB6_6244 Depth=2
	s_andn2_saveexec_b64 s[18:19], s[18:19]
; %bb.8128:                             ;   in Loop: Header=BB6_6244 Depth=2
	v_bfe_u32 v3, v22, 23, 1
; %bb.8129:                             ;   in Loop: Header=BB6_6244 Depth=2
	s_or_b64 exec, exec, s[18:19]
	v_lshrrev_b64 v[7:8], 20, v[22:23]
	v_cmp_gt_i32_e32 vcc, 16, v3
	v_cndmask_b32_e32 v8, 0, v8, vcc
	v_cndmask_b32_e32 v7, 7, v7, vcc
	v_cmp_eq_u32_e32 vcc, 0, v3
	v_min_i32_e32 v3, 15, v3
	v_cmp_eq_u64_e64 s[18:19], 0, v[7:8]
	v_lshlrev_b32_e32 v3, 3, v3
	v_and_b32_e32 v3, 0xf8, v3
	v_and_or_b32 v3, v7, 7, v3
	s_and_b64 s[18:19], vcc, s[18:19]
	v_cndmask_b32_e64 v3, v3, 0, s[18:19]
	v_or_b32_e32 v32, v3, v2
.LBB6_8130:                             ;   in Loop: Header=BB6_6244 Depth=2
	s_or_b64 exec, exec, s[88:89]
                                        ; implicit-def: $vgpr2
.LBB6_8131:                             ;   in Loop: Header=BB6_6244 Depth=2
	s_andn2_saveexec_b64 s[18:19], s[78:79]
; %bb.8132:                             ;   in Loop: Header=BB6_6244 Depth=2
	v_or_b32_e32 v32, 0x7e, v2
; %bb.8133:                             ;   in Loop: Header=BB6_6244 Depth=2
	s_or_b64 exec, exec, s[18:19]
                                        ; implicit-def: $vgpr3
.LBB6_8134:                             ;   in Loop: Header=BB6_6244 Depth=2
	s_andn2_saveexec_b64 s[18:19], s[76:77]
; %bb.8135:                             ;   in Loop: Header=BB6_6244 Depth=2
	v_or_b32_sdwa v32, v3, s39 dst_sel:DWORD dst_unused:UNUSED_PAD src0_sel:BYTE_3 src1_sel:DWORD
; %bb.8136:                             ;   in Loop: Header=BB6_6244 Depth=2
	s_or_b64 exec, exec, s[18:19]
	v_lshrrev_b16_e32 v22, 8, v0
	v_cmp_ne_u16_e32 vcc, 0, v22
	v_mov_b32_e32 v2, 0
	v_mov_b32_e32 v3, 0
	s_and_saveexec_b64 s[18:19], vcc
	s_cbranch_execz .LBB6_8142
; %bb.8137:                             ;   in Loop: Header=BB6_6244 Depth=2
	v_cmp_ne_u16_e32 vcc, s50, v22
	v_bfrev_b32_e32 v3, 1
	s_and_saveexec_b64 s[76:77], vcc
	s_cbranch_execz .LBB6_8141
; %bb.8138:                             ;   in Loop: Header=BB6_6244 Depth=2
	v_and_b32_e32 v7, 0x7f, v22
	v_cmp_ne_u32_e32 vcc, s39, v7
	v_mov_b32_e32 v3, 0x7f800001
	s_and_saveexec_b64 s[78:79], vcc
	s_cbranch_execz .LBB6_8140
; %bb.8139:                             ;   in Loop: Header=BB6_6244 Depth=2
	v_and_b32_e32 v3, 7, v22
	v_lshrrev_b32_e32 v23, 3, v7
	v_cmp_gt_u32_e32 vcc, 8, v7
	v_ffbh_u32_e32 v7, v3
	v_min_u32_e32 v24, 32, v7
	v_subrev_u32_e32 v7, 28, v24
	v_lshlrev_b64 v[7:8], v7, v[22:23]
	v_sub_u32_e32 v8, 29, v24
	v_and_b32_e32 v7, 7, v7
	v_cndmask_b32_e32 v8, v23, v8, vcc
	v_cndmask_b32_e32 v3, v3, v7, vcc
	v_lshlrev_b32_e32 v0, 16, v0
	v_lshlrev_b32_e32 v3, 20, v3
	v_and_b32_e32 v0, 0x80000000, v0
	v_lshl_add_u32 v7, v8, 23, v62
	v_or3_b32 v3, v0, v7, v3
.LBB6_8140:                             ;   in Loop: Header=BB6_6244 Depth=2
	s_or_b64 exec, exec, s[78:79]
.LBB6_8141:                             ;   in Loop: Header=BB6_6244 Depth=2
	s_or_b64 exec, exec, s[76:77]
.LBB6_8142:                             ;   in Loop: Header=BB6_6244 Depth=2
	s_or_b64 exec, exec, s[18:19]
	v_lshrrev_b16_e32 v22, 8, v18
	v_cmp_ne_u16_e32 vcc, 0, v22
	s_and_saveexec_b64 s[18:19], vcc
	s_cbranch_execz .LBB6_8148
; %bb.8143:                             ;   in Loop: Header=BB6_6244 Depth=2
	v_cmp_ne_u16_e32 vcc, s50, v22
	v_bfrev_b32_e32 v2, 1
	s_and_saveexec_b64 s[76:77], vcc
	s_cbranch_execz .LBB6_8147
; %bb.8144:                             ;   in Loop: Header=BB6_6244 Depth=2
	v_and_b32_e32 v0, 0x7f, v22
	v_cmp_ne_u32_e32 vcc, s39, v0
	v_mov_b32_e32 v2, 0x7f800001
	s_and_saveexec_b64 s[78:79], vcc
	s_cbranch_execz .LBB6_8146
; %bb.8145:                             ;   in Loop: Header=BB6_6244 Depth=2
	v_and_b32_e32 v2, 7, v22
	v_lshrrev_b32_e32 v23, 3, v0
	v_cmp_gt_u32_e32 vcc, 8, v0
	v_ffbh_u32_e32 v0, v2
	v_min_u32_e32 v0, 32, v0
	v_subrev_u32_e32 v7, 28, v0
	v_lshlrev_b64 v[7:8], v7, v[22:23]
	v_sub_u32_e32 v0, 29, v0
	v_and_b32_e32 v7, 7, v7
	v_cndmask_b32_e32 v0, v23, v0, vcc
	v_cndmask_b32_e32 v2, v2, v7, vcc
	v_lshlrev_b32_e32 v7, 16, v18
	v_lshlrev_b32_e32 v2, 20, v2
	v_and_b32_e32 v7, 0x80000000, v7
	v_lshl_add_u32 v0, v0, 23, v62
	v_or3_b32 v2, v7, v0, v2
.LBB6_8146:                             ;   in Loop: Header=BB6_6244 Depth=2
	s_or_b64 exec, exec, s[78:79]
.LBB6_8147:                             ;   in Loop: Header=BB6_6244 Depth=2
	s_or_b64 exec, exec, s[76:77]
.LBB6_8148:                             ;   in Loop: Header=BB6_6244 Depth=2
	s_or_b64 exec, exec, s[18:19]
	v_add_f32_e32 v2, v3, v2
	v_and_b32_e32 v7, 0x7f800000, v2
	v_mov_b32_e32 v8, v51
	v_cmp_ne_u64_e32 vcc, s[46:47], v[7:8]
                                        ; implicit-def: $vgpr33
	s_and_saveexec_b64 s[18:19], vcc
	s_xor_b64 s[76:77], exec, s[18:19]
	s_cbranch_execz .LBB6_8162
; %bb.8149:                             ;   in Loop: Header=BB6_6244 Depth=2
	v_and_b32_e32 v7, 0x7fffffff, v2
	v_mov_b32_e32 v8, v51
	v_cmp_gt_u64_e32 vcc, s[56:57], v[7:8]
	v_and_b32_sdwa v0, v2, s50 dst_sel:DWORD dst_unused:UNUSED_PAD src0_sel:BYTE_3 src1_sel:DWORD
                                        ; implicit-def: $vgpr33
	s_and_saveexec_b64 s[18:19], vcc
	s_xor_b64 s[78:79], exec, s[18:19]
	s_cbranch_execz .LBB6_8159
; %bb.8150:                             ;   in Loop: Header=BB6_6244 Depth=2
	v_mov_b32_e32 v33, 0
	v_cmp_ne_u32_e32 vcc, 0, v2
	s_and_saveexec_b64 s[88:89], vcc
	s_cbranch_execz .LBB6_8158
; %bb.8151:                             ;   in Loop: Header=BB6_6244 Depth=2
	v_and_b32_e32 v7, 0x7fffff, v2
	v_bfe_u32 v2, v2, 23, 8
	v_cmp_gt_u32_e64 s[18:19], s51, v2
	v_sub_u32_e32 v3, 0x79, v2
	v_cmp_eq_u32_e32 vcc, 0, v2
	v_cndmask_b32_e64 v3, 0, v3, s[18:19]
	v_mov_b32_e32 v22, 0x78
	v_cndmask_b32_e32 v3, v3, v22, vcc
	v_add_u32_e32 v22, 20, v3
	v_or_b32_e32 v8, 0x800000, v7
	v_lshlrev_b64 v[22:23], v22, -1
	v_add_u32_e32 v24, 19, v3
	v_cndmask_b32_e32 v7, v8, v7, vcc
	v_lshlrev_b64 v[24:25], v24, 1
	v_mov_b32_e32 v8, v51
	v_bfi_b32 v23, v23, 0, 0
	v_bfi_b32 v22, v22, 0, v7
	v_cmp_eq_u64_e64 s[18:19], v[22:23], v[24:25]
	v_lshrrev_b64 v[22:23], v3, v[7:8]
	v_mov_b32_e32 v24, v23
	v_mov_b32_e32 v23, v22
	s_and_saveexec_b64 s[90:91], s[18:19]
; %bb.8152:                             ;   in Loop: Header=BB6_6244 Depth=2
	v_bfe_u32 v7, v22, 20, 1
	v_add_co_u32_e64 v7, s[18:19], v22, v7
	v_add_co_u32_e64 v23, s[18:19], -1, v7
; %bb.8153:                             ;   in Loop: Header=BB6_6244 Depth=2
	s_or_b64 exec, exec, s[90:91]
	v_add_u32_e32 v2, 0xffffff81, v2
	v_mov_b32_e32 v7, 0xffffff82
	v_cndmask_b32_e32 v2, v2, v7, vcc
	v_lshrrev_b32_e32 v7, 23, v22
	v_add3_u32 v7, v3, v2, v7
	v_add_u32_e32 v3, 6, v7
	v_and_b32_e32 v2, 0xfffff, v23
	v_add_u32_e32 v22, v2, v22
	v_mov_b32_e32 v23, v51
	v_cmp_ne_u32_e32 vcc, 0, v3
                                        ; implicit-def: $vgpr2
	s_and_saveexec_b64 s[18:19], vcc
	s_xor_b64 s[18:19], exec, s[18:19]
; %bb.8154:                             ;   in Loop: Header=BB6_6244 Depth=2
	v_cmp_lt_u64_e32 vcc, s[58:59], v[22:23]
	v_add_u32_e32 v2, 7, v7
	v_cndmask_b32_e32 v2, v3, v2, vcc
	v_cndmask_b32_e64 v3, 0, 1, vcc
	v_lshrrev_b64 v[22:23], v3, v[22:23]
; %bb.8155:                             ;   in Loop: Header=BB6_6244 Depth=2
	s_andn2_saveexec_b64 s[18:19], s[18:19]
; %bb.8156:                             ;   in Loop: Header=BB6_6244 Depth=2
	v_bfe_u32 v2, v22, 23, 1
; %bb.8157:                             ;   in Loop: Header=BB6_6244 Depth=2
	s_or_b64 exec, exec, s[18:19]
	v_lshrrev_b64 v[7:8], 20, v[22:23]
	v_cmp_gt_i32_e32 vcc, 16, v2
	v_cndmask_b32_e32 v8, 0, v8, vcc
	v_cndmask_b32_e32 v7, 7, v7, vcc
	v_cmp_eq_u32_e32 vcc, 0, v2
	v_min_i32_e32 v2, 15, v2
	v_cmp_eq_u64_e64 s[18:19], 0, v[7:8]
	v_lshlrev_b32_e32 v2, 3, v2
	v_and_b32_e32 v2, 0xf8, v2
	v_and_or_b32 v2, v7, 7, v2
	s_and_b64 s[18:19], vcc, s[18:19]
	v_cndmask_b32_e64 v2, v2, 0, s[18:19]
	v_or_b32_e32 v33, v2, v0
.LBB6_8158:                             ;   in Loop: Header=BB6_6244 Depth=2
	s_or_b64 exec, exec, s[88:89]
                                        ; implicit-def: $vgpr0
.LBB6_8159:                             ;   in Loop: Header=BB6_6244 Depth=2
	s_andn2_saveexec_b64 s[18:19], s[78:79]
; %bb.8160:                             ;   in Loop: Header=BB6_6244 Depth=2
	v_or_b32_e32 v33, 0x7e, v0
; %bb.8161:                             ;   in Loop: Header=BB6_6244 Depth=2
	s_or_b64 exec, exec, s[18:19]
                                        ; implicit-def: $vgpr2
.LBB6_8162:                             ;   in Loop: Header=BB6_6244 Depth=2
	s_andn2_saveexec_b64 s[18:19], s[76:77]
; %bb.8163:                             ;   in Loop: Header=BB6_6244 Depth=2
	v_or_b32_sdwa v33, v2, s39 dst_sel:DWORD dst_unused:UNUSED_PAD src0_sel:BYTE_3 src1_sel:DWORD
; %bb.8164:                             ;   in Loop: Header=BB6_6244 Depth=2
	s_or_b64 exec, exec, s[18:19]
	v_lshrrev_b32_e32 v22, 16, v50
	v_cmp_ne_u16_sdwa s[76:77], v22, v51 src0_sel:BYTE_0 src1_sel:DWORD
	v_mov_b32_e32 v0, 0
	v_mov_b32_e32 v2, 0
	s_and_saveexec_b64 s[18:19], s[76:77]
	s_cbranch_execz .LBB6_8170
; %bb.8165:                             ;   in Loop: Header=BB6_6244 Depth=2
	v_cmp_ne_u16_sdwa s[78:79], v22, s50 src0_sel:BYTE_0 src1_sel:DWORD
	v_bfrev_b32_e32 v2, 1
	s_and_saveexec_b64 s[76:77], s[78:79]
	s_cbranch_execz .LBB6_8169
; %bb.8166:                             ;   in Loop: Header=BB6_6244 Depth=2
	v_bfe_u32 v3, v50, 16, 7
	v_cmp_ne_u32_e32 vcc, s39, v3
	v_mov_b32_e32 v2, 0x7f800001
	s_and_saveexec_b64 s[78:79], vcc
	s_cbranch_execz .LBB6_8168
; %bb.8167:                             ;   in Loop: Header=BB6_6244 Depth=2
	v_and_b32_e32 v7, 7, v22
	v_ffbh_u32_e32 v2, v7
	v_min_u32_e32 v23, 32, v2
	v_subrev_u32_e32 v2, 28, v23
	v_lshrrev_b32_e32 v8, 3, v3
	v_cmp_gt_u32_e32 vcc, 8, v3
	v_lshlrev_b64 v[2:3], v2, v[22:23]
	v_sub_u32_e32 v3, 29, v23
	v_and_b32_e32 v2, 7, v2
	v_cndmask_b32_e32 v3, v8, v3, vcc
	v_cndmask_b32_e32 v2, v7, v2, vcc
	v_lshlrev_b32_e32 v7, 24, v22
	v_lshlrev_b32_e32 v2, 20, v2
	v_and_b32_e32 v7, 0x80000000, v7
	v_lshl_add_u32 v3, v3, 23, v62
	v_or3_b32 v2, v7, v3, v2
.LBB6_8168:                             ;   in Loop: Header=BB6_6244 Depth=2
	s_or_b64 exec, exec, s[78:79]
.LBB6_8169:                             ;   in Loop: Header=BB6_6244 Depth=2
	s_or_b64 exec, exec, s[76:77]
.LBB6_8170:                             ;   in Loop: Header=BB6_6244 Depth=2
	s_or_b64 exec, exec, s[18:19]
	v_lshrrev_b32_e32 v22, 16, v18
	v_cmp_ne_u16_sdwa s[76:77], v22, v51 src0_sel:BYTE_0 src1_sel:DWORD
	s_and_saveexec_b64 s[18:19], s[76:77]
	s_cbranch_execz .LBB6_8176
; %bb.8171:                             ;   in Loop: Header=BB6_6244 Depth=2
	v_cmp_ne_u16_sdwa s[78:79], v22, s50 src0_sel:BYTE_0 src1_sel:DWORD
	v_bfrev_b32_e32 v0, 1
	s_and_saveexec_b64 s[76:77], s[78:79]
	s_cbranch_execz .LBB6_8175
; %bb.8172:                             ;   in Loop: Header=BB6_6244 Depth=2
	v_bfe_u32 v3, v18, 16, 7
	v_cmp_ne_u32_e32 vcc, s39, v3
	v_mov_b32_e32 v0, 0x7f800001
	s_and_saveexec_b64 s[78:79], vcc
	s_cbranch_execz .LBB6_8174
; %bb.8173:                             ;   in Loop: Header=BB6_6244 Depth=2
	v_and_b32_e32 v0, 7, v22
	v_lshrrev_b32_e32 v23, 3, v3
	v_cmp_gt_u32_e32 vcc, 8, v3
	v_ffbh_u32_e32 v3, v0
	v_min_u32_e32 v3, 32, v3
	v_subrev_u32_e32 v7, 28, v3
	v_lshlrev_b64 v[7:8], v7, v[22:23]
	v_sub_u32_e32 v3, 29, v3
	v_and_b32_e32 v7, 7, v7
	v_cndmask_b32_e32 v3, v23, v3, vcc
	v_cndmask_b32_e32 v0, v0, v7, vcc
	v_lshlrev_b32_e32 v7, 8, v18
	v_lshlrev_b32_e32 v0, 20, v0
	v_and_b32_e32 v7, 0x80000000, v7
	v_lshl_add_u32 v3, v3, 23, v62
	v_or3_b32 v0, v7, v3, v0
.LBB6_8174:                             ;   in Loop: Header=BB6_6244 Depth=2
	s_or_b64 exec, exec, s[78:79]
.LBB6_8175:                             ;   in Loop: Header=BB6_6244 Depth=2
	s_or_b64 exec, exec, s[76:77]
.LBB6_8176:                             ;   in Loop: Header=BB6_6244 Depth=2
	s_or_b64 exec, exec, s[18:19]
	v_add_f32_e32 v2, v2, v0
	v_and_b32_e32 v7, 0x7f800000, v2
	v_mov_b32_e32 v8, v51
	v_cmp_ne_u64_e32 vcc, s[46:47], v[7:8]
                                        ; implicit-def: $vgpr0
                                        ; kill: killed $vgpr0
	s_and_saveexec_b64 s[18:19], vcc
	s_xor_b64 s[76:77], exec, s[18:19]
	s_cbranch_execz .LBB6_8190
; %bb.8177:                             ;   in Loop: Header=BB6_6244 Depth=2
	v_and_b32_e32 v7, 0x7fffffff, v2
	v_mov_b32_e32 v8, v51
	v_cmp_gt_u64_e32 vcc, s[56:57], v[7:8]
	v_and_b32_sdwa v0, v2, s50 dst_sel:DWORD dst_unused:UNUSED_PAD src0_sel:BYTE_3 src1_sel:DWORD
                                        ; implicit-def: $vgpr3
                                        ; kill: killed $vgpr3
	s_and_saveexec_b64 s[18:19], vcc
	s_xor_b64 s[78:79], exec, s[18:19]
	s_cbranch_execz .LBB6_8187
; %bb.8178:                             ;   in Loop: Header=BB6_6244 Depth=2
	v_mov_b32_e32 v3, 0
	v_cmp_ne_u32_e32 vcc, 0, v2
	buffer_store_dword v3, off, s[0:3], s33 offset:268 ; 4-byte Folded Spill
	s_and_saveexec_b64 s[88:89], vcc
	s_cbranch_execz .LBB6_8186
; %bb.8179:                             ;   in Loop: Header=BB6_6244 Depth=2
	v_and_b32_e32 v7, 0x7fffff, v2
	v_bfe_u32 v2, v2, 23, 8
	v_cmp_gt_u32_e64 s[18:19], s51, v2
	v_sub_u32_e32 v3, 0x79, v2
	v_cmp_eq_u32_e32 vcc, 0, v2
	v_cndmask_b32_e64 v3, 0, v3, s[18:19]
	v_mov_b32_e32 v22, 0x78
	v_cndmask_b32_e32 v3, v3, v22, vcc
	v_add_u32_e32 v22, 20, v3
	v_or_b32_e32 v8, 0x800000, v7
	v_lshlrev_b64 v[22:23], v22, -1
	v_add_u32_e32 v24, 19, v3
	v_cndmask_b32_e32 v7, v8, v7, vcc
	v_lshlrev_b64 v[24:25], v24, 1
	v_mov_b32_e32 v8, v51
	v_bfi_b32 v23, v23, 0, 0
	v_bfi_b32 v22, v22, 0, v7
	v_cmp_eq_u64_e64 s[18:19], v[22:23], v[24:25]
	v_lshrrev_b64 v[22:23], v3, v[7:8]
	v_mov_b32_e32 v24, v23
	v_mov_b32_e32 v23, v22
	s_and_saveexec_b64 s[90:91], s[18:19]
; %bb.8180:                             ;   in Loop: Header=BB6_6244 Depth=2
	v_bfe_u32 v7, v22, 20, 1
	v_add_co_u32_e64 v7, s[18:19], v22, v7
	v_add_co_u32_e64 v23, s[18:19], -1, v7
; %bb.8181:                             ;   in Loop: Header=BB6_6244 Depth=2
	s_or_b64 exec, exec, s[90:91]
	v_add_u32_e32 v2, 0xffffff81, v2
	v_mov_b32_e32 v7, 0xffffff82
	v_cndmask_b32_e32 v2, v2, v7, vcc
	v_lshrrev_b32_e32 v7, 23, v22
	v_add3_u32 v7, v3, v2, v7
	v_add_u32_e32 v3, 6, v7
	v_and_b32_e32 v2, 0xfffff, v23
	v_add_u32_e32 v22, v2, v22
	v_mov_b32_e32 v23, v51
	v_cmp_ne_u32_e32 vcc, 0, v3
                                        ; implicit-def: $vgpr2
	s_and_saveexec_b64 s[18:19], vcc
	s_xor_b64 s[18:19], exec, s[18:19]
; %bb.8182:                             ;   in Loop: Header=BB6_6244 Depth=2
	v_cmp_lt_u64_e32 vcc, s[58:59], v[22:23]
	v_add_u32_e32 v2, 7, v7
	v_cndmask_b32_e32 v2, v3, v2, vcc
	v_cndmask_b32_e64 v3, 0, 1, vcc
	v_lshrrev_b64 v[22:23], v3, v[22:23]
; %bb.8183:                             ;   in Loop: Header=BB6_6244 Depth=2
	s_andn2_saveexec_b64 s[18:19], s[18:19]
; %bb.8184:                             ;   in Loop: Header=BB6_6244 Depth=2
	v_bfe_u32 v2, v22, 23, 1
; %bb.8185:                             ;   in Loop: Header=BB6_6244 Depth=2
	s_or_b64 exec, exec, s[18:19]
	v_lshrrev_b64 v[7:8], 20, v[22:23]
	v_cmp_gt_i32_e32 vcc, 16, v2
	v_cndmask_b32_e32 v8, 0, v8, vcc
	v_cndmask_b32_e32 v7, 7, v7, vcc
	v_cmp_eq_u32_e32 vcc, 0, v2
	v_min_i32_e32 v2, 15, v2
	v_cmp_eq_u64_e64 s[18:19], 0, v[7:8]
	v_lshlrev_b32_e32 v2, 3, v2
	v_and_b32_e32 v2, 0xf8, v2
	v_and_or_b32 v2, v7, 7, v2
	s_and_b64 s[18:19], vcc, s[18:19]
	v_cndmask_b32_e64 v2, v2, 0, s[18:19]
	v_or_b32_e32 v0, v2, v0
	buffer_store_dword v0, off, s[0:3], s33 offset:268 ; 4-byte Folded Spill
.LBB6_8186:                             ;   in Loop: Header=BB6_6244 Depth=2
	s_or_b64 exec, exec, s[88:89]
                                        ; implicit-def: $vgpr0
.LBB6_8187:                             ;   in Loop: Header=BB6_6244 Depth=2
	s_andn2_saveexec_b64 s[18:19], s[78:79]
	s_cbranch_execz .LBB6_8189
; %bb.8188:                             ;   in Loop: Header=BB6_6244 Depth=2
	v_or_b32_e32 v0, 0x7e, v0
	buffer_store_dword v0, off, s[0:3], s33 offset:268 ; 4-byte Folded Spill
.LBB6_8189:                             ;   in Loop: Header=BB6_6244 Depth=2
	s_or_b64 exec, exec, s[18:19]
                                        ; implicit-def: $vgpr2
.LBB6_8190:                             ;   in Loop: Header=BB6_6244 Depth=2
	s_andn2_saveexec_b64 s[18:19], s[76:77]
	s_cbranch_execz .LBB6_8192
; %bb.8191:                             ;   in Loop: Header=BB6_6244 Depth=2
	v_or_b32_sdwa v0, v2, s39 dst_sel:DWORD dst_unused:UNUSED_PAD src0_sel:BYTE_3 src1_sel:DWORD
	buffer_store_dword v0, off, s[0:3], s33 offset:268 ; 4-byte Folded Spill
.LBB6_8192:                             ;   in Loop: Header=BB6_6244 Depth=2
	s_or_b64 exec, exec, s[18:19]
	v_cmp_lt_u32_e32 vcc, s61, v50
	v_mov_b32_e32 v0, 0
	v_mov_b32_e32 v2, 0
	s_and_saveexec_b64 s[18:19], vcc
	s_cbranch_execz .LBB6_8198
; %bb.8193:                             ;   in Loop: Header=BB6_6244 Depth=2
	v_lshrrev_b32_e32 v22, 24, v50
	v_cmp_ne_u32_sdwa s[78:79], v50, s50 src0_sel:BYTE_3 src1_sel:DWORD
	v_bfrev_b32_e32 v2, 1
	s_and_saveexec_b64 s[76:77], s[78:79]
	s_cbranch_execz .LBB6_8197
; %bb.8194:                             ;   in Loop: Header=BB6_6244 Depth=2
	v_bfe_u32 v3, v50, 24, 7
	v_cmp_ne_u32_e32 vcc, s39, v3
	v_mov_b32_e32 v2, 0x7f800001
	s_and_saveexec_b64 s[78:79], vcc
	s_cbranch_execz .LBB6_8196
; %bb.8195:                             ;   in Loop: Header=BB6_6244 Depth=2
	v_and_b32_e32 v7, 7, v22
	v_ffbh_u32_e32 v2, v7
	v_min_u32_e32 v23, 32, v2
	v_subrev_u32_e32 v2, 28, v23
	v_lshrrev_b32_e32 v8, 3, v3
	v_cmp_gt_u32_e32 vcc, 8, v3
	v_lshlrev_b64 v[2:3], v2, v[22:23]
	v_sub_u32_e32 v3, 29, v23
	v_and_b32_e32 v2, 7, v2
	v_cndmask_b32_e32 v2, v7, v2, vcc
	v_mov_b32_e32 v7, 24
	v_cndmask_b32_e32 v3, v8, v3, vcc
	v_lshlrev_b32_sdwa v7, v7, v50 dst_sel:DWORD dst_unused:UNUSED_PAD src0_sel:DWORD src1_sel:BYTE_3
	v_lshlrev_b32_e32 v2, 20, v2
	v_and_b32_e32 v7, 0x80000000, v7
	v_lshl_add_u32 v3, v3, 23, v62
	v_or3_b32 v2, v7, v3, v2
.LBB6_8196:                             ;   in Loop: Header=BB6_6244 Depth=2
	s_or_b64 exec, exec, s[78:79]
.LBB6_8197:                             ;   in Loop: Header=BB6_6244 Depth=2
	s_or_b64 exec, exec, s[76:77]
.LBB6_8198:                             ;   in Loop: Header=BB6_6244 Depth=2
	s_or_b64 exec, exec, s[18:19]
	v_cmp_lt_u32_e32 vcc, s61, v18
	s_and_saveexec_b64 s[18:19], vcc
	s_cbranch_execz .LBB6_8204
; %bb.8199:                             ;   in Loop: Header=BB6_6244 Depth=2
	v_lshrrev_b32_e32 v22, 24, v18
	v_cmp_ne_u32_e32 vcc, s50, v22
	v_bfrev_b32_e32 v0, 1
	s_and_saveexec_b64 s[76:77], vcc
	s_cbranch_execz .LBB6_8203
; %bb.8200:                             ;   in Loop: Header=BB6_6244 Depth=2
	v_bfe_u32 v3, v18, 24, 7
	v_cmp_ne_u32_e32 vcc, s39, v3
	v_mov_b32_e32 v0, 0x7f800001
	s_and_saveexec_b64 s[78:79], vcc
	s_cbranch_execz .LBB6_8202
; %bb.8201:                             ;   in Loop: Header=BB6_6244 Depth=2
	v_and_b32_e32 v0, 7, v22
	v_lshrrev_b32_e32 v23, 3, v3
	v_cmp_gt_u32_e32 vcc, 8, v3
	v_ffbh_u32_e32 v3, v0
	v_min_u32_e32 v3, 32, v3
	v_subrev_u32_e32 v7, 28, v3
	v_lshlrev_b64 v[7:8], v7, v[22:23]
	v_sub_u32_e32 v3, 29, v3
	v_and_b32_e32 v7, 7, v7
	v_cndmask_b32_e32 v3, v23, v3, vcc
	v_cndmask_b32_e32 v0, v0, v7, vcc
	v_lshlrev_b32_e32 v7, 24, v22
	v_lshlrev_b32_e32 v0, 20, v0
	v_and_b32_e32 v7, 0x80000000, v7
	v_lshl_add_u32 v3, v3, 23, v62
	v_or3_b32 v0, v7, v3, v0
.LBB6_8202:                             ;   in Loop: Header=BB6_6244 Depth=2
	s_or_b64 exec, exec, s[78:79]
.LBB6_8203:                             ;   in Loop: Header=BB6_6244 Depth=2
	s_or_b64 exec, exec, s[76:77]
.LBB6_8204:                             ;   in Loop: Header=BB6_6244 Depth=2
	s_or_b64 exec, exec, s[18:19]
	v_add_f32_e32 v2, v2, v0
	v_and_b32_e32 v50, 0x7f800000, v2
	v_cmp_ne_u64_e32 vcc, s[46:47], v[50:51]
                                        ; implicit-def: $vgpr0
                                        ; kill: killed $vgpr0
	s_and_saveexec_b64 s[18:19], vcc
	s_xor_b64 s[76:77], exec, s[18:19]
	s_cbranch_execz .LBB6_8218
; %bb.8205:                             ;   in Loop: Header=BB6_6244 Depth=2
	v_and_b32_e32 v50, 0x7fffffff, v2
	v_cmp_gt_u64_e32 vcc, s[56:57], v[50:51]
	v_and_b32_sdwa v0, v2, s50 dst_sel:DWORD dst_unused:UNUSED_PAD src0_sel:BYTE_3 src1_sel:DWORD
                                        ; implicit-def: $vgpr3
                                        ; kill: killed $vgpr3
	s_and_saveexec_b64 s[18:19], vcc
	s_xor_b64 s[78:79], exec, s[18:19]
	s_cbranch_execz .LBB6_8215
; %bb.8206:                             ;   in Loop: Header=BB6_6244 Depth=2
	v_mov_b32_e32 v3, 0
	v_cmp_ne_u32_e32 vcc, 0, v2
	buffer_store_dword v3, off, s[0:3], s33 offset:308 ; 4-byte Folded Spill
	s_and_saveexec_b64 s[88:89], vcc
	s_cbranch_execz .LBB6_8214
; %bb.8207:                             ;   in Loop: Header=BB6_6244 Depth=2
	v_and_b32_e32 v7, 0x7fffff, v2
	v_bfe_u32 v2, v2, 23, 8
	v_cmp_gt_u32_e64 s[18:19], s51, v2
	v_sub_u32_e32 v3, 0x79, v2
	v_cmp_eq_u32_e32 vcc, 0, v2
	v_cndmask_b32_e64 v3, 0, v3, s[18:19]
	v_mov_b32_e32 v22, 0x78
	v_or_b32_e32 v8, 0x800000, v7
	v_cndmask_b32_e32 v3, v3, v22, vcc
	v_cndmask_b32_e32 v50, v8, v7, vcc
	v_add_u32_e32 v7, 20, v3
	v_lshlrev_b64 v[7:8], v7, -1
	v_add_u32_e32 v22, 19, v3
	v_lshlrev_b64 v[22:23], v22, 1
	v_bfi_b32 v8, v8, 0, 0
	v_bfi_b32 v7, v7, 0, v50
	v_cmp_eq_u64_e64 s[18:19], v[7:8], v[22:23]
	v_lshrrev_b64 v[22:23], v3, v[50:51]
	v_mov_b32_e32 v24, v23
	v_mov_b32_e32 v23, v22
	s_and_saveexec_b64 s[90:91], s[18:19]
; %bb.8208:                             ;   in Loop: Header=BB6_6244 Depth=2
	v_bfe_u32 v7, v22, 20, 1
	v_add_co_u32_e64 v7, s[18:19], v22, v7
	v_add_co_u32_e64 v23, s[18:19], -1, v7
; %bb.8209:                             ;   in Loop: Header=BB6_6244 Depth=2
	s_or_b64 exec, exec, s[90:91]
	v_add_u32_e32 v2, 0xffffff81, v2
	v_mov_b32_e32 v7, 0xffffff82
	v_cndmask_b32_e32 v2, v2, v7, vcc
	v_lshrrev_b32_e32 v7, 23, v22
	v_add3_u32 v7, v3, v2, v7
	v_add_u32_e32 v3, 6, v7
	v_and_b32_e32 v2, 0xfffff, v23
	v_add_u32_e32 v50, v2, v22
	v_cmp_ne_u32_e32 vcc, 0, v3
                                        ; implicit-def: $vgpr22_vgpr23
                                        ; implicit-def: $vgpr2
	s_and_saveexec_b64 s[18:19], vcc
	s_xor_b64 s[18:19], exec, s[18:19]
; %bb.8210:                             ;   in Loop: Header=BB6_6244 Depth=2
	v_cmp_lt_u64_e32 vcc, s[58:59], v[50:51]
	v_add_u32_e32 v2, 7, v7
	v_cndmask_b32_e32 v2, v3, v2, vcc
	v_cndmask_b32_e64 v3, 0, 1, vcc
	v_lshrrev_b64 v[22:23], v3, v[50:51]
; %bb.8211:                             ;   in Loop: Header=BB6_6244 Depth=2
	s_andn2_saveexec_b64 s[18:19], s[18:19]
; %bb.8212:                             ;   in Loop: Header=BB6_6244 Depth=2
	v_mov_b32_e32 v22, v50
	v_bfe_u32 v2, v50, 23, 1
	v_mov_b32_e32 v23, v51
; %bb.8213:                             ;   in Loop: Header=BB6_6244 Depth=2
	s_or_b64 exec, exec, s[18:19]
	v_lshrrev_b64 v[7:8], 20, v[22:23]
	v_cmp_gt_i32_e32 vcc, 16, v2
	v_cndmask_b32_e32 v8, 0, v8, vcc
	v_cndmask_b32_e32 v7, 7, v7, vcc
	v_cmp_eq_u32_e32 vcc, 0, v2
	v_min_i32_e32 v2, 15, v2
	v_cmp_eq_u64_e64 s[18:19], 0, v[7:8]
	v_lshlrev_b32_e32 v2, 3, v2
	v_and_b32_e32 v2, 0xf8, v2
	v_and_or_b32 v2, v7, 7, v2
	s_and_b64 s[18:19], vcc, s[18:19]
	v_cndmask_b32_e64 v2, v2, 0, s[18:19]
	v_or_b32_e32 v0, v2, v0
	buffer_store_dword v0, off, s[0:3], s33 offset:308 ; 4-byte Folded Spill
.LBB6_8214:                             ;   in Loop: Header=BB6_6244 Depth=2
	s_or_b64 exec, exec, s[88:89]
                                        ; implicit-def: $vgpr0
.LBB6_8215:                             ;   in Loop: Header=BB6_6244 Depth=2
	s_andn2_saveexec_b64 s[18:19], s[78:79]
	s_cbranch_execz .LBB6_8217
; %bb.8216:                             ;   in Loop: Header=BB6_6244 Depth=2
	v_or_b32_e32 v0, 0x7e, v0
	buffer_store_dword v0, off, s[0:3], s33 offset:308 ; 4-byte Folded Spill
.LBB6_8217:                             ;   in Loop: Header=BB6_6244 Depth=2
	s_or_b64 exec, exec, s[18:19]
                                        ; implicit-def: $vgpr2
.LBB6_8218:                             ;   in Loop: Header=BB6_6244 Depth=2
	s_andn2_saveexec_b64 s[18:19], s[76:77]
	s_cbranch_execz .LBB6_8220
; %bb.8219:                             ;   in Loop: Header=BB6_6244 Depth=2
	v_or_b32_sdwa v0, v2, s39 dst_sel:DWORD dst_unused:UNUSED_PAD src0_sel:BYTE_3 src1_sel:DWORD
	buffer_store_dword v0, off, s[0:3], s33 offset:308 ; 4-byte Folded Spill
.LBB6_8220:                             ;   in Loop: Header=BB6_6244 Depth=2
	s_or_b64 exec, exec, s[18:19]
	buffer_load_dword v0, off, s[0:3], s33 offset:252 ; 4-byte Folded Reload
	buffer_load_dword v2, off, s[0:3], s33 offset:272 ; 4-byte Folded Reload
	v_lshlrev_b32_e32 v1, 24, v1
	v_cmp_ne_u32_e32 vcc, 0, v42
	s_waitcnt vmcnt(1)
	v_lshl_or_b32 v0, v0, 8, v42
	s_waitcnt vmcnt(0)
	v_lshlrev_b32_e32 v2, 16, v2
	v_or3_b32 v50, v2, v1, v0
	v_mov_b32_e32 v2, 0
	v_mov_b32_e32 v1, 0
	s_and_saveexec_b64 s[18:19], vcc
	s_cbranch_execz .LBB6_8226
; %bb.8221:                             ;   in Loop: Header=BB6_6244 Depth=2
	v_cmp_ne_u32_e32 vcc, s50, v42
	v_bfrev_b32_e32 v1, 1
	s_and_saveexec_b64 s[76:77], vcc
	s_cbranch_execz .LBB6_8225
; %bb.8222:                             ;   in Loop: Header=BB6_6244 Depth=2
	v_and_b32_e32 v3, 0x7f, v42
	v_cmp_ne_u32_e32 vcc, s39, v3
	v_mov_b32_e32 v1, 0x7f800001
	s_and_saveexec_b64 s[78:79], vcc
	s_cbranch_execz .LBB6_8224
; %bb.8223:                             ;   in Loop: Header=BB6_6244 Depth=2
	v_and_b32_e32 v1, 7, v42
	v_ffbh_u32_e32 v1, v1
	v_min_u32_e32 v1, 32, v1
	v_lshrrev_b32_e32 v7, 3, v3
	v_cmp_gt_u32_e32 vcc, 8, v3
	v_subrev_u32_e32 v3, 28, v1
	v_sub_u32_e32 v1, 29, v1
	v_cndmask_b32_e32 v3, 0, v3, vcc
	v_cndmask_b32_e32 v1, v7, v1, vcc
	v_lshlrev_b64 v[7:8], v3, v[50:51]
	v_lshl_add_u32 v1, v1, 23, v62
	v_lshlrev_b32_e32 v3, 20, v7
	v_lshlrev_b32_e32 v7, 24, v50
	v_and_b32_e32 v3, 0x700000, v3
	v_and_b32_e32 v7, 0x80000000, v7
	v_or3_b32 v1, v7, v1, v3
.LBB6_8224:                             ;   in Loop: Header=BB6_6244 Depth=2
	s_or_b64 exec, exec, s[78:79]
.LBB6_8225:                             ;   in Loop: Header=BB6_6244 Depth=2
	s_or_b64 exec, exec, s[76:77]
.LBB6_8226:                             ;   in Loop: Header=BB6_6244 Depth=2
	s_or_b64 exec, exec, s[18:19]
	v_cmp_ne_u16_sdwa s[76:77], v19, v51 src0_sel:BYTE_0 src1_sel:DWORD
	s_and_saveexec_b64 s[18:19], s[76:77]
	s_cbranch_execz .LBB6_8232
; %bb.8227:                             ;   in Loop: Header=BB6_6244 Depth=2
	v_cmp_ne_u16_sdwa s[78:79], v19, s50 src0_sel:BYTE_0 src1_sel:DWORD
	v_bfrev_b32_e32 v2, 1
	s_and_saveexec_b64 s[76:77], s[78:79]
	s_cbranch_execz .LBB6_8231
; %bb.8228:                             ;   in Loop: Header=BB6_6244 Depth=2
	v_and_b32_e32 v3, 0x7f, v19
	v_cmp_ne_u32_e32 vcc, s39, v3
	v_mov_b32_e32 v2, 0x7f800001
	s_and_saveexec_b64 s[78:79], vcc
	s_cbranch_execz .LBB6_8230
; %bb.8229:                             ;   in Loop: Header=BB6_6244 Depth=2
	v_and_b32_e32 v2, 7, v19
	v_ffbh_u32_e32 v2, v2
	v_min_u32_e32 v2, 32, v2
	v_lshrrev_b32_e32 v22, 3, v3
	v_cmp_gt_u32_e32 vcc, 8, v3
	v_subrev_u32_e32 v3, 28, v2
	v_sub_u32_e32 v2, 29, v2
	v_mov_b32_e32 v7, v19
	v_mov_b32_e32 v8, v51
	v_cndmask_b32_e32 v22, v22, v2, vcc
	v_cndmask_b32_e32 v2, 0, v3, vcc
	v_lshlrev_b64 v[2:3], v2, v[7:8]
	v_lshlrev_b32_e32 v3, 24, v7
	v_lshlrev_b32_e32 v2, 20, v2
	v_and_b32_e32 v2, 0x700000, v2
	v_and_b32_e32 v3, 0x80000000, v3
	v_lshl_add_u32 v7, v22, 23, v62
	v_or3_b32 v2, v3, v7, v2
.LBB6_8230:                             ;   in Loop: Header=BB6_6244 Depth=2
	s_or_b64 exec, exec, s[78:79]
.LBB6_8231:                             ;   in Loop: Header=BB6_6244 Depth=2
	s_or_b64 exec, exec, s[76:77]
.LBB6_8232:                             ;   in Loop: Header=BB6_6244 Depth=2
	s_or_b64 exec, exec, s[18:19]
	v_add_f32_e32 v3, v1, v2
	v_and_b32_e32 v1, 0x7f800000, v3
	v_mov_b32_e32 v2, v51
	v_cmp_ne_u64_e32 vcc, s[46:47], v[1:2]
                                        ; implicit-def: $vgpr1
                                        ; kill: killed $vgpr1
	s_and_saveexec_b64 s[18:19], vcc
	s_xor_b64 s[76:77], exec, s[18:19]
	s_cbranch_execz .LBB6_8246
; %bb.8233:                             ;   in Loop: Header=BB6_6244 Depth=2
	v_and_b32_e32 v1, 0x7fffffff, v3
	v_mov_b32_e32 v2, v51
	v_cmp_gt_u64_e32 vcc, s[56:57], v[1:2]
	v_and_b32_sdwa v2, v3, s50 dst_sel:DWORD dst_unused:UNUSED_PAD src0_sel:BYTE_3 src1_sel:DWORD
                                        ; implicit-def: $vgpr1
                                        ; kill: killed $vgpr1
	s_and_saveexec_b64 s[18:19], vcc
	s_xor_b64 s[78:79], exec, s[18:19]
	s_cbranch_execz .LBB6_8243
; %bb.8234:                             ;   in Loop: Header=BB6_6244 Depth=2
	v_mov_b32_e32 v1, 0
	v_cmp_ne_u32_e32 vcc, 0, v3
	buffer_store_dword v1, off, s[0:3], s33 offset:252 ; 4-byte Folded Spill
	s_and_saveexec_b64 s[88:89], vcc
	s_cbranch_execz .LBB6_8242
; %bb.8235:                             ;   in Loop: Header=BB6_6244 Depth=2
	v_bfe_u32 v1, v3, 23, 8
	v_and_b32_e32 v7, 0x7fffff, v3
	v_cmp_gt_u32_e64 s[18:19], s51, v1
	v_sub_u32_e32 v3, 0x79, v1
	v_cmp_eq_u32_e32 vcc, 0, v1
	v_cndmask_b32_e64 v3, 0, v3, s[18:19]
	v_mov_b32_e32 v22, 0x78
	v_cndmask_b32_e32 v3, v3, v22, vcc
	v_add_u32_e32 v22, 20, v3
	v_or_b32_e32 v8, 0x800000, v7
	v_lshlrev_b64 v[22:23], v22, -1
	v_add_u32_e32 v24, 19, v3
	v_cndmask_b32_e32 v7, v8, v7, vcc
	v_lshlrev_b64 v[24:25], v24, 1
	v_mov_b32_e32 v8, v51
	v_bfi_b32 v23, v23, 0, 0
	v_bfi_b32 v22, v22, 0, v7
	v_cmp_eq_u64_e64 s[18:19], v[22:23], v[24:25]
	v_lshrrev_b64 v[22:23], v3, v[7:8]
	v_mov_b32_e32 v24, v23
	v_mov_b32_e32 v23, v22
	s_and_saveexec_b64 s[90:91], s[18:19]
; %bb.8236:                             ;   in Loop: Header=BB6_6244 Depth=2
	v_bfe_u32 v7, v22, 20, 1
	v_add_co_u32_e64 v7, s[18:19], v22, v7
	v_add_co_u32_e64 v23, s[18:19], -1, v7
; %bb.8237:                             ;   in Loop: Header=BB6_6244 Depth=2
	s_or_b64 exec, exec, s[90:91]
	v_add_u32_e32 v1, 0xffffff81, v1
	v_mov_b32_e32 v7, 0xffffff82
	v_cndmask_b32_e32 v1, v1, v7, vcc
	v_lshrrev_b32_e32 v7, 23, v22
	v_add3_u32 v7, v3, v1, v7
	v_add_u32_e32 v3, 6, v7
	v_and_b32_e32 v1, 0xfffff, v23
	v_add_u32_e32 v22, v1, v22
	v_mov_b32_e32 v23, v51
	v_cmp_ne_u32_e32 vcc, 0, v3
                                        ; implicit-def: $vgpr1
	s_and_saveexec_b64 s[18:19], vcc
	s_xor_b64 s[18:19], exec, s[18:19]
; %bb.8238:                             ;   in Loop: Header=BB6_6244 Depth=2
	v_cmp_lt_u64_e32 vcc, s[58:59], v[22:23]
	v_add_u32_e32 v1, 7, v7
	v_cndmask_b32_e32 v1, v3, v1, vcc
	v_cndmask_b32_e64 v3, 0, 1, vcc
	v_lshrrev_b64 v[22:23], v3, v[22:23]
; %bb.8239:                             ;   in Loop: Header=BB6_6244 Depth=2
	s_andn2_saveexec_b64 s[18:19], s[18:19]
; %bb.8240:                             ;   in Loop: Header=BB6_6244 Depth=2
	v_bfe_u32 v1, v22, 23, 1
; %bb.8241:                             ;   in Loop: Header=BB6_6244 Depth=2
	s_or_b64 exec, exec, s[18:19]
	v_lshrrev_b64 v[7:8], 20, v[22:23]
	v_cmp_gt_i32_e32 vcc, 16, v1
	v_cndmask_b32_e32 v8, 0, v8, vcc
	v_cndmask_b32_e32 v7, 7, v7, vcc
	v_cmp_eq_u32_e32 vcc, 0, v1
	v_min_i32_e32 v1, 15, v1
	v_cmp_eq_u64_e64 s[18:19], 0, v[7:8]
	v_lshlrev_b32_e32 v1, 3, v1
	v_and_b32_e32 v1, 0xf8, v1
	v_and_or_b32 v1, v7, 7, v1
	s_and_b64 s[18:19], vcc, s[18:19]
	v_cndmask_b32_e64 v1, v1, 0, s[18:19]
	v_or_b32_e32 v1, v1, v2
	buffer_store_dword v1, off, s[0:3], s33 offset:252 ; 4-byte Folded Spill
.LBB6_8242:                             ;   in Loop: Header=BB6_6244 Depth=2
	s_or_b64 exec, exec, s[88:89]
                                        ; implicit-def: $vgpr2
.LBB6_8243:                             ;   in Loop: Header=BB6_6244 Depth=2
	s_andn2_saveexec_b64 s[18:19], s[78:79]
	s_cbranch_execz .LBB6_8245
; %bb.8244:                             ;   in Loop: Header=BB6_6244 Depth=2
	v_or_b32_e32 v1, 0x7e, v2
	buffer_store_dword v1, off, s[0:3], s33 offset:252 ; 4-byte Folded Spill
.LBB6_8245:                             ;   in Loop: Header=BB6_6244 Depth=2
	s_or_b64 exec, exec, s[18:19]
                                        ; implicit-def: $vgpr3
.LBB6_8246:                             ;   in Loop: Header=BB6_6244 Depth=2
	s_andn2_saveexec_b64 s[18:19], s[76:77]
	s_cbranch_execz .LBB6_8248
; %bb.8247:                             ;   in Loop: Header=BB6_6244 Depth=2
	v_or_b32_sdwa v1, v3, s39 dst_sel:DWORD dst_unused:UNUSED_PAD src0_sel:BYTE_3 src1_sel:DWORD
	buffer_store_dword v1, off, s[0:3], s33 offset:252 ; 4-byte Folded Spill
.LBB6_8248:                             ;   in Loop: Header=BB6_6244 Depth=2
	s_or_b64 exec, exec, s[18:19]
	v_lshrrev_b16_e32 v22, 8, v0
	v_cmp_ne_u16_e32 vcc, 0, v22
	v_mov_b32_e32 v2, 0
	v_mov_b32_e32 v3, 0
	s_and_saveexec_b64 s[18:19], vcc
	s_cbranch_execz .LBB6_8254
; %bb.8249:                             ;   in Loop: Header=BB6_6244 Depth=2
	v_cmp_ne_u16_e32 vcc, s50, v22
	v_bfrev_b32_e32 v3, 1
	s_and_saveexec_b64 s[76:77], vcc
	s_cbranch_execz .LBB6_8253
; %bb.8250:                             ;   in Loop: Header=BB6_6244 Depth=2
	v_and_b32_e32 v7, 0x7f, v22
	v_cmp_ne_u32_e32 vcc, s39, v7
	v_mov_b32_e32 v3, 0x7f800001
	s_and_saveexec_b64 s[78:79], vcc
	s_cbranch_execz .LBB6_8252
; %bb.8251:                             ;   in Loop: Header=BB6_6244 Depth=2
	v_and_b32_e32 v1, 7, v22
	v_lshrrev_b32_e32 v3, 3, v7
	v_cmp_gt_u32_e32 vcc, 8, v7
	v_ffbh_u32_e32 v7, v1
	v_min_u32_e32 v23, 32, v7
	v_subrev_u32_e32 v7, 28, v23
	v_lshlrev_b64 v[7:8], v7, v[22:23]
	v_sub_u32_e32 v8, 29, v23
	v_and_b32_e32 v7, 7, v7
	v_cndmask_b32_e32 v3, v3, v8, vcc
	v_cndmask_b32_e32 v1, v1, v7, vcc
	v_lshlrev_b32_e32 v0, 16, v0
	v_lshlrev_b32_e32 v1, 20, v1
	v_and_b32_e32 v0, 0x80000000, v0
	v_lshl_add_u32 v3, v3, 23, v62
	v_or3_b32 v3, v0, v3, v1
.LBB6_8252:                             ;   in Loop: Header=BB6_6244 Depth=2
	s_or_b64 exec, exec, s[78:79]
.LBB6_8253:                             ;   in Loop: Header=BB6_6244 Depth=2
	s_or_b64 exec, exec, s[76:77]
.LBB6_8254:                             ;   in Loop: Header=BB6_6244 Depth=2
	s_or_b64 exec, exec, s[18:19]
	v_lshrrev_b16_e32 v22, 8, v19
	v_cmp_ne_u16_e32 vcc, 0, v22
	s_and_saveexec_b64 s[18:19], vcc
	s_cbranch_execz .LBB6_8260
; %bb.8255:                             ;   in Loop: Header=BB6_6244 Depth=2
	v_cmp_ne_u16_e32 vcc, s50, v22
	v_bfrev_b32_e32 v2, 1
	s_and_saveexec_b64 s[76:77], vcc
	s_cbranch_execz .LBB6_8259
; %bb.8256:                             ;   in Loop: Header=BB6_6244 Depth=2
	v_and_b32_e32 v0, 0x7f, v22
	v_cmp_ne_u32_e32 vcc, s39, v0
	v_mov_b32_e32 v2, 0x7f800001
	s_and_saveexec_b64 s[78:79], vcc
	s_cbranch_execz .LBB6_8258
; %bb.8257:                             ;   in Loop: Header=BB6_6244 Depth=2
	v_and_b32_e32 v1, 7, v22
	v_lshrrev_b32_e32 v2, 3, v0
	v_cmp_gt_u32_e32 vcc, 8, v0
	v_ffbh_u32_e32 v0, v1
	v_min_u32_e32 v0, 32, v0
	v_subrev_u32_e32 v7, 28, v0
	v_lshlrev_b64 v[7:8], v7, v[22:23]
	v_sub_u32_e32 v0, 29, v0
	v_and_b32_e32 v7, 7, v7
	v_cndmask_b32_e32 v0, v2, v0, vcc
	v_cndmask_b32_e32 v1, v1, v7, vcc
	v_lshlrev_b32_e32 v2, 16, v19
	v_lshlrev_b32_e32 v1, 20, v1
	v_and_b32_e32 v2, 0x80000000, v2
	v_lshl_add_u32 v0, v0, 23, v62
	v_or3_b32 v2, v2, v0, v1
.LBB6_8258:                             ;   in Loop: Header=BB6_6244 Depth=2
	s_or_b64 exec, exec, s[78:79]
.LBB6_8259:                             ;   in Loop: Header=BB6_6244 Depth=2
	s_or_b64 exec, exec, s[76:77]
.LBB6_8260:                             ;   in Loop: Header=BB6_6244 Depth=2
	s_or_b64 exec, exec, s[18:19]
	v_add_f32_e32 v2, v3, v2
	v_and_b32_e32 v7, 0x7f800000, v2
	v_mov_b32_e32 v8, v51
	v_cmp_ne_u64_e32 vcc, s[46:47], v[7:8]
                                        ; implicit-def: $vgpr0
                                        ; kill: killed $vgpr0
	s_and_saveexec_b64 s[18:19], vcc
	s_xor_b64 s[76:77], exec, s[18:19]
	s_cbranch_execz .LBB6_8274
; %bb.8261:                             ;   in Loop: Header=BB6_6244 Depth=2
	v_and_b32_e32 v7, 0x7fffffff, v2
	v_mov_b32_e32 v8, v51
	v_cmp_gt_u64_e32 vcc, s[56:57], v[7:8]
	v_and_b32_sdwa v0, v2, s50 dst_sel:DWORD dst_unused:UNUSED_PAD src0_sel:BYTE_3 src1_sel:DWORD
                                        ; implicit-def: $vgpr1
                                        ; kill: killed $vgpr1
	s_and_saveexec_b64 s[18:19], vcc
	s_xor_b64 s[78:79], exec, s[18:19]
	s_cbranch_execz .LBB6_8271
; %bb.8262:                             ;   in Loop: Header=BB6_6244 Depth=2
	v_mov_b32_e32 v1, 0
	v_cmp_ne_u32_e32 vcc, 0, v2
	buffer_store_dword v1, off, s[0:3], s33 offset:272 ; 4-byte Folded Spill
	s_and_saveexec_b64 s[88:89], vcc
	s_cbranch_execz .LBB6_8270
; %bb.8263:                             ;   in Loop: Header=BB6_6244 Depth=2
	v_and_b32_e32 v1, 0x7fffff, v2
	v_bfe_u32 v2, v2, 23, 8
	v_cmp_gt_u32_e64 s[18:19], s51, v2
	v_sub_u32_e32 v3, 0x79, v2
	v_cmp_eq_u32_e32 vcc, 0, v2
	v_cndmask_b32_e64 v3, 0, v3, s[18:19]
	v_mov_b32_e32 v8, 0x78
	v_or_b32_e32 v7, 0x800000, v1
	v_cndmask_b32_e32 v3, v3, v8, vcc
	v_cndmask_b32_e32 v7, v7, v1, vcc
	v_add_u32_e32 v1, 20, v3
	v_lshlrev_b64 v[22:23], v1, -1
	v_add_u32_e32 v1, 19, v3
	v_lshlrev_b64 v[24:25], v1, 1
	v_mov_b32_e32 v8, v51
	v_bfi_b32 v23, v23, 0, 0
	v_bfi_b32 v22, v22, 0, v7
	v_cmp_eq_u64_e64 s[18:19], v[22:23], v[24:25]
	v_lshrrev_b64 v[22:23], v3, v[7:8]
	v_mov_b32_e32 v24, v23
	v_mov_b32_e32 v23, v22
	s_and_saveexec_b64 s[90:91], s[18:19]
; %bb.8264:                             ;   in Loop: Header=BB6_6244 Depth=2
	v_bfe_u32 v1, v22, 20, 1
	v_add_co_u32_e64 v1, s[18:19], v22, v1
	v_add_co_u32_e64 v23, s[18:19], -1, v1
; %bb.8265:                             ;   in Loop: Header=BB6_6244 Depth=2
	s_or_b64 exec, exec, s[90:91]
	v_add_u32_e32 v1, 0xffffff81, v2
	v_mov_b32_e32 v2, 0xffffff82
	v_cndmask_b32_e32 v1, v1, v2, vcc
	v_lshrrev_b32_e32 v2, 23, v22
	v_add3_u32 v7, v3, v1, v2
	v_add_u32_e32 v3, 6, v7
	v_and_b32_e32 v1, 0xfffff, v23
	v_add_u32_e32 v22, v1, v22
	v_mov_b32_e32 v23, v51
	v_cmp_ne_u32_e32 vcc, 0, v3
                                        ; implicit-def: $vgpr2
	s_and_saveexec_b64 s[18:19], vcc
	s_xor_b64 s[18:19], exec, s[18:19]
; %bb.8266:                             ;   in Loop: Header=BB6_6244 Depth=2
	v_cmp_lt_u64_e32 vcc, s[58:59], v[22:23]
	v_add_u32_e32 v1, 7, v7
	v_cndmask_b32_e32 v2, v3, v1, vcc
	v_cndmask_b32_e64 v1, 0, 1, vcc
	v_lshrrev_b64 v[22:23], v1, v[22:23]
; %bb.8267:                             ;   in Loop: Header=BB6_6244 Depth=2
	s_andn2_saveexec_b64 s[18:19], s[18:19]
; %bb.8268:                             ;   in Loop: Header=BB6_6244 Depth=2
	v_bfe_u32 v2, v22, 23, 1
; %bb.8269:                             ;   in Loop: Header=BB6_6244 Depth=2
	s_or_b64 exec, exec, s[18:19]
	v_lshrrev_b64 v[7:8], 20, v[22:23]
	v_cmp_gt_i32_e32 vcc, 16, v2
	v_cndmask_b32_e32 v8, 0, v8, vcc
	v_cndmask_b32_e32 v7, 7, v7, vcc
	v_min_i32_e32 v1, 15, v2
	v_cmp_eq_u64_e64 s[18:19], 0, v[7:8]
	v_lshlrev_b32_e32 v1, 3, v1
	v_cmp_eq_u32_e32 vcc, 0, v2
	v_and_b32_e32 v1, 0xf8, v1
	v_and_or_b32 v1, v7, 7, v1
	s_and_b64 s[18:19], vcc, s[18:19]
	v_cndmask_b32_e64 v1, v1, 0, s[18:19]
	v_or_b32_e32 v0, v1, v0
	buffer_store_dword v0, off, s[0:3], s33 offset:272 ; 4-byte Folded Spill
.LBB6_8270:                             ;   in Loop: Header=BB6_6244 Depth=2
	s_or_b64 exec, exec, s[88:89]
                                        ; implicit-def: $vgpr0
.LBB6_8271:                             ;   in Loop: Header=BB6_6244 Depth=2
	s_andn2_saveexec_b64 s[18:19], s[78:79]
	s_cbranch_execz .LBB6_8273
; %bb.8272:                             ;   in Loop: Header=BB6_6244 Depth=2
	v_or_b32_e32 v0, 0x7e, v0
	buffer_store_dword v0, off, s[0:3], s33 offset:272 ; 4-byte Folded Spill
.LBB6_8273:                             ;   in Loop: Header=BB6_6244 Depth=2
	s_or_b64 exec, exec, s[18:19]
                                        ; implicit-def: $vgpr2
.LBB6_8274:                             ;   in Loop: Header=BB6_6244 Depth=2
	s_andn2_saveexec_b64 s[18:19], s[76:77]
	s_cbranch_execz .LBB6_8276
; %bb.8275:                             ;   in Loop: Header=BB6_6244 Depth=2
	v_or_b32_sdwa v0, v2, s39 dst_sel:DWORD dst_unused:UNUSED_PAD src0_sel:BYTE_3 src1_sel:DWORD
	buffer_store_dword v0, off, s[0:3], s33 offset:272 ; 4-byte Folded Spill
.LBB6_8276:                             ;   in Loop: Header=BB6_6244 Depth=2
	s_or_b64 exec, exec, s[18:19]
	v_lshrrev_b32_e32 v22, 16, v50
	v_cmp_ne_u16_sdwa s[76:77], v22, v51 src0_sel:BYTE_0 src1_sel:DWORD
	v_mov_b32_e32 v0, 0
	v_mov_b32_e32 v2, 0
	s_and_saveexec_b64 s[18:19], s[76:77]
	s_cbranch_execz .LBB6_8282
; %bb.8277:                             ;   in Loop: Header=BB6_6244 Depth=2
	v_cmp_ne_u16_sdwa s[78:79], v22, s50 src0_sel:BYTE_0 src1_sel:DWORD
	v_bfrev_b32_e32 v2, 1
	s_and_saveexec_b64 s[76:77], s[78:79]
	s_cbranch_execz .LBB6_8281
; %bb.8278:                             ;   in Loop: Header=BB6_6244 Depth=2
	v_bfe_u32 v3, v50, 16, 7
	v_cmp_ne_u32_e32 vcc, s39, v3
	v_mov_b32_e32 v2, 0x7f800001
	s_and_saveexec_b64 s[78:79], vcc
	s_cbranch_execz .LBB6_8280
; %bb.8279:                             ;   in Loop: Header=BB6_6244 Depth=2
	v_and_b32_e32 v1, 7, v22
	v_ffbh_u32_e32 v2, v1
	v_min_u32_e32 v8, 32, v2
	v_subrev_u32_e32 v2, 28, v8
	v_lshrrev_b32_e32 v7, 3, v3
	v_cmp_gt_u32_e32 vcc, 8, v3
	v_lshlrev_b64 v[2:3], v2, v[22:23]
	v_sub_u32_e32 v3, 29, v8
	v_and_b32_e32 v2, 7, v2
	v_cndmask_b32_e32 v3, v7, v3, vcc
	v_cndmask_b32_e32 v1, v1, v2, vcc
	v_lshlrev_b32_e32 v2, 24, v22
	v_lshlrev_b32_e32 v1, 20, v1
	v_and_b32_e32 v2, 0x80000000, v2
	v_lshl_add_u32 v3, v3, 23, v62
	v_or3_b32 v2, v2, v3, v1
.LBB6_8280:                             ;   in Loop: Header=BB6_6244 Depth=2
	s_or_b64 exec, exec, s[78:79]
.LBB6_8281:                             ;   in Loop: Header=BB6_6244 Depth=2
	s_or_b64 exec, exec, s[76:77]
.LBB6_8282:                             ;   in Loop: Header=BB6_6244 Depth=2
	s_or_b64 exec, exec, s[18:19]
	v_lshrrev_b32_e32 v22, 16, v19
	v_cmp_ne_u16_sdwa s[76:77], v22, v51 src0_sel:BYTE_0 src1_sel:DWORD
	s_and_saveexec_b64 s[18:19], s[76:77]
	s_cbranch_execz .LBB6_8288
; %bb.8283:                             ;   in Loop: Header=BB6_6244 Depth=2
	v_cmp_ne_u16_sdwa s[78:79], v22, s50 src0_sel:BYTE_0 src1_sel:DWORD
	v_bfrev_b32_e32 v0, 1
	s_and_saveexec_b64 s[76:77], s[78:79]
	s_cbranch_execz .LBB6_8287
; %bb.8284:                             ;   in Loop: Header=BB6_6244 Depth=2
	v_bfe_u32 v3, v19, 16, 7
	v_cmp_ne_u32_e32 vcc, s39, v3
	v_mov_b32_e32 v0, 0x7f800001
	s_and_saveexec_b64 s[78:79], vcc
	s_cbranch_execz .LBB6_8286
; %bb.8285:                             ;   in Loop: Header=BB6_6244 Depth=2
	v_and_b32_e32 v0, 7, v22
	v_lshrrev_b32_e32 v1, 3, v3
	v_cmp_gt_u32_e32 vcc, 8, v3
	v_ffbh_u32_e32 v3, v0
	v_min_u32_e32 v3, 32, v3
	v_subrev_u32_e32 v7, 28, v3
	v_lshlrev_b64 v[7:8], v7, v[22:23]
	v_sub_u32_e32 v3, 29, v3
	v_and_b32_e32 v7, 7, v7
	v_cndmask_b32_e32 v1, v1, v3, vcc
	v_cndmask_b32_e32 v0, v0, v7, vcc
	v_lshlrev_b32_e32 v3, 8, v19
	v_lshlrev_b32_e32 v0, 20, v0
	v_and_b32_e32 v3, 0x80000000, v3
	v_lshl_add_u32 v1, v1, 23, v62
	v_or3_b32 v0, v3, v1, v0
.LBB6_8286:                             ;   in Loop: Header=BB6_6244 Depth=2
	s_or_b64 exec, exec, s[78:79]
.LBB6_8287:                             ;   in Loop: Header=BB6_6244 Depth=2
	s_or_b64 exec, exec, s[76:77]
.LBB6_8288:                             ;   in Loop: Header=BB6_6244 Depth=2
	s_or_b64 exec, exec, s[18:19]
	v_add_f32_e32 v2, v2, v0
	v_and_b32_e32 v7, 0x7f800000, v2
	v_mov_b32_e32 v8, v51
	v_cmp_ne_u64_e32 vcc, s[46:47], v[7:8]
                                        ; implicit-def: $vgpr0
                                        ; kill: killed $vgpr0
	s_and_saveexec_b64 s[18:19], vcc
	s_xor_b64 s[76:77], exec, s[18:19]
	s_cbranch_execz .LBB6_8302
; %bb.8289:                             ;   in Loop: Header=BB6_6244 Depth=2
	v_and_b32_e32 v7, 0x7fffffff, v2
	v_mov_b32_e32 v8, v51
	v_cmp_gt_u64_e32 vcc, s[56:57], v[7:8]
	v_and_b32_sdwa v0, v2, s50 dst_sel:DWORD dst_unused:UNUSED_PAD src0_sel:BYTE_3 src1_sel:DWORD
                                        ; implicit-def: $vgpr1
                                        ; kill: killed $vgpr1
	s_and_saveexec_b64 s[18:19], vcc
	s_xor_b64 s[78:79], exec, s[18:19]
	s_cbranch_execz .LBB6_8299
; %bb.8290:                             ;   in Loop: Header=BB6_6244 Depth=2
	v_mov_b32_e32 v1, 0
	v_cmp_ne_u32_e32 vcc, 0, v2
	buffer_store_dword v1, off, s[0:3], s33 offset:312 ; 4-byte Folded Spill
	s_and_saveexec_b64 s[88:89], vcc
	s_cbranch_execz .LBB6_8298
; %bb.8291:                             ;   in Loop: Header=BB6_6244 Depth=2
	v_and_b32_e32 v1, 0x7fffff, v2
	v_bfe_u32 v2, v2, 23, 8
	v_cmp_gt_u32_e64 s[18:19], s51, v2
	v_sub_u32_e32 v3, 0x79, v2
	v_cmp_eq_u32_e32 vcc, 0, v2
	v_cndmask_b32_e64 v3, 0, v3, s[18:19]
	v_mov_b32_e32 v8, 0x78
	v_or_b32_e32 v7, 0x800000, v1
	v_cndmask_b32_e32 v3, v3, v8, vcc
	v_cndmask_b32_e32 v7, v7, v1, vcc
	v_add_u32_e32 v1, 20, v3
	v_lshlrev_b64 v[22:23], v1, -1
	v_add_u32_e32 v1, 19, v3
	v_lshlrev_b64 v[24:25], v1, 1
	v_mov_b32_e32 v8, v51
	v_bfi_b32 v23, v23, 0, 0
	v_bfi_b32 v22, v22, 0, v7
	v_cmp_eq_u64_e64 s[18:19], v[22:23], v[24:25]
	v_lshrrev_b64 v[22:23], v3, v[7:8]
	v_mov_b32_e32 v24, v23
	v_mov_b32_e32 v23, v22
	s_and_saveexec_b64 s[90:91], s[18:19]
; %bb.8292:                             ;   in Loop: Header=BB6_6244 Depth=2
	v_bfe_u32 v1, v22, 20, 1
	v_add_co_u32_e64 v1, s[18:19], v22, v1
	v_add_co_u32_e64 v23, s[18:19], -1, v1
; %bb.8293:                             ;   in Loop: Header=BB6_6244 Depth=2
	s_or_b64 exec, exec, s[90:91]
	v_add_u32_e32 v1, 0xffffff81, v2
	v_mov_b32_e32 v2, 0xffffff82
	v_cndmask_b32_e32 v1, v1, v2, vcc
	v_lshrrev_b32_e32 v2, 23, v22
	v_add3_u32 v7, v3, v1, v2
	v_add_u32_e32 v3, 6, v7
	v_and_b32_e32 v1, 0xfffff, v23
	v_add_u32_e32 v22, v1, v22
	v_mov_b32_e32 v23, v51
	v_cmp_ne_u32_e32 vcc, 0, v3
                                        ; implicit-def: $vgpr2
	s_and_saveexec_b64 s[18:19], vcc
	s_xor_b64 s[18:19], exec, s[18:19]
; %bb.8294:                             ;   in Loop: Header=BB6_6244 Depth=2
	v_cmp_lt_u64_e32 vcc, s[58:59], v[22:23]
	v_add_u32_e32 v1, 7, v7
	v_cndmask_b32_e32 v2, v3, v1, vcc
	v_cndmask_b32_e64 v1, 0, 1, vcc
	v_lshrrev_b64 v[22:23], v1, v[22:23]
; %bb.8295:                             ;   in Loop: Header=BB6_6244 Depth=2
	s_andn2_saveexec_b64 s[18:19], s[18:19]
; %bb.8296:                             ;   in Loop: Header=BB6_6244 Depth=2
	v_bfe_u32 v2, v22, 23, 1
; %bb.8297:                             ;   in Loop: Header=BB6_6244 Depth=2
	s_or_b64 exec, exec, s[18:19]
	v_lshrrev_b64 v[7:8], 20, v[22:23]
	v_cmp_gt_i32_e32 vcc, 16, v2
	v_cndmask_b32_e32 v8, 0, v8, vcc
	v_cndmask_b32_e32 v7, 7, v7, vcc
	v_min_i32_e32 v1, 15, v2
	v_cmp_eq_u64_e64 s[18:19], 0, v[7:8]
	v_lshlrev_b32_e32 v1, 3, v1
	v_cmp_eq_u32_e32 vcc, 0, v2
	v_and_b32_e32 v1, 0xf8, v1
	v_and_or_b32 v1, v7, 7, v1
	s_and_b64 s[18:19], vcc, s[18:19]
	v_cndmask_b32_e64 v1, v1, 0, s[18:19]
	v_or_b32_e32 v0, v1, v0
	buffer_store_dword v0, off, s[0:3], s33 offset:312 ; 4-byte Folded Spill
.LBB6_8298:                             ;   in Loop: Header=BB6_6244 Depth=2
	s_or_b64 exec, exec, s[88:89]
                                        ; implicit-def: $vgpr0
.LBB6_8299:                             ;   in Loop: Header=BB6_6244 Depth=2
	s_andn2_saveexec_b64 s[18:19], s[78:79]
	s_cbranch_execz .LBB6_8301
; %bb.8300:                             ;   in Loop: Header=BB6_6244 Depth=2
	v_or_b32_e32 v0, 0x7e, v0
	buffer_store_dword v0, off, s[0:3], s33 offset:312 ; 4-byte Folded Spill
.LBB6_8301:                             ;   in Loop: Header=BB6_6244 Depth=2
	s_or_b64 exec, exec, s[18:19]
                                        ; implicit-def: $vgpr2
.LBB6_8302:                             ;   in Loop: Header=BB6_6244 Depth=2
	s_andn2_saveexec_b64 s[18:19], s[76:77]
	s_cbranch_execz .LBB6_8304
; %bb.8303:                             ;   in Loop: Header=BB6_6244 Depth=2
	v_or_b32_sdwa v0, v2, s39 dst_sel:DWORD dst_unused:UNUSED_PAD src0_sel:BYTE_3 src1_sel:DWORD
	buffer_store_dword v0, off, s[0:3], s33 offset:312 ; 4-byte Folded Spill
.LBB6_8304:                             ;   in Loop: Header=BB6_6244 Depth=2
	s_or_b64 exec, exec, s[18:19]
	v_cmp_lt_u32_e32 vcc, s61, v50
	v_mov_b32_e32 v0, 0
	v_mov_b32_e32 v2, 0
	s_and_saveexec_b64 s[18:19], vcc
	s_cbranch_execz .LBB6_8310
; %bb.8305:                             ;   in Loop: Header=BB6_6244 Depth=2
	v_lshrrev_b32_e32 v22, 24, v50
	v_cmp_ne_u32_sdwa s[78:79], v50, s50 src0_sel:BYTE_3 src1_sel:DWORD
	v_bfrev_b32_e32 v2, 1
	s_and_saveexec_b64 s[76:77], s[78:79]
	s_cbranch_execz .LBB6_8309
; %bb.8306:                             ;   in Loop: Header=BB6_6244 Depth=2
	v_bfe_u32 v3, v50, 24, 7
	v_cmp_ne_u32_e32 vcc, s39, v3
	v_mov_b32_e32 v2, 0x7f800001
	s_and_saveexec_b64 s[78:79], vcc
	s_cbranch_execz .LBB6_8308
; %bb.8307:                             ;   in Loop: Header=BB6_6244 Depth=2
	v_and_b32_e32 v1, 7, v22
	v_ffbh_u32_e32 v2, v1
	v_min_u32_e32 v8, 32, v2
	v_subrev_u32_e32 v2, 28, v8
	v_lshrrev_b32_e32 v7, 3, v3
	v_cmp_gt_u32_e32 vcc, 8, v3
	v_lshlrev_b64 v[2:3], v2, v[22:23]
	v_sub_u32_e32 v3, 29, v8
	v_and_b32_e32 v2, 7, v2
	v_cndmask_b32_e32 v1, v1, v2, vcc
	v_mov_b32_e32 v2, 24
	v_cndmask_b32_e32 v3, v7, v3, vcc
	v_lshlrev_b32_sdwa v2, v2, v50 dst_sel:DWORD dst_unused:UNUSED_PAD src0_sel:DWORD src1_sel:BYTE_3
	v_lshlrev_b32_e32 v1, 20, v1
	v_and_b32_e32 v2, 0x80000000, v2
	v_lshl_add_u32 v3, v3, 23, v62
	v_or3_b32 v2, v2, v3, v1
.LBB6_8308:                             ;   in Loop: Header=BB6_6244 Depth=2
	s_or_b64 exec, exec, s[78:79]
.LBB6_8309:                             ;   in Loop: Header=BB6_6244 Depth=2
	s_or_b64 exec, exec, s[76:77]
.LBB6_8310:                             ;   in Loop: Header=BB6_6244 Depth=2
	s_or_b64 exec, exec, s[18:19]
	v_cmp_lt_u64_e32 vcc, s[60:61], v[18:19]
	s_and_saveexec_b64 s[18:19], vcc
	s_cbranch_execz .LBB6_8316
; %bb.8311:                             ;   in Loop: Header=BB6_6244 Depth=2
	v_lshrrev_b32_e32 v18, 24, v19
	v_cmp_ne_u32_e32 vcc, s50, v18
	v_bfrev_b32_e32 v0, 1
	s_and_saveexec_b64 s[76:77], vcc
	s_cbranch_execz .LBB6_8315
; %bb.8312:                             ;   in Loop: Header=BB6_6244 Depth=2
	v_bfe_u32 v3, v19, 24, 7
	v_cmp_ne_u32_e32 vcc, s39, v3
	v_mov_b32_e32 v0, 0x7f800001
	s_and_saveexec_b64 s[78:79], vcc
	s_cbranch_execz .LBB6_8314
; %bb.8313:                             ;   in Loop: Header=BB6_6244 Depth=2
	v_and_b32_e32 v0, 7, v18
	v_lshrrev_b32_e32 v1, 3, v3
	v_cmp_gt_u32_e32 vcc, 8, v3
	v_ffbh_u32_e32 v3, v0
	v_min_u32_e32 v3, 32, v3
	v_subrev_u32_e32 v7, 28, v3
	v_lshlrev_b64 v[7:8], v7, v[18:19]
	v_sub_u32_e32 v3, 29, v3
	v_and_b32_e32 v7, 7, v7
	v_cndmask_b32_e32 v1, v1, v3, vcc
	v_cndmask_b32_e32 v0, v0, v7, vcc
	v_lshlrev_b32_e32 v3, 24, v18
	v_lshlrev_b32_e32 v0, 20, v0
	v_and_b32_e32 v3, 0x80000000, v3
	v_lshl_add_u32 v1, v1, 23, v62
	v_or3_b32 v0, v3, v1, v0
.LBB6_8314:                             ;   in Loop: Header=BB6_6244 Depth=2
	s_or_b64 exec, exec, s[78:79]
.LBB6_8315:                             ;   in Loop: Header=BB6_6244 Depth=2
	s_or_b64 exec, exec, s[76:77]
.LBB6_8316:                             ;   in Loop: Header=BB6_6244 Depth=2
	s_or_b64 exec, exec, s[18:19]
	v_add_f32_e32 v2, v2, v0
	v_and_b32_e32 v50, 0x7f800000, v2
	v_cmp_ne_u64_e32 vcc, s[46:47], v[50:51]
                                        ; implicit-def: $vgpr34
	s_and_saveexec_b64 s[18:19], vcc
	s_xor_b64 s[76:77], exec, s[18:19]
	s_cbranch_execz .LBB6_8330
; %bb.8317:                             ;   in Loop: Header=BB6_6244 Depth=2
	v_and_b32_e32 v50, 0x7fffffff, v2
	v_cmp_gt_u64_e32 vcc, s[56:57], v[50:51]
	v_and_b32_sdwa v0, v2, s50 dst_sel:DWORD dst_unused:UNUSED_PAD src0_sel:BYTE_3 src1_sel:DWORD
                                        ; implicit-def: $vgpr34
	s_and_saveexec_b64 s[18:19], vcc
	s_xor_b64 s[78:79], exec, s[18:19]
	s_cbranch_execz .LBB6_8327
; %bb.8318:                             ;   in Loop: Header=BB6_6244 Depth=2
	v_mov_b32_e32 v34, 0
	v_cmp_ne_u32_e32 vcc, 0, v2
	s_and_saveexec_b64 s[88:89], vcc
	s_cbranch_execz .LBB6_8326
; %bb.8319:                             ;   in Loop: Header=BB6_6244 Depth=2
	v_and_b32_e32 v1, 0x7fffff, v2
	v_bfe_u32 v2, v2, 23, 8
	v_cmp_gt_u32_e64 s[18:19], s51, v2
	v_sub_u32_e32 v3, 0x79, v2
	v_cmp_eq_u32_e32 vcc, 0, v2
	v_cndmask_b32_e64 v3, 0, v3, s[18:19]
	v_mov_b32_e32 v8, 0x78
	v_or_b32_e32 v7, 0x800000, v1
	v_cndmask_b32_e32 v3, v3, v8, vcc
	v_cndmask_b32_e32 v50, v7, v1, vcc
	v_add_u32_e32 v1, 20, v3
	v_lshlrev_b64 v[7:8], v1, -1
	v_add_u32_e32 v1, 19, v3
	v_lshlrev_b64 v[18:19], v1, 1
	v_bfi_b32 v8, v8, 0, 0
	v_bfi_b32 v7, v7, 0, v50
	v_cmp_eq_u64_e64 s[18:19], v[7:8], v[18:19]
	v_lshrrev_b64 v[18:19], v3, v[50:51]
	v_mov_b32_e32 v23, v19
	v_mov_b32_e32 v22, v18
	s_and_saveexec_b64 s[90:91], s[18:19]
; %bb.8320:                             ;   in Loop: Header=BB6_6244 Depth=2
	v_bfe_u32 v1, v18, 20, 1
	v_add_co_u32_e64 v1, s[18:19], v18, v1
	v_add_co_u32_e64 v22, s[18:19], -1, v1
; %bb.8321:                             ;   in Loop: Header=BB6_6244 Depth=2
	s_or_b64 exec, exec, s[90:91]
	v_add_u32_e32 v1, 0xffffff81, v2
	v_mov_b32_e32 v2, 0xffffff82
	v_cndmask_b32_e32 v1, v1, v2, vcc
	v_lshrrev_b32_e32 v2, 23, v18
	v_add3_u32 v7, v3, v1, v2
	v_add_u32_e32 v3, 6, v7
	v_and_b32_e32 v1, 0xfffff, v22
	v_add_u32_e32 v50, v1, v18
	v_cmp_ne_u32_e32 vcc, 0, v3
                                        ; implicit-def: $vgpr18_vgpr19
                                        ; implicit-def: $vgpr2
	s_and_saveexec_b64 s[18:19], vcc
	s_xor_b64 s[18:19], exec, s[18:19]
; %bb.8322:                             ;   in Loop: Header=BB6_6244 Depth=2
	v_cmp_lt_u64_e32 vcc, s[58:59], v[50:51]
	v_add_u32_e32 v1, 7, v7
	v_cndmask_b32_e32 v2, v3, v1, vcc
	v_cndmask_b32_e64 v1, 0, 1, vcc
	v_lshrrev_b64 v[18:19], v1, v[50:51]
; %bb.8323:                             ;   in Loop: Header=BB6_6244 Depth=2
	s_andn2_saveexec_b64 s[18:19], s[18:19]
; %bb.8324:                             ;   in Loop: Header=BB6_6244 Depth=2
	v_mov_b32_e32 v18, v50
	v_bfe_u32 v2, v50, 23, 1
	v_mov_b32_e32 v19, v51
; %bb.8325:                             ;   in Loop: Header=BB6_6244 Depth=2
	s_or_b64 exec, exec, s[18:19]
	v_lshrrev_b64 v[7:8], 20, v[18:19]
	v_cmp_gt_i32_e32 vcc, 16, v2
	v_cndmask_b32_e32 v8, 0, v8, vcc
	v_cndmask_b32_e32 v7, 7, v7, vcc
	v_min_i32_e32 v1, 15, v2
	v_cmp_eq_u64_e64 s[18:19], 0, v[7:8]
	v_lshlrev_b32_e32 v1, 3, v1
	v_cmp_eq_u32_e32 vcc, 0, v2
	v_and_b32_e32 v1, 0xf8, v1
	v_and_or_b32 v1, v7, 7, v1
	s_and_b64 s[18:19], vcc, s[18:19]
	v_cndmask_b32_e64 v1, v1, 0, s[18:19]
	v_or_b32_e32 v34, v1, v0
.LBB6_8326:                             ;   in Loop: Header=BB6_6244 Depth=2
	s_or_b64 exec, exec, s[88:89]
                                        ; implicit-def: $vgpr0
.LBB6_8327:                             ;   in Loop: Header=BB6_6244 Depth=2
	s_andn2_saveexec_b64 s[18:19], s[78:79]
; %bb.8328:                             ;   in Loop: Header=BB6_6244 Depth=2
	v_or_b32_e32 v34, 0x7e, v0
; %bb.8329:                             ;   in Loop: Header=BB6_6244 Depth=2
	s_or_b64 exec, exec, s[18:19]
                                        ; implicit-def: $vgpr2
.LBB6_8330:                             ;   in Loop: Header=BB6_6244 Depth=2
	s_andn2_saveexec_b64 s[18:19], s[76:77]
; %bb.8331:                             ;   in Loop: Header=BB6_6244 Depth=2
	v_or_b32_sdwa v34, v2, s39 dst_sel:DWORD dst_unused:UNUSED_PAD src0_sel:BYTE_3 src1_sel:DWORD
; %bb.8332:                             ;   in Loop: Header=BB6_6244 Depth=2
	s_or_b64 exec, exec, s[18:19]
	buffer_load_dword v0, off, s[0:3], s33 offset:240 ; 4-byte Folded Reload
	buffer_load_dword v1, off, s[0:3], s33 offset:260 ; 4-byte Folded Reload
	;; [unrolled: 1-line block ×3, first 2 shown]
	v_cmp_ne_u32_e32 vcc, 0, v48
	v_mov_b32_e32 v3, 0
	s_waitcnt vmcnt(2)
	v_lshl_or_b32 v0, v0, 8, v48
	s_waitcnt vmcnt(1)
	v_lshlrev_b32_e32 v1, 16, v1
	s_waitcnt vmcnt(0)
	v_lshlrev_b32_e32 v2, 24, v2
	v_or3_b32 v50, v1, v2, v0
	v_mov_b32_e32 v2, 0
	s_and_saveexec_b64 s[18:19], vcc
	s_cbranch_execz .LBB6_8338
; %bb.8333:                             ;   in Loop: Header=BB6_6244 Depth=2
	v_cmp_ne_u32_e32 vcc, s50, v48
	v_bfrev_b32_e32 v3, 1
	s_and_saveexec_b64 s[76:77], vcc
	s_cbranch_execz .LBB6_8337
; %bb.8334:                             ;   in Loop: Header=BB6_6244 Depth=2
	v_and_b32_e32 v7, 0x7f, v48
	v_cmp_ne_u32_e32 vcc, s39, v7
	v_mov_b32_e32 v3, 0x7f800001
	s_and_saveexec_b64 s[78:79], vcc
	s_cbranch_execz .LBB6_8336
; %bb.8335:                             ;   in Loop: Header=BB6_6244 Depth=2
	v_and_b32_e32 v1, 7, v48
	v_ffbh_u32_e32 v1, v1
	v_min_u32_e32 v1, 32, v1
	v_lshrrev_b32_e32 v3, 3, v7
	v_cmp_gt_u32_e32 vcc, 8, v7
	v_subrev_u32_e32 v7, 28, v1
	v_sub_u32_e32 v1, 29, v1
	v_cndmask_b32_e32 v1, v3, v1, vcc
	v_cndmask_b32_e32 v3, 0, v7, vcc
	v_lshlrev_b64 v[7:8], v3, v[50:51]
	v_lshl_add_u32 v1, v1, 23, v62
	v_lshlrev_b32_e32 v3, 20, v7
	v_lshlrev_b32_e32 v7, 24, v50
	v_and_b32_e32 v3, 0x700000, v3
	v_and_b32_e32 v7, 0x80000000, v7
	v_or3_b32 v3, v7, v1, v3
.LBB6_8336:                             ;   in Loop: Header=BB6_6244 Depth=2
	s_or_b64 exec, exec, s[78:79]
.LBB6_8337:                             ;   in Loop: Header=BB6_6244 Depth=2
	s_or_b64 exec, exec, s[76:77]
.LBB6_8338:                             ;   in Loop: Header=BB6_6244 Depth=2
	s_or_b64 exec, exec, s[18:19]
	v_cmp_ne_u16_sdwa s[76:77], v20, v51 src0_sel:BYTE_0 src1_sel:DWORD
	s_and_saveexec_b64 s[18:19], s[76:77]
	s_cbranch_execz .LBB6_8344
; %bb.8339:                             ;   in Loop: Header=BB6_6244 Depth=2
	v_cmp_ne_u16_sdwa s[78:79], v20, s50 src0_sel:BYTE_0 src1_sel:DWORD
	v_bfrev_b32_e32 v2, 1
	s_and_saveexec_b64 s[76:77], s[78:79]
	s_cbranch_execz .LBB6_8343
; %bb.8340:                             ;   in Loop: Header=BB6_6244 Depth=2
	v_and_b32_e32 v7, 0x7f, v20
	v_cmp_ne_u32_e32 vcc, s39, v7
	v_mov_b32_e32 v2, 0x7f800001
	s_and_saveexec_b64 s[78:79], vcc
	s_cbranch_execz .LBB6_8342
; %bb.8341:                             ;   in Loop: Header=BB6_6244 Depth=2
	v_and_b32_e32 v1, 7, v20
	v_ffbh_u32_e32 v1, v1
	v_min_u32_e32 v1, 32, v1
	v_lshrrev_b32_e32 v2, 3, v7
	v_cmp_gt_u32_e32 vcc, 8, v7
	v_subrev_u32_e32 v7, 28, v1
	v_sub_u32_e32 v1, 29, v1
	v_cndmask_b32_e32 v1, v2, v1, vcc
	v_cndmask_b32_e32 v2, 0, v7, vcc
	v_lshlrev_b64 v[7:8], v2, v[20:21]
	v_lshl_add_u32 v1, v1, 23, v62
	v_lshlrev_b32_e32 v2, 20, v7
	v_lshlrev_b32_e32 v7, 24, v20
	v_and_b32_e32 v2, 0x700000, v2
	v_and_b32_e32 v7, 0x80000000, v7
	v_or3_b32 v2, v7, v1, v2
.LBB6_8342:                             ;   in Loop: Header=BB6_6244 Depth=2
	s_or_b64 exec, exec, s[78:79]
.LBB6_8343:                             ;   in Loop: Header=BB6_6244 Depth=2
	s_or_b64 exec, exec, s[76:77]
.LBB6_8344:                             ;   in Loop: Header=BB6_6244 Depth=2
	s_or_b64 exec, exec, s[18:19]
	v_add_f32_e32 v3, v3, v2
	v_and_b32_e32 v7, 0x7f800000, v3
	v_mov_b32_e32 v8, v51
	v_cmp_ne_u64_e32 vcc, s[46:47], v[7:8]
                                        ; implicit-def: $vgpr48
	s_and_saveexec_b64 s[18:19], vcc
	s_xor_b64 s[76:77], exec, s[18:19]
	s_cbranch_execz .LBB6_8358
; %bb.8345:                             ;   in Loop: Header=BB6_6244 Depth=2
	v_and_b32_e32 v7, 0x7fffffff, v3
	v_mov_b32_e32 v8, v51
	v_cmp_gt_u64_e32 vcc, s[56:57], v[7:8]
	v_and_b32_sdwa v2, v3, s50 dst_sel:DWORD dst_unused:UNUSED_PAD src0_sel:BYTE_3 src1_sel:DWORD
                                        ; implicit-def: $vgpr48
	s_and_saveexec_b64 s[18:19], vcc
	s_xor_b64 s[78:79], exec, s[18:19]
	s_cbranch_execz .LBB6_8355
; %bb.8346:                             ;   in Loop: Header=BB6_6244 Depth=2
	v_mov_b32_e32 v48, 0
	v_cmp_ne_u32_e32 vcc, 0, v3
	s_and_saveexec_b64 s[88:89], vcc
	s_cbranch_execz .LBB6_8354
; %bb.8347:                             ;   in Loop: Header=BB6_6244 Depth=2
	v_and_b32_e32 v1, 0x7fffff, v3
	v_bfe_u32 v3, v3, 23, 8
	v_cmp_gt_u32_e64 s[18:19], s51, v3
	v_sub_u32_e32 v7, 0x79, v3
	v_cmp_eq_u32_e32 vcc, 0, v3
	v_cndmask_b32_e64 v7, 0, v7, s[18:19]
	v_mov_b32_e32 v18, 0x78
	v_or_b32_e32 v8, 0x800000, v1
	v_cndmask_b32_e32 v7, v7, v18, vcc
	v_cndmask_b32_e32 v18, v8, v1, vcc
	v_add_u32_e32 v1, 20, v7
	v_lshlrev_b64 v[22:23], v1, -1
	v_mov_b32_e32 v19, v51
	v_add_u32_e32 v1, 19, v7
	v_bfi_b32 v22, v22, 0, v18
	v_lshlrev_b64 v[28:29], v1, 1
	v_lshrrev_b64 v[18:19], v7, v[18:19]
	v_bfi_b32 v23, v23, 0, 0
	v_cmp_eq_u64_e64 s[18:19], v[22:23], v[28:29]
	v_mov_b32_e32 v23, v19
	v_mov_b32_e32 v22, v18
	s_and_saveexec_b64 s[90:91], s[18:19]
; %bb.8348:                             ;   in Loop: Header=BB6_6244 Depth=2
	v_bfe_u32 v1, v18, 20, 1
	v_add_co_u32_e64 v1, s[18:19], v18, v1
	v_add_co_u32_e64 v22, s[18:19], -1, v1
; %bb.8349:                             ;   in Loop: Header=BB6_6244 Depth=2
	s_or_b64 exec, exec, s[90:91]
	v_add_u32_e32 v1, 0xffffff81, v3
	v_mov_b32_e32 v3, 0xffffff82
	v_cndmask_b32_e32 v1, v1, v3, vcc
	v_lshrrev_b32_e32 v3, 23, v18
	v_add3_u32 v8, v7, v1, v3
	v_add_u32_e32 v7, 6, v8
	v_and_b32_e32 v1, 0xfffff, v22
	v_add_u32_e32 v18, v1, v18
	v_mov_b32_e32 v19, v51
	v_cmp_ne_u32_e32 vcc, 0, v7
                                        ; implicit-def: $vgpr3
	s_and_saveexec_b64 s[18:19], vcc
	s_xor_b64 s[18:19], exec, s[18:19]
; %bb.8350:                             ;   in Loop: Header=BB6_6244 Depth=2
	v_cmp_lt_u64_e32 vcc, s[58:59], v[18:19]
	v_add_u32_e32 v1, 7, v8
	v_cndmask_b32_e32 v3, v7, v1, vcc
	v_cndmask_b32_e64 v1, 0, 1, vcc
	v_lshrrev_b64 v[18:19], v1, v[18:19]
; %bb.8351:                             ;   in Loop: Header=BB6_6244 Depth=2
	s_andn2_saveexec_b64 s[18:19], s[18:19]
; %bb.8352:                             ;   in Loop: Header=BB6_6244 Depth=2
	v_bfe_u32 v3, v18, 23, 1
; %bb.8353:                             ;   in Loop: Header=BB6_6244 Depth=2
	s_or_b64 exec, exec, s[18:19]
	v_lshrrev_b64 v[7:8], 20, v[18:19]
	v_cmp_gt_i32_e32 vcc, 16, v3
	v_cndmask_b32_e32 v8, 0, v8, vcc
	v_cndmask_b32_e32 v7, 7, v7, vcc
	v_min_i32_e32 v1, 15, v3
	v_cmp_eq_u64_e64 s[18:19], 0, v[7:8]
	v_lshlrev_b32_e32 v1, 3, v1
	v_cmp_eq_u32_e32 vcc, 0, v3
	v_and_b32_e32 v1, 0xf8, v1
	v_and_or_b32 v1, v7, 7, v1
	s_and_b64 s[18:19], vcc, s[18:19]
	v_cndmask_b32_e64 v1, v1, 0, s[18:19]
	v_or_b32_e32 v48, v1, v2
.LBB6_8354:                             ;   in Loop: Header=BB6_6244 Depth=2
	s_or_b64 exec, exec, s[88:89]
                                        ; implicit-def: $vgpr2
.LBB6_8355:                             ;   in Loop: Header=BB6_6244 Depth=2
	s_andn2_saveexec_b64 s[18:19], s[78:79]
; %bb.8356:                             ;   in Loop: Header=BB6_6244 Depth=2
	v_or_b32_e32 v48, 0x7e, v2
; %bb.8357:                             ;   in Loop: Header=BB6_6244 Depth=2
	s_or_b64 exec, exec, s[18:19]
                                        ; implicit-def: $vgpr3
.LBB6_8358:                             ;   in Loop: Header=BB6_6244 Depth=2
	s_andn2_saveexec_b64 s[18:19], s[76:77]
; %bb.8359:                             ;   in Loop: Header=BB6_6244 Depth=2
	v_or_b32_sdwa v48, v3, s39 dst_sel:DWORD dst_unused:UNUSED_PAD src0_sel:BYTE_3 src1_sel:DWORD
; %bb.8360:                             ;   in Loop: Header=BB6_6244 Depth=2
	s_or_b64 exec, exec, s[18:19]
	v_lshrrev_b16_e32 v18, 8, v0
	v_cmp_ne_u16_e32 vcc, 0, v18
	v_mov_b32_e32 v2, 0
	v_mov_b32_e32 v3, 0
	s_and_saveexec_b64 s[18:19], vcc
	s_cbranch_execz .LBB6_8366
; %bb.8361:                             ;   in Loop: Header=BB6_6244 Depth=2
	v_cmp_ne_u16_e32 vcc, s50, v18
	v_bfrev_b32_e32 v3, 1
	s_and_saveexec_b64 s[76:77], vcc
	s_cbranch_execz .LBB6_8365
; %bb.8362:                             ;   in Loop: Header=BB6_6244 Depth=2
	v_and_b32_e32 v7, 0x7f, v18
	v_cmp_ne_u32_e32 vcc, s39, v7
	v_mov_b32_e32 v3, 0x7f800001
	s_and_saveexec_b64 s[78:79], vcc
	s_cbranch_execz .LBB6_8364
; %bb.8363:                             ;   in Loop: Header=BB6_6244 Depth=2
	v_and_b32_e32 v1, 7, v18
	v_lshrrev_b32_e32 v3, 3, v7
	v_cmp_gt_u32_e32 vcc, 8, v7
	v_ffbh_u32_e32 v7, v1
	v_min_u32_e32 v19, 32, v7
	v_subrev_u32_e32 v7, 28, v19
	v_lshlrev_b64 v[7:8], v7, v[18:19]
	v_sub_u32_e32 v8, 29, v19
	v_and_b32_e32 v7, 7, v7
	v_cndmask_b32_e32 v3, v3, v8, vcc
	v_cndmask_b32_e32 v1, v1, v7, vcc
	v_lshlrev_b32_e32 v0, 16, v0
	v_lshlrev_b32_e32 v1, 20, v1
	v_and_b32_e32 v0, 0x80000000, v0
	v_lshl_add_u32 v3, v3, 23, v62
	v_or3_b32 v3, v0, v3, v1
.LBB6_8364:                             ;   in Loop: Header=BB6_6244 Depth=2
	s_or_b64 exec, exec, s[78:79]
.LBB6_8365:                             ;   in Loop: Header=BB6_6244 Depth=2
	s_or_b64 exec, exec, s[76:77]
.LBB6_8366:                             ;   in Loop: Header=BB6_6244 Depth=2
	s_or_b64 exec, exec, s[18:19]
	v_lshrrev_b16_e32 v18, 8, v20
	v_cmp_ne_u16_e32 vcc, 0, v18
	s_and_saveexec_b64 s[18:19], vcc
	s_cbranch_execz .LBB6_8372
; %bb.8367:                             ;   in Loop: Header=BB6_6244 Depth=2
	v_cmp_ne_u16_e32 vcc, s50, v18
	v_bfrev_b32_e32 v2, 1
	s_and_saveexec_b64 s[76:77], vcc
	s_cbranch_execz .LBB6_8371
; %bb.8368:                             ;   in Loop: Header=BB6_6244 Depth=2
	v_and_b32_e32 v0, 0x7f, v18
	v_cmp_ne_u32_e32 vcc, s39, v0
	v_mov_b32_e32 v2, 0x7f800001
	s_and_saveexec_b64 s[78:79], vcc
	s_cbranch_execz .LBB6_8370
; %bb.8369:                             ;   in Loop: Header=BB6_6244 Depth=2
	v_and_b32_e32 v1, 7, v18
	v_lshrrev_b32_e32 v2, 3, v0
	v_cmp_gt_u32_e32 vcc, 8, v0
	v_ffbh_u32_e32 v0, v1
	v_min_u32_e32 v0, 32, v0
	v_subrev_u32_e32 v7, 28, v0
	v_lshlrev_b64 v[7:8], v7, v[18:19]
	v_sub_u32_e32 v0, 29, v0
	v_and_b32_e32 v7, 7, v7
	v_cndmask_b32_e32 v0, v2, v0, vcc
	v_cndmask_b32_e32 v1, v1, v7, vcc
	v_lshlrev_b32_e32 v2, 16, v20
	v_lshlrev_b32_e32 v1, 20, v1
	v_and_b32_e32 v2, 0x80000000, v2
	v_lshl_add_u32 v0, v0, 23, v62
	v_or3_b32 v2, v2, v0, v1
.LBB6_8370:                             ;   in Loop: Header=BB6_6244 Depth=2
	s_or_b64 exec, exec, s[78:79]
.LBB6_8371:                             ;   in Loop: Header=BB6_6244 Depth=2
	s_or_b64 exec, exec, s[76:77]
.LBB6_8372:                             ;   in Loop: Header=BB6_6244 Depth=2
	s_or_b64 exec, exec, s[18:19]
	v_add_f32_e32 v2, v3, v2
	v_and_b32_e32 v7, 0x7f800000, v2
	v_mov_b32_e32 v8, v51
	v_cmp_ne_u64_e32 vcc, s[46:47], v[7:8]
                                        ; implicit-def: $vgpr54
	s_and_saveexec_b64 s[18:19], vcc
	s_xor_b64 s[76:77], exec, s[18:19]
	s_cbranch_execz .LBB6_8386
; %bb.8373:                             ;   in Loop: Header=BB6_6244 Depth=2
	v_and_b32_e32 v7, 0x7fffffff, v2
	v_mov_b32_e32 v8, v51
	v_cmp_gt_u64_e32 vcc, s[56:57], v[7:8]
	v_and_b32_sdwa v0, v2, s50 dst_sel:DWORD dst_unused:UNUSED_PAD src0_sel:BYTE_3 src1_sel:DWORD
                                        ; implicit-def: $vgpr54
	s_and_saveexec_b64 s[18:19], vcc
	s_xor_b64 s[78:79], exec, s[18:19]
	s_cbranch_execz .LBB6_8383
; %bb.8374:                             ;   in Loop: Header=BB6_6244 Depth=2
	v_mov_b32_e32 v54, 0
	v_cmp_ne_u32_e32 vcc, 0, v2
	s_and_saveexec_b64 s[88:89], vcc
	s_cbranch_execz .LBB6_8382
; %bb.8375:                             ;   in Loop: Header=BB6_6244 Depth=2
	v_and_b32_e32 v1, 0x7fffff, v2
	v_bfe_u32 v2, v2, 23, 8
	v_cmp_gt_u32_e64 s[18:19], s51, v2
	v_sub_u32_e32 v3, 0x79, v2
	v_cmp_eq_u32_e32 vcc, 0, v2
	v_cndmask_b32_e64 v3, 0, v3, s[18:19]
	v_mov_b32_e32 v8, 0x78
	v_or_b32_e32 v7, 0x800000, v1
	v_cndmask_b32_e32 v3, v3, v8, vcc
	v_cndmask_b32_e32 v7, v7, v1, vcc
	v_add_u32_e32 v1, 20, v3
	v_lshlrev_b64 v[18:19], v1, -1
	v_add_u32_e32 v1, 19, v3
	v_lshlrev_b64 v[22:23], v1, 1
	v_mov_b32_e32 v8, v51
	v_bfi_b32 v19, v19, 0, 0
	v_bfi_b32 v18, v18, 0, v7
	v_cmp_eq_u64_e64 s[18:19], v[18:19], v[22:23]
	v_lshrrev_b64 v[18:19], v3, v[7:8]
	v_mov_b32_e32 v23, v19
	v_mov_b32_e32 v22, v18
	s_and_saveexec_b64 s[90:91], s[18:19]
; %bb.8376:                             ;   in Loop: Header=BB6_6244 Depth=2
	v_bfe_u32 v1, v18, 20, 1
	v_add_co_u32_e64 v1, s[18:19], v18, v1
	v_add_co_u32_e64 v22, s[18:19], -1, v1
; %bb.8377:                             ;   in Loop: Header=BB6_6244 Depth=2
	s_or_b64 exec, exec, s[90:91]
	v_add_u32_e32 v1, 0xffffff81, v2
	v_mov_b32_e32 v2, 0xffffff82
	v_cndmask_b32_e32 v1, v1, v2, vcc
	v_lshrrev_b32_e32 v2, 23, v18
	v_add3_u32 v7, v3, v1, v2
	v_add_u32_e32 v3, 6, v7
	v_and_b32_e32 v1, 0xfffff, v22
	v_add_u32_e32 v18, v1, v18
	v_mov_b32_e32 v19, v51
	v_cmp_ne_u32_e32 vcc, 0, v3
                                        ; implicit-def: $vgpr2
	s_and_saveexec_b64 s[18:19], vcc
	s_xor_b64 s[18:19], exec, s[18:19]
; %bb.8378:                             ;   in Loop: Header=BB6_6244 Depth=2
	v_cmp_lt_u64_e32 vcc, s[58:59], v[18:19]
	v_add_u32_e32 v1, 7, v7
	v_cndmask_b32_e32 v2, v3, v1, vcc
	v_cndmask_b32_e64 v1, 0, 1, vcc
	v_lshrrev_b64 v[18:19], v1, v[18:19]
; %bb.8379:                             ;   in Loop: Header=BB6_6244 Depth=2
	s_andn2_saveexec_b64 s[18:19], s[18:19]
; %bb.8380:                             ;   in Loop: Header=BB6_6244 Depth=2
	v_bfe_u32 v2, v18, 23, 1
; %bb.8381:                             ;   in Loop: Header=BB6_6244 Depth=2
	s_or_b64 exec, exec, s[18:19]
	v_lshrrev_b64 v[7:8], 20, v[18:19]
	v_cmp_gt_i32_e32 vcc, 16, v2
	v_cndmask_b32_e32 v8, 0, v8, vcc
	v_cndmask_b32_e32 v7, 7, v7, vcc
	v_min_i32_e32 v1, 15, v2
	v_cmp_eq_u64_e64 s[18:19], 0, v[7:8]
	v_lshlrev_b32_e32 v1, 3, v1
	v_cmp_eq_u32_e32 vcc, 0, v2
	v_and_b32_e32 v1, 0xf8, v1
	v_and_or_b32 v1, v7, 7, v1
	s_and_b64 s[18:19], vcc, s[18:19]
	v_cndmask_b32_e64 v1, v1, 0, s[18:19]
	v_or_b32_e32 v54, v1, v0
.LBB6_8382:                             ;   in Loop: Header=BB6_6244 Depth=2
	s_or_b64 exec, exec, s[88:89]
                                        ; implicit-def: $vgpr0
.LBB6_8383:                             ;   in Loop: Header=BB6_6244 Depth=2
	s_andn2_saveexec_b64 s[18:19], s[78:79]
; %bb.8384:                             ;   in Loop: Header=BB6_6244 Depth=2
	v_or_b32_e32 v54, 0x7e, v0
; %bb.8385:                             ;   in Loop: Header=BB6_6244 Depth=2
	s_or_b64 exec, exec, s[18:19]
                                        ; implicit-def: $vgpr2
.LBB6_8386:                             ;   in Loop: Header=BB6_6244 Depth=2
	s_andn2_saveexec_b64 s[18:19], s[76:77]
; %bb.8387:                             ;   in Loop: Header=BB6_6244 Depth=2
	v_or_b32_sdwa v54, v2, s39 dst_sel:DWORD dst_unused:UNUSED_PAD src0_sel:BYTE_3 src1_sel:DWORD
; %bb.8388:                             ;   in Loop: Header=BB6_6244 Depth=2
	s_or_b64 exec, exec, s[18:19]
	v_lshrrev_b32_e32 v18, 16, v50
	v_cmp_ne_u16_sdwa s[76:77], v18, v51 src0_sel:BYTE_0 src1_sel:DWORD
	v_mov_b32_e32 v0, 0
	v_mov_b32_e32 v2, 0
	s_and_saveexec_b64 s[18:19], s[76:77]
	s_cbranch_execz .LBB6_8394
; %bb.8389:                             ;   in Loop: Header=BB6_6244 Depth=2
	v_cmp_ne_u16_sdwa s[78:79], v18, s50 src0_sel:BYTE_0 src1_sel:DWORD
	v_bfrev_b32_e32 v2, 1
	s_and_saveexec_b64 s[76:77], s[78:79]
	s_cbranch_execz .LBB6_8393
; %bb.8390:                             ;   in Loop: Header=BB6_6244 Depth=2
	v_bfe_u32 v3, v50, 16, 7
	v_cmp_ne_u32_e32 vcc, s39, v3
	v_mov_b32_e32 v2, 0x7f800001
	s_and_saveexec_b64 s[78:79], vcc
	s_cbranch_execz .LBB6_8392
; %bb.8391:                             ;   in Loop: Header=BB6_6244 Depth=2
	v_and_b32_e32 v1, 7, v18
	v_ffbh_u32_e32 v2, v1
	v_min_u32_e32 v8, 32, v2
	v_subrev_u32_e32 v2, 28, v8
	v_lshrrev_b32_e32 v7, 3, v3
	v_cmp_gt_u32_e32 vcc, 8, v3
	v_lshlrev_b64 v[2:3], v2, v[18:19]
	v_sub_u32_e32 v3, 29, v8
	v_and_b32_e32 v2, 7, v2
	v_cndmask_b32_e32 v3, v7, v3, vcc
	v_cndmask_b32_e32 v1, v1, v2, vcc
	v_lshlrev_b32_e32 v2, 24, v18
	v_lshlrev_b32_e32 v1, 20, v1
	v_and_b32_e32 v2, 0x80000000, v2
	v_lshl_add_u32 v3, v3, 23, v62
	v_or3_b32 v2, v2, v3, v1
.LBB6_8392:                             ;   in Loop: Header=BB6_6244 Depth=2
	s_or_b64 exec, exec, s[78:79]
.LBB6_8393:                             ;   in Loop: Header=BB6_6244 Depth=2
	s_or_b64 exec, exec, s[76:77]
.LBB6_8394:                             ;   in Loop: Header=BB6_6244 Depth=2
	s_or_b64 exec, exec, s[18:19]
	v_lshrrev_b32_e32 v18, 16, v20
	v_cmp_ne_u16_sdwa s[76:77], v18, v51 src0_sel:BYTE_0 src1_sel:DWORD
	s_and_saveexec_b64 s[18:19], s[76:77]
	s_cbranch_execz .LBB6_8400
; %bb.8395:                             ;   in Loop: Header=BB6_6244 Depth=2
	v_cmp_ne_u16_sdwa s[78:79], v18, s50 src0_sel:BYTE_0 src1_sel:DWORD
	v_bfrev_b32_e32 v0, 1
	s_and_saveexec_b64 s[76:77], s[78:79]
	s_cbranch_execz .LBB6_8399
; %bb.8396:                             ;   in Loop: Header=BB6_6244 Depth=2
	v_bfe_u32 v3, v20, 16, 7
	v_cmp_ne_u32_e32 vcc, s39, v3
	v_mov_b32_e32 v0, 0x7f800001
	s_and_saveexec_b64 s[78:79], vcc
	s_cbranch_execz .LBB6_8398
; %bb.8397:                             ;   in Loop: Header=BB6_6244 Depth=2
	v_and_b32_e32 v0, 7, v18
	v_lshrrev_b32_e32 v1, 3, v3
	v_cmp_gt_u32_e32 vcc, 8, v3
	v_ffbh_u32_e32 v3, v0
	v_min_u32_e32 v3, 32, v3
	v_subrev_u32_e32 v7, 28, v3
	v_lshlrev_b64 v[7:8], v7, v[18:19]
	v_sub_u32_e32 v3, 29, v3
	v_and_b32_e32 v7, 7, v7
	v_cndmask_b32_e32 v1, v1, v3, vcc
	v_cndmask_b32_e32 v0, v0, v7, vcc
	v_lshlrev_b32_e32 v3, 8, v20
	v_lshlrev_b32_e32 v0, 20, v0
	v_and_b32_e32 v3, 0x80000000, v3
	v_lshl_add_u32 v1, v1, 23, v62
	v_or3_b32 v0, v3, v1, v0
.LBB6_8398:                             ;   in Loop: Header=BB6_6244 Depth=2
	s_or_b64 exec, exec, s[78:79]
.LBB6_8399:                             ;   in Loop: Header=BB6_6244 Depth=2
	s_or_b64 exec, exec, s[76:77]
.LBB6_8400:                             ;   in Loop: Header=BB6_6244 Depth=2
	s_or_b64 exec, exec, s[18:19]
	v_add_f32_e32 v2, v2, v0
	v_and_b32_e32 v7, 0x7f800000, v2
	v_mov_b32_e32 v8, v51
	v_cmp_ne_u64_e32 vcc, s[46:47], v[7:8]
                                        ; implicit-def: $vgpr1
	s_and_saveexec_b64 s[18:19], vcc
	s_xor_b64 s[76:77], exec, s[18:19]
	s_cbranch_execz .LBB6_8414
; %bb.8401:                             ;   in Loop: Header=BB6_6244 Depth=2
	v_and_b32_e32 v7, 0x7fffffff, v2
	v_mov_b32_e32 v8, v51
	v_cmp_gt_u64_e32 vcc, s[56:57], v[7:8]
	v_and_b32_sdwa v0, v2, s50 dst_sel:DWORD dst_unused:UNUSED_PAD src0_sel:BYTE_3 src1_sel:DWORD
                                        ; implicit-def: $vgpr1
	s_and_saveexec_b64 s[18:19], vcc
	s_xor_b64 s[78:79], exec, s[18:19]
	s_cbranch_execz .LBB6_8411
; %bb.8402:                             ;   in Loop: Header=BB6_6244 Depth=2
	v_mov_b32_e32 v1, 0
	v_cmp_ne_u32_e32 vcc, 0, v2
	s_and_saveexec_b64 s[88:89], vcc
	s_cbranch_execz .LBB6_8410
; %bb.8403:                             ;   in Loop: Header=BB6_6244 Depth=2
	v_and_b32_e32 v1, 0x7fffff, v2
	v_bfe_u32 v2, v2, 23, 8
	v_cmp_gt_u32_e64 s[18:19], s51, v2
	v_sub_u32_e32 v3, 0x79, v2
	v_cmp_eq_u32_e32 vcc, 0, v2
	v_cndmask_b32_e64 v3, 0, v3, s[18:19]
	v_mov_b32_e32 v8, 0x78
	v_or_b32_e32 v7, 0x800000, v1
	v_cndmask_b32_e32 v3, v3, v8, vcc
	v_cndmask_b32_e32 v7, v7, v1, vcc
	v_add_u32_e32 v1, 20, v3
	v_lshlrev_b64 v[18:19], v1, -1
	v_add_u32_e32 v1, 19, v3
	v_lshlrev_b64 v[22:23], v1, 1
	v_mov_b32_e32 v8, v51
	v_bfi_b32 v19, v19, 0, 0
	v_bfi_b32 v18, v18, 0, v7
	v_cmp_eq_u64_e64 s[18:19], v[18:19], v[22:23]
	v_lshrrev_b64 v[18:19], v3, v[7:8]
	v_mov_b32_e32 v23, v19
	v_mov_b32_e32 v22, v18
	s_and_saveexec_b64 s[90:91], s[18:19]
; %bb.8404:                             ;   in Loop: Header=BB6_6244 Depth=2
	v_bfe_u32 v1, v18, 20, 1
	v_add_co_u32_e64 v1, s[18:19], v18, v1
	v_add_co_u32_e64 v22, s[18:19], -1, v1
; %bb.8405:                             ;   in Loop: Header=BB6_6244 Depth=2
	s_or_b64 exec, exec, s[90:91]
	v_add_u32_e32 v1, 0xffffff81, v2
	v_mov_b32_e32 v2, 0xffffff82
	v_cndmask_b32_e32 v1, v1, v2, vcc
	v_lshrrev_b32_e32 v2, 23, v18
	v_add3_u32 v7, v3, v1, v2
	v_add_u32_e32 v3, 6, v7
	v_and_b32_e32 v1, 0xfffff, v22
	v_add_u32_e32 v18, v1, v18
	v_mov_b32_e32 v19, v51
	v_cmp_ne_u32_e32 vcc, 0, v3
                                        ; implicit-def: $vgpr2
	s_and_saveexec_b64 s[18:19], vcc
	s_xor_b64 s[18:19], exec, s[18:19]
; %bb.8406:                             ;   in Loop: Header=BB6_6244 Depth=2
	v_cmp_lt_u64_e32 vcc, s[58:59], v[18:19]
	v_add_u32_e32 v1, 7, v7
	v_cndmask_b32_e32 v2, v3, v1, vcc
	v_cndmask_b32_e64 v1, 0, 1, vcc
	v_lshrrev_b64 v[18:19], v1, v[18:19]
; %bb.8407:                             ;   in Loop: Header=BB6_6244 Depth=2
	s_andn2_saveexec_b64 s[18:19], s[18:19]
; %bb.8408:                             ;   in Loop: Header=BB6_6244 Depth=2
	v_bfe_u32 v2, v18, 23, 1
; %bb.8409:                             ;   in Loop: Header=BB6_6244 Depth=2
	s_or_b64 exec, exec, s[18:19]
	v_lshrrev_b64 v[7:8], 20, v[18:19]
	v_cmp_gt_i32_e32 vcc, 16, v2
	v_cndmask_b32_e32 v8, 0, v8, vcc
	v_cndmask_b32_e32 v7, 7, v7, vcc
	v_min_i32_e32 v1, 15, v2
	v_cmp_eq_u64_e64 s[18:19], 0, v[7:8]
	v_lshlrev_b32_e32 v1, 3, v1
	v_cmp_eq_u32_e32 vcc, 0, v2
	v_and_b32_e32 v1, 0xf8, v1
	v_and_or_b32 v1, v7, 7, v1
	s_and_b64 s[18:19], vcc, s[18:19]
	v_cndmask_b32_e64 v1, v1, 0, s[18:19]
	v_or_b32_e32 v1, v1, v0
.LBB6_8410:                             ;   in Loop: Header=BB6_6244 Depth=2
	s_or_b64 exec, exec, s[88:89]
                                        ; implicit-def: $vgpr0
.LBB6_8411:                             ;   in Loop: Header=BB6_6244 Depth=2
	s_andn2_saveexec_b64 s[18:19], s[78:79]
; %bb.8412:                             ;   in Loop: Header=BB6_6244 Depth=2
	v_or_b32_e32 v1, 0x7e, v0
; %bb.8413:                             ;   in Loop: Header=BB6_6244 Depth=2
	s_or_b64 exec, exec, s[18:19]
                                        ; implicit-def: $vgpr2
.LBB6_8414:                             ;   in Loop: Header=BB6_6244 Depth=2
	s_andn2_saveexec_b64 s[18:19], s[76:77]
; %bb.8415:                             ;   in Loop: Header=BB6_6244 Depth=2
	v_or_b32_sdwa v1, v2, s39 dst_sel:DWORD dst_unused:UNUSED_PAD src0_sel:BYTE_3 src1_sel:DWORD
; %bb.8416:                             ;   in Loop: Header=BB6_6244 Depth=2
	s_or_b64 exec, exec, s[18:19]
	v_cmp_lt_u32_e32 vcc, s61, v50
	v_mov_b32_e32 v0, 0
	v_mov_b32_e32 v2, 0
	s_and_saveexec_b64 s[18:19], vcc
	s_cbranch_execz .LBB6_8422
; %bb.8417:                             ;   in Loop: Header=BB6_6244 Depth=2
	v_lshrrev_b32_e32 v18, 24, v50
	v_cmp_ne_u32_sdwa s[78:79], v50, s50 src0_sel:BYTE_3 src1_sel:DWORD
	v_bfrev_b32_e32 v2, 1
	s_and_saveexec_b64 s[76:77], s[78:79]
	s_cbranch_execz .LBB6_8421
; %bb.8418:                             ;   in Loop: Header=BB6_6244 Depth=2
	v_bfe_u32 v3, v50, 24, 7
	v_cmp_ne_u32_e32 vcc, s39, v3
	v_mov_b32_e32 v2, 0x7f800001
	s_and_saveexec_b64 s[78:79], vcc
	s_cbranch_execz .LBB6_8420
; %bb.8419:                             ;   in Loop: Header=BB6_6244 Depth=2
	v_and_b32_e32 v7, 7, v18
	v_ffbh_u32_e32 v2, v7
	v_min_u32_e32 v19, 32, v2
	v_subrev_u32_e32 v2, 28, v19
	v_lshrrev_b32_e32 v8, 3, v3
	v_cmp_gt_u32_e32 vcc, 8, v3
	v_lshlrev_b64 v[2:3], v2, v[18:19]
	v_sub_u32_e32 v3, 29, v19
	v_and_b32_e32 v2, 7, v2
	v_cndmask_b32_e32 v2, v7, v2, vcc
	v_mov_b32_e32 v7, 24
	v_cndmask_b32_e32 v3, v8, v3, vcc
	v_lshlrev_b32_sdwa v7, v7, v50 dst_sel:DWORD dst_unused:UNUSED_PAD src0_sel:DWORD src1_sel:BYTE_3
	v_lshlrev_b32_e32 v2, 20, v2
	v_and_b32_e32 v7, 0x80000000, v7
	v_lshl_add_u32 v3, v3, 23, v62
	v_or3_b32 v2, v7, v3, v2
.LBB6_8420:                             ;   in Loop: Header=BB6_6244 Depth=2
	s_or_b64 exec, exec, s[78:79]
.LBB6_8421:                             ;   in Loop: Header=BB6_6244 Depth=2
	s_or_b64 exec, exec, s[76:77]
.LBB6_8422:                             ;   in Loop: Header=BB6_6244 Depth=2
	s_or_b64 exec, exec, s[18:19]
	v_cmp_lt_u32_e32 vcc, s61, v20
	s_and_saveexec_b64 s[18:19], vcc
	s_cbranch_execz .LBB6_8428
; %bb.8423:                             ;   in Loop: Header=BB6_6244 Depth=2
	v_lshrrev_b32_e32 v18, 24, v20
	v_cmp_ne_u32_e32 vcc, s50, v18
	v_bfrev_b32_e32 v0, 1
	s_and_saveexec_b64 s[76:77], vcc
	s_cbranch_execz .LBB6_8427
; %bb.8424:                             ;   in Loop: Header=BB6_6244 Depth=2
	v_bfe_u32 v3, v20, 24, 7
	v_cmp_ne_u32_e32 vcc, s39, v3
	v_mov_b32_e32 v0, 0x7f800001
	s_and_saveexec_b64 s[78:79], vcc
	s_cbranch_execz .LBB6_8426
; %bb.8425:                             ;   in Loop: Header=BB6_6244 Depth=2
	v_and_b32_e32 v0, 7, v18
	v_lshrrev_b32_e32 v19, 3, v3
	v_cmp_gt_u32_e32 vcc, 8, v3
	v_ffbh_u32_e32 v3, v0
	v_min_u32_e32 v3, 32, v3
	v_subrev_u32_e32 v7, 28, v3
	v_lshlrev_b64 v[7:8], v7, v[18:19]
	v_sub_u32_e32 v3, 29, v3
	v_and_b32_e32 v7, 7, v7
	v_cndmask_b32_e32 v3, v19, v3, vcc
	v_cndmask_b32_e32 v0, v0, v7, vcc
	v_lshlrev_b32_e32 v7, 24, v18
	v_lshlrev_b32_e32 v0, 20, v0
	v_and_b32_e32 v7, 0x80000000, v7
	v_lshl_add_u32 v3, v3, 23, v62
	v_or3_b32 v0, v7, v3, v0
.LBB6_8426:                             ;   in Loop: Header=BB6_6244 Depth=2
	s_or_b64 exec, exec, s[78:79]
.LBB6_8427:                             ;   in Loop: Header=BB6_6244 Depth=2
	s_or_b64 exec, exec, s[76:77]
.LBB6_8428:                             ;   in Loop: Header=BB6_6244 Depth=2
	s_or_b64 exec, exec, s[18:19]
	v_add_f32_e32 v2, v2, v0
	v_and_b32_e32 v50, 0x7f800000, v2
	v_cmp_ne_u64_e32 vcc, s[46:47], v[50:51]
                                        ; implicit-def: $vgpr41
	s_and_saveexec_b64 s[18:19], vcc
	s_xor_b64 s[76:77], exec, s[18:19]
	s_cbranch_execz .LBB6_8442
; %bb.8429:                             ;   in Loop: Header=BB6_6244 Depth=2
	v_and_b32_e32 v50, 0x7fffffff, v2
	v_cmp_gt_u64_e32 vcc, s[56:57], v[50:51]
	v_and_b32_sdwa v0, v2, s50 dst_sel:DWORD dst_unused:UNUSED_PAD src0_sel:BYTE_3 src1_sel:DWORD
                                        ; implicit-def: $vgpr41
	s_and_saveexec_b64 s[18:19], vcc
	s_xor_b64 s[78:79], exec, s[18:19]
	s_cbranch_execz .LBB6_8439
; %bb.8430:                             ;   in Loop: Header=BB6_6244 Depth=2
	v_mov_b32_e32 v41, 0
	v_cmp_ne_u32_e32 vcc, 0, v2
	s_and_saveexec_b64 s[88:89], vcc
	s_cbranch_execz .LBB6_8438
; %bb.8431:                             ;   in Loop: Header=BB6_6244 Depth=2
	v_and_b32_e32 v7, 0x7fffff, v2
	v_bfe_u32 v2, v2, 23, 8
	v_cmp_gt_u32_e64 s[18:19], s51, v2
	v_sub_u32_e32 v3, 0x79, v2
	v_cmp_eq_u32_e32 vcc, 0, v2
	v_cndmask_b32_e64 v3, 0, v3, s[18:19]
	v_mov_b32_e32 v18, 0x78
	v_or_b32_e32 v8, 0x800000, v7
	v_cndmask_b32_e32 v3, v3, v18, vcc
	v_cndmask_b32_e32 v50, v8, v7, vcc
	v_add_u32_e32 v7, 20, v3
	v_lshlrev_b64 v[7:8], v7, -1
	v_add_u32_e32 v18, 19, v3
	v_lshlrev_b64 v[18:19], v18, 1
	v_bfi_b32 v8, v8, 0, 0
	v_bfi_b32 v7, v7, 0, v50
	v_cmp_eq_u64_e64 s[18:19], v[7:8], v[18:19]
	v_lshrrev_b64 v[18:19], v3, v[50:51]
	v_mov_b32_e32 v23, v19
	v_mov_b32_e32 v22, v18
	s_and_saveexec_b64 s[90:91], s[18:19]
; %bb.8432:                             ;   in Loop: Header=BB6_6244 Depth=2
	v_bfe_u32 v7, v18, 20, 1
	v_add_co_u32_e64 v7, s[18:19], v18, v7
	v_add_co_u32_e64 v22, s[18:19], -1, v7
; %bb.8433:                             ;   in Loop: Header=BB6_6244 Depth=2
	s_or_b64 exec, exec, s[90:91]
	v_add_u32_e32 v2, 0xffffff81, v2
	v_mov_b32_e32 v7, 0xffffff82
	v_cndmask_b32_e32 v2, v2, v7, vcc
	v_lshrrev_b32_e32 v7, 23, v18
	v_add3_u32 v7, v3, v2, v7
	v_add_u32_e32 v3, 6, v7
	v_and_b32_e32 v2, 0xfffff, v22
	v_add_u32_e32 v50, v2, v18
	v_cmp_ne_u32_e32 vcc, 0, v3
                                        ; implicit-def: $vgpr18_vgpr19
                                        ; implicit-def: $vgpr2
	s_and_saveexec_b64 s[18:19], vcc
	s_xor_b64 s[18:19], exec, s[18:19]
; %bb.8434:                             ;   in Loop: Header=BB6_6244 Depth=2
	v_cmp_lt_u64_e32 vcc, s[58:59], v[50:51]
	v_add_u32_e32 v2, 7, v7
	v_cndmask_b32_e32 v2, v3, v2, vcc
	v_cndmask_b32_e64 v3, 0, 1, vcc
	v_lshrrev_b64 v[18:19], v3, v[50:51]
; %bb.8435:                             ;   in Loop: Header=BB6_6244 Depth=2
	s_andn2_saveexec_b64 s[18:19], s[18:19]
; %bb.8436:                             ;   in Loop: Header=BB6_6244 Depth=2
	v_mov_b32_e32 v18, v50
	v_bfe_u32 v2, v50, 23, 1
	v_mov_b32_e32 v19, v51
; %bb.8437:                             ;   in Loop: Header=BB6_6244 Depth=2
	s_or_b64 exec, exec, s[18:19]
	v_lshrrev_b64 v[7:8], 20, v[18:19]
	v_cmp_gt_i32_e32 vcc, 16, v2
	v_cndmask_b32_e32 v8, 0, v8, vcc
	v_cndmask_b32_e32 v7, 7, v7, vcc
	v_cmp_eq_u32_e32 vcc, 0, v2
	v_min_i32_e32 v2, 15, v2
	v_cmp_eq_u64_e64 s[18:19], 0, v[7:8]
	v_lshlrev_b32_e32 v2, 3, v2
	v_and_b32_e32 v2, 0xf8, v2
	v_and_or_b32 v2, v7, 7, v2
	s_and_b64 s[18:19], vcc, s[18:19]
	v_cndmask_b32_e64 v2, v2, 0, s[18:19]
	v_or_b32_e32 v41, v2, v0
.LBB6_8438:                             ;   in Loop: Header=BB6_6244 Depth=2
	s_or_b64 exec, exec, s[88:89]
                                        ; implicit-def: $vgpr0
.LBB6_8439:                             ;   in Loop: Header=BB6_6244 Depth=2
	s_andn2_saveexec_b64 s[18:19], s[78:79]
; %bb.8440:                             ;   in Loop: Header=BB6_6244 Depth=2
	v_or_b32_e32 v41, 0x7e, v0
; %bb.8441:                             ;   in Loop: Header=BB6_6244 Depth=2
	s_or_b64 exec, exec, s[18:19]
                                        ; implicit-def: $vgpr2
.LBB6_8442:                             ;   in Loop: Header=BB6_6244 Depth=2
	s_andn2_saveexec_b64 s[18:19], s[76:77]
; %bb.8443:                             ;   in Loop: Header=BB6_6244 Depth=2
	v_or_b32_sdwa v41, v2, s39 dst_sel:DWORD dst_unused:UNUSED_PAD src0_sel:BYTE_3 src1_sel:DWORD
; %bb.8444:                             ;   in Loop: Header=BB6_6244 Depth=2
	s_or_b64 exec, exec, s[18:19]
	buffer_load_dword v0, off, s[0:3], s33 offset:264 ; 4-byte Folded Reload
	v_cmp_ne_u32_e32 vcc, 0, v35
	s_waitcnt vmcnt(0)
	v_lshlrev_b32_e32 v2, 24, v0
	buffer_load_dword v0, off, s[0:3], s33 offset:244 ; 4-byte Folded Reload
	s_waitcnt vmcnt(0)
	v_lshlrev_b32_e32 v3, 16, v0
	buffer_load_dword v0, off, s[0:3], s33 offset:224 ; 4-byte Folded Reload
	s_waitcnt vmcnt(0)
	v_lshl_or_b32 v0, v0, 8, v35
	v_or3_b32 v50, v3, v2, v0
	v_mov_b32_e32 v3, 0
	v_mov_b32_e32 v2, 0
	s_and_saveexec_b64 s[18:19], vcc
	s_cbranch_execz .LBB6_8450
; %bb.8445:                             ;   in Loop: Header=BB6_6244 Depth=2
	v_cmp_ne_u32_e32 vcc, s50, v35
	v_bfrev_b32_e32 v2, 1
	s_and_saveexec_b64 s[76:77], vcc
	s_cbranch_execz .LBB6_8449
; %bb.8446:                             ;   in Loop: Header=BB6_6244 Depth=2
	v_and_b32_e32 v7, 0x7f, v35
	v_cmp_ne_u32_e32 vcc, s39, v7
	v_mov_b32_e32 v2, 0x7f800001
	s_and_saveexec_b64 s[78:79], vcc
	s_cbranch_execz .LBB6_8448
; %bb.8447:                             ;   in Loop: Header=BB6_6244 Depth=2
	v_and_b32_e32 v2, 7, v35
	v_ffbh_u32_e32 v2, v2
	v_min_u32_e32 v2, 32, v2
	v_lshrrev_b32_e32 v8, 3, v7
	v_cmp_gt_u32_e32 vcc, 8, v7
	v_subrev_u32_e32 v7, 28, v2
	v_sub_u32_e32 v2, 29, v2
	v_cndmask_b32_e32 v7, 0, v7, vcc
	v_cndmask_b32_e32 v2, v8, v2, vcc
	v_lshlrev_b64 v[7:8], v7, v[50:51]
	v_lshlrev_b32_e32 v8, 24, v50
	v_lshlrev_b32_e32 v7, 20, v7
	v_and_b32_e32 v7, 0x700000, v7
	v_and_b32_e32 v8, 0x80000000, v8
	v_lshl_add_u32 v2, v2, 23, v62
	v_or3_b32 v2, v8, v2, v7
.LBB6_8448:                             ;   in Loop: Header=BB6_6244 Depth=2
	s_or_b64 exec, exec, s[78:79]
.LBB6_8449:                             ;   in Loop: Header=BB6_6244 Depth=2
	s_or_b64 exec, exec, s[76:77]
.LBB6_8450:                             ;   in Loop: Header=BB6_6244 Depth=2
	s_or_b64 exec, exec, s[18:19]
	v_cmp_ne_u16_sdwa s[76:77], v21, v51 src0_sel:BYTE_0 src1_sel:DWORD
	s_and_saveexec_b64 s[18:19], s[76:77]
	s_cbranch_execz .LBB6_8456
; %bb.8451:                             ;   in Loop: Header=BB6_6244 Depth=2
	v_cmp_ne_u16_sdwa s[78:79], v21, s50 src0_sel:BYTE_0 src1_sel:DWORD
	v_bfrev_b32_e32 v3, 1
	s_and_saveexec_b64 s[76:77], s[78:79]
	s_cbranch_execz .LBB6_8455
; %bb.8452:                             ;   in Loop: Header=BB6_6244 Depth=2
	v_and_b32_e32 v7, 0x7f, v21
	v_cmp_ne_u32_e32 vcc, s39, v7
	v_mov_b32_e32 v3, 0x7f800001
	s_and_saveexec_b64 s[78:79], vcc
	s_cbranch_execz .LBB6_8454
; %bb.8453:                             ;   in Loop: Header=BB6_6244 Depth=2
	v_and_b32_e32 v3, 7, v21
	v_ffbh_u32_e32 v3, v3
	v_min_u32_e32 v3, 32, v3
	v_lshrrev_b32_e32 v8, 3, v7
	v_cmp_gt_u32_e32 vcc, 8, v7
	v_subrev_u32_e32 v7, 28, v3
	v_mov_b32_e32 v18, v21
	v_mov_b32_e32 v19, v51
	v_sub_u32_e32 v3, 29, v3
	v_cndmask_b32_e32 v7, 0, v7, vcc
	v_cndmask_b32_e32 v3, v8, v3, vcc
	v_lshlrev_b64 v[7:8], v7, v[18:19]
	v_lshlrev_b32_e32 v8, 24, v18
	v_lshlrev_b32_e32 v7, 20, v7
	v_and_b32_e32 v7, 0x700000, v7
	v_and_b32_e32 v8, 0x80000000, v8
	v_lshl_add_u32 v3, v3, 23, v62
	v_or3_b32 v3, v8, v3, v7
.LBB6_8454:                             ;   in Loop: Header=BB6_6244 Depth=2
	s_or_b64 exec, exec, s[78:79]
.LBB6_8455:                             ;   in Loop: Header=BB6_6244 Depth=2
	s_or_b64 exec, exec, s[76:77]
.LBB6_8456:                             ;   in Loop: Header=BB6_6244 Depth=2
	s_or_b64 exec, exec, s[18:19]
	v_add_f32_e32 v3, v2, v3
	v_and_b32_e32 v7, 0x7f800000, v3
	v_mov_b32_e32 v8, v51
	v_cmp_ne_u64_e32 vcc, s[46:47], v[7:8]
                                        ; implicit-def: $vgpr35
	s_and_saveexec_b64 s[18:19], vcc
	s_xor_b64 s[76:77], exec, s[18:19]
	s_cbranch_execz .LBB6_8470
; %bb.8457:                             ;   in Loop: Header=BB6_6244 Depth=2
	v_and_b32_e32 v7, 0x7fffffff, v3
	v_mov_b32_e32 v8, v51
	v_cmp_gt_u64_e32 vcc, s[56:57], v[7:8]
	v_and_b32_sdwa v2, v3, s50 dst_sel:DWORD dst_unused:UNUSED_PAD src0_sel:BYTE_3 src1_sel:DWORD
                                        ; implicit-def: $vgpr35
	s_and_saveexec_b64 s[18:19], vcc
	s_xor_b64 s[78:79], exec, s[18:19]
	s_cbranch_execz .LBB6_8467
; %bb.8458:                             ;   in Loop: Header=BB6_6244 Depth=2
	v_mov_b32_e32 v35, 0
	v_cmp_ne_u32_e32 vcc, 0, v3
	s_and_saveexec_b64 s[88:89], vcc
	s_cbranch_execz .LBB6_8466
; %bb.8459:                             ;   in Loop: Header=BB6_6244 Depth=2
	v_and_b32_e32 v8, 0x7fffff, v3
	v_bfe_u32 v3, v3, 23, 8
	v_cmp_gt_u32_e64 s[18:19], s51, v3
	v_sub_u32_e32 v7, 0x79, v3
	v_cmp_eq_u32_e32 vcc, 0, v3
	v_cndmask_b32_e64 v7, 0, v7, s[18:19]
	v_mov_b32_e32 v19, 0x78
	v_or_b32_e32 v18, 0x800000, v8
	v_cndmask_b32_e32 v7, v7, v19, vcc
	v_cndmask_b32_e32 v18, v18, v8, vcc
	v_add_u32_e32 v8, 20, v7
	v_lshlrev_b64 v[22:23], v8, -1
	v_mov_b32_e32 v19, v51
	v_add_u32_e32 v8, 19, v7
	v_bfi_b32 v22, v22, 0, v18
	v_lshlrev_b64 v[28:29], v8, 1
	v_lshrrev_b64 v[18:19], v7, v[18:19]
	v_bfi_b32 v23, v23, 0, 0
	v_cmp_eq_u64_e64 s[18:19], v[22:23], v[28:29]
	v_mov_b32_e32 v23, v19
	v_mov_b32_e32 v22, v18
	s_and_saveexec_b64 s[90:91], s[18:19]
; %bb.8460:                             ;   in Loop: Header=BB6_6244 Depth=2
	v_bfe_u32 v8, v18, 20, 1
	v_add_co_u32_e64 v8, s[18:19], v18, v8
	v_add_co_u32_e64 v22, s[18:19], -1, v8
; %bb.8461:                             ;   in Loop: Header=BB6_6244 Depth=2
	s_or_b64 exec, exec, s[90:91]
	v_add_u32_e32 v3, 0xffffff81, v3
	v_mov_b32_e32 v8, 0xffffff82
	v_cndmask_b32_e32 v3, v3, v8, vcc
	v_lshrrev_b32_e32 v8, 23, v18
	v_add3_u32 v8, v7, v3, v8
	v_add_u32_e32 v7, 6, v8
	v_and_b32_e32 v3, 0xfffff, v22
	v_add_u32_e32 v18, v3, v18
	v_mov_b32_e32 v19, v51
	v_cmp_ne_u32_e32 vcc, 0, v7
                                        ; implicit-def: $vgpr3
	s_and_saveexec_b64 s[18:19], vcc
	s_xor_b64 s[18:19], exec, s[18:19]
; %bb.8462:                             ;   in Loop: Header=BB6_6244 Depth=2
	v_cmp_lt_u64_e32 vcc, s[58:59], v[18:19]
	v_add_u32_e32 v3, 7, v8
	v_cndmask_b32_e32 v3, v7, v3, vcc
	v_cndmask_b32_e64 v7, 0, 1, vcc
	v_lshrrev_b64 v[18:19], v7, v[18:19]
; %bb.8463:                             ;   in Loop: Header=BB6_6244 Depth=2
	s_andn2_saveexec_b64 s[18:19], s[18:19]
; %bb.8464:                             ;   in Loop: Header=BB6_6244 Depth=2
	v_bfe_u32 v3, v18, 23, 1
; %bb.8465:                             ;   in Loop: Header=BB6_6244 Depth=2
	s_or_b64 exec, exec, s[18:19]
	v_lshrrev_b64 v[7:8], 20, v[18:19]
	v_cmp_gt_i32_e32 vcc, 16, v3
	v_cndmask_b32_e32 v8, 0, v8, vcc
	v_cndmask_b32_e32 v7, 7, v7, vcc
	v_cmp_eq_u32_e32 vcc, 0, v3
	v_min_i32_e32 v3, 15, v3
	v_cmp_eq_u64_e64 s[18:19], 0, v[7:8]
	v_lshlrev_b32_e32 v3, 3, v3
	v_and_b32_e32 v3, 0xf8, v3
	v_and_or_b32 v3, v7, 7, v3
	s_and_b64 s[18:19], vcc, s[18:19]
	v_cndmask_b32_e64 v3, v3, 0, s[18:19]
	v_or_b32_e32 v35, v3, v2
.LBB6_8466:                             ;   in Loop: Header=BB6_6244 Depth=2
	s_or_b64 exec, exec, s[88:89]
                                        ; implicit-def: $vgpr2
.LBB6_8467:                             ;   in Loop: Header=BB6_6244 Depth=2
	s_andn2_saveexec_b64 s[18:19], s[78:79]
; %bb.8468:                             ;   in Loop: Header=BB6_6244 Depth=2
	v_or_b32_e32 v35, 0x7e, v2
; %bb.8469:                             ;   in Loop: Header=BB6_6244 Depth=2
	s_or_b64 exec, exec, s[18:19]
                                        ; implicit-def: $vgpr3
.LBB6_8470:                             ;   in Loop: Header=BB6_6244 Depth=2
	s_andn2_saveexec_b64 s[18:19], s[76:77]
; %bb.8471:                             ;   in Loop: Header=BB6_6244 Depth=2
	v_or_b32_sdwa v35, v3, s39 dst_sel:DWORD dst_unused:UNUSED_PAD src0_sel:BYTE_3 src1_sel:DWORD
; %bb.8472:                             ;   in Loop: Header=BB6_6244 Depth=2
	s_or_b64 exec, exec, s[18:19]
	v_lshrrev_b16_e32 v18, 8, v0
	v_cmp_ne_u16_e32 vcc, 0, v18
	v_mov_b32_e32 v2, 0
	v_mov_b32_e32 v3, 0
	s_and_saveexec_b64 s[18:19], vcc
	s_cbranch_execz .LBB6_8478
; %bb.8473:                             ;   in Loop: Header=BB6_6244 Depth=2
	v_cmp_ne_u16_e32 vcc, s50, v18
	v_bfrev_b32_e32 v3, 1
	s_and_saveexec_b64 s[76:77], vcc
	s_cbranch_execz .LBB6_8477
; %bb.8474:                             ;   in Loop: Header=BB6_6244 Depth=2
	v_and_b32_e32 v7, 0x7f, v18
	v_cmp_ne_u32_e32 vcc, s39, v7
	v_mov_b32_e32 v3, 0x7f800001
	s_and_saveexec_b64 s[78:79], vcc
	s_cbranch_execz .LBB6_8476
; %bb.8475:                             ;   in Loop: Header=BB6_6244 Depth=2
	v_and_b32_e32 v3, 7, v18
	v_lshrrev_b32_e32 v19, 3, v7
	v_cmp_gt_u32_e32 vcc, 8, v7
	v_ffbh_u32_e32 v7, v3
	v_min_u32_e32 v22, 32, v7
	v_subrev_u32_e32 v7, 28, v22
	v_lshlrev_b64 v[7:8], v7, v[18:19]
	v_sub_u32_e32 v8, 29, v22
	v_and_b32_e32 v7, 7, v7
	v_cndmask_b32_e32 v8, v19, v8, vcc
	v_cndmask_b32_e32 v3, v3, v7, vcc
	v_lshlrev_b32_e32 v0, 16, v0
	v_lshlrev_b32_e32 v3, 20, v3
	v_and_b32_e32 v0, 0x80000000, v0
	v_lshl_add_u32 v7, v8, 23, v62
	v_or3_b32 v3, v0, v7, v3
.LBB6_8476:                             ;   in Loop: Header=BB6_6244 Depth=2
	s_or_b64 exec, exec, s[78:79]
.LBB6_8477:                             ;   in Loop: Header=BB6_6244 Depth=2
	s_or_b64 exec, exec, s[76:77]
.LBB6_8478:                             ;   in Loop: Header=BB6_6244 Depth=2
	s_or_b64 exec, exec, s[18:19]
	v_lshrrev_b16_e32 v18, 8, v21
	v_cmp_ne_u16_e32 vcc, 0, v18
	s_and_saveexec_b64 s[18:19], vcc
	s_cbranch_execz .LBB6_8484
; %bb.8479:                             ;   in Loop: Header=BB6_6244 Depth=2
	v_cmp_ne_u16_e32 vcc, s50, v18
	v_bfrev_b32_e32 v2, 1
	s_and_saveexec_b64 s[76:77], vcc
	s_cbranch_execz .LBB6_8483
; %bb.8480:                             ;   in Loop: Header=BB6_6244 Depth=2
	v_and_b32_e32 v0, 0x7f, v18
	v_cmp_ne_u32_e32 vcc, s39, v0
	v_mov_b32_e32 v2, 0x7f800001
	s_and_saveexec_b64 s[78:79], vcc
	s_cbranch_execz .LBB6_8482
; %bb.8481:                             ;   in Loop: Header=BB6_6244 Depth=2
	v_and_b32_e32 v2, 7, v18
	v_lshrrev_b32_e32 v19, 3, v0
	v_cmp_gt_u32_e32 vcc, 8, v0
	v_ffbh_u32_e32 v0, v2
	v_min_u32_e32 v0, 32, v0
	v_subrev_u32_e32 v7, 28, v0
	v_lshlrev_b64 v[7:8], v7, v[18:19]
	v_sub_u32_e32 v0, 29, v0
	v_and_b32_e32 v7, 7, v7
	v_cndmask_b32_e32 v0, v19, v0, vcc
	v_cndmask_b32_e32 v2, v2, v7, vcc
	v_lshlrev_b32_e32 v7, 16, v21
	v_lshlrev_b32_e32 v2, 20, v2
	v_and_b32_e32 v7, 0x80000000, v7
	v_lshl_add_u32 v0, v0, 23, v62
	v_or3_b32 v2, v7, v0, v2
.LBB6_8482:                             ;   in Loop: Header=BB6_6244 Depth=2
	s_or_b64 exec, exec, s[78:79]
.LBB6_8483:                             ;   in Loop: Header=BB6_6244 Depth=2
	s_or_b64 exec, exec, s[76:77]
.LBB6_8484:                             ;   in Loop: Header=BB6_6244 Depth=2
	s_or_b64 exec, exec, s[18:19]
	v_add_f32_e32 v2, v3, v2
	v_and_b32_e32 v7, 0x7f800000, v2
	v_mov_b32_e32 v8, v51
	v_cmp_ne_u64_e32 vcc, s[46:47], v[7:8]
                                        ; implicit-def: $vgpr42
	s_and_saveexec_b64 s[18:19], vcc
	s_xor_b64 s[76:77], exec, s[18:19]
	s_cbranch_execz .LBB6_8498
; %bb.8485:                             ;   in Loop: Header=BB6_6244 Depth=2
	v_and_b32_e32 v7, 0x7fffffff, v2
	v_mov_b32_e32 v8, v51
	v_cmp_gt_u64_e32 vcc, s[56:57], v[7:8]
	v_and_b32_sdwa v0, v2, s50 dst_sel:DWORD dst_unused:UNUSED_PAD src0_sel:BYTE_3 src1_sel:DWORD
                                        ; implicit-def: $vgpr42
	s_and_saveexec_b64 s[18:19], vcc
	s_xor_b64 s[78:79], exec, s[18:19]
	s_cbranch_execz .LBB6_8495
; %bb.8486:                             ;   in Loop: Header=BB6_6244 Depth=2
	v_mov_b32_e32 v42, 0
	v_cmp_ne_u32_e32 vcc, 0, v2
	s_and_saveexec_b64 s[88:89], vcc
	s_cbranch_execz .LBB6_8494
; %bb.8487:                             ;   in Loop: Header=BB6_6244 Depth=2
	v_and_b32_e32 v7, 0x7fffff, v2
	v_bfe_u32 v2, v2, 23, 8
	v_cmp_gt_u32_e64 s[18:19], s51, v2
	v_sub_u32_e32 v3, 0x79, v2
	v_cmp_eq_u32_e32 vcc, 0, v2
	v_cndmask_b32_e64 v3, 0, v3, s[18:19]
	v_mov_b32_e32 v18, 0x78
	v_cndmask_b32_e32 v3, v3, v18, vcc
	v_add_u32_e32 v18, 20, v3
	v_or_b32_e32 v8, 0x800000, v7
	v_lshlrev_b64 v[18:19], v18, -1
	v_add_u32_e32 v22, 19, v3
	v_cndmask_b32_e32 v7, v8, v7, vcc
	v_lshlrev_b64 v[22:23], v22, 1
	v_mov_b32_e32 v8, v51
	v_bfi_b32 v19, v19, 0, 0
	v_bfi_b32 v18, v18, 0, v7
	v_cmp_eq_u64_e64 s[18:19], v[18:19], v[22:23]
	v_lshrrev_b64 v[18:19], v3, v[7:8]
	v_mov_b32_e32 v23, v19
	v_mov_b32_e32 v22, v18
	s_and_saveexec_b64 s[90:91], s[18:19]
; %bb.8488:                             ;   in Loop: Header=BB6_6244 Depth=2
	v_bfe_u32 v7, v18, 20, 1
	v_add_co_u32_e64 v7, s[18:19], v18, v7
	v_add_co_u32_e64 v22, s[18:19], -1, v7
; %bb.8489:                             ;   in Loop: Header=BB6_6244 Depth=2
	s_or_b64 exec, exec, s[90:91]
	v_add_u32_e32 v2, 0xffffff81, v2
	v_mov_b32_e32 v7, 0xffffff82
	v_cndmask_b32_e32 v2, v2, v7, vcc
	v_lshrrev_b32_e32 v7, 23, v18
	v_add3_u32 v7, v3, v2, v7
	v_add_u32_e32 v3, 6, v7
	v_and_b32_e32 v2, 0xfffff, v22
	v_add_u32_e32 v18, v2, v18
	v_mov_b32_e32 v19, v51
	v_cmp_ne_u32_e32 vcc, 0, v3
                                        ; implicit-def: $vgpr2
	s_and_saveexec_b64 s[18:19], vcc
	s_xor_b64 s[18:19], exec, s[18:19]
; %bb.8490:                             ;   in Loop: Header=BB6_6244 Depth=2
	v_cmp_lt_u64_e32 vcc, s[58:59], v[18:19]
	v_add_u32_e32 v2, 7, v7
	v_cndmask_b32_e32 v2, v3, v2, vcc
	v_cndmask_b32_e64 v3, 0, 1, vcc
	v_lshrrev_b64 v[18:19], v3, v[18:19]
; %bb.8491:                             ;   in Loop: Header=BB6_6244 Depth=2
	s_andn2_saveexec_b64 s[18:19], s[18:19]
; %bb.8492:                             ;   in Loop: Header=BB6_6244 Depth=2
	v_bfe_u32 v2, v18, 23, 1
; %bb.8493:                             ;   in Loop: Header=BB6_6244 Depth=2
	s_or_b64 exec, exec, s[18:19]
	v_lshrrev_b64 v[7:8], 20, v[18:19]
	v_cmp_gt_i32_e32 vcc, 16, v2
	v_cndmask_b32_e32 v8, 0, v8, vcc
	v_cndmask_b32_e32 v7, 7, v7, vcc
	v_cmp_eq_u32_e32 vcc, 0, v2
	v_min_i32_e32 v2, 15, v2
	v_cmp_eq_u64_e64 s[18:19], 0, v[7:8]
	v_lshlrev_b32_e32 v2, 3, v2
	v_and_b32_e32 v2, 0xf8, v2
	v_and_or_b32 v2, v7, 7, v2
	s_and_b64 s[18:19], vcc, s[18:19]
	v_cndmask_b32_e64 v2, v2, 0, s[18:19]
	v_or_b32_e32 v42, v2, v0
.LBB6_8494:                             ;   in Loop: Header=BB6_6244 Depth=2
	s_or_b64 exec, exec, s[88:89]
                                        ; implicit-def: $vgpr0
.LBB6_8495:                             ;   in Loop: Header=BB6_6244 Depth=2
	s_andn2_saveexec_b64 s[18:19], s[78:79]
; %bb.8496:                             ;   in Loop: Header=BB6_6244 Depth=2
	v_or_b32_e32 v42, 0x7e, v0
; %bb.8497:                             ;   in Loop: Header=BB6_6244 Depth=2
	s_or_b64 exec, exec, s[18:19]
                                        ; implicit-def: $vgpr2
.LBB6_8498:                             ;   in Loop: Header=BB6_6244 Depth=2
	s_andn2_saveexec_b64 s[18:19], s[76:77]
; %bb.8499:                             ;   in Loop: Header=BB6_6244 Depth=2
	v_or_b32_sdwa v42, v2, s39 dst_sel:DWORD dst_unused:UNUSED_PAD src0_sel:BYTE_3 src1_sel:DWORD
; %bb.8500:                             ;   in Loop: Header=BB6_6244 Depth=2
	s_or_b64 exec, exec, s[18:19]
	v_lshrrev_b32_e32 v18, 16, v50
	v_cmp_ne_u16_sdwa s[76:77], v18, v51 src0_sel:BYTE_0 src1_sel:DWORD
	v_mov_b32_e32 v0, 0
	v_mov_b32_e32 v2, 0
	s_and_saveexec_b64 s[18:19], s[76:77]
	s_cbranch_execz .LBB6_8506
; %bb.8501:                             ;   in Loop: Header=BB6_6244 Depth=2
	v_cmp_ne_u16_sdwa s[78:79], v18, s50 src0_sel:BYTE_0 src1_sel:DWORD
	v_bfrev_b32_e32 v2, 1
	s_and_saveexec_b64 s[76:77], s[78:79]
	s_cbranch_execz .LBB6_8505
; %bb.8502:                             ;   in Loop: Header=BB6_6244 Depth=2
	v_bfe_u32 v3, v50, 16, 7
	v_cmp_ne_u32_e32 vcc, s39, v3
	v_mov_b32_e32 v2, 0x7f800001
	s_and_saveexec_b64 s[78:79], vcc
	s_cbranch_execz .LBB6_8504
; %bb.8503:                             ;   in Loop: Header=BB6_6244 Depth=2
	v_and_b32_e32 v7, 7, v18
	v_ffbh_u32_e32 v2, v7
	v_min_u32_e32 v19, 32, v2
	v_subrev_u32_e32 v2, 28, v19
	v_lshrrev_b32_e32 v8, 3, v3
	v_cmp_gt_u32_e32 vcc, 8, v3
	v_lshlrev_b64 v[2:3], v2, v[18:19]
	v_sub_u32_e32 v3, 29, v19
	v_and_b32_e32 v2, 7, v2
	v_cndmask_b32_e32 v3, v8, v3, vcc
	v_cndmask_b32_e32 v2, v7, v2, vcc
	v_lshlrev_b32_e32 v7, 24, v18
	v_lshlrev_b32_e32 v2, 20, v2
	v_and_b32_e32 v7, 0x80000000, v7
	v_lshl_add_u32 v3, v3, 23, v62
	v_or3_b32 v2, v7, v3, v2
.LBB6_8504:                             ;   in Loop: Header=BB6_6244 Depth=2
	s_or_b64 exec, exec, s[78:79]
.LBB6_8505:                             ;   in Loop: Header=BB6_6244 Depth=2
	s_or_b64 exec, exec, s[76:77]
.LBB6_8506:                             ;   in Loop: Header=BB6_6244 Depth=2
	s_or_b64 exec, exec, s[18:19]
	v_lshrrev_b32_e32 v18, 16, v21
	v_cmp_ne_u16_sdwa s[76:77], v18, v51 src0_sel:BYTE_0 src1_sel:DWORD
	s_and_saveexec_b64 s[18:19], s[76:77]
	s_cbranch_execz .LBB6_8512
; %bb.8507:                             ;   in Loop: Header=BB6_6244 Depth=2
	v_cmp_ne_u16_sdwa s[78:79], v18, s50 src0_sel:BYTE_0 src1_sel:DWORD
	v_bfrev_b32_e32 v0, 1
	s_and_saveexec_b64 s[76:77], s[78:79]
	s_cbranch_execz .LBB6_8511
; %bb.8508:                             ;   in Loop: Header=BB6_6244 Depth=2
	v_bfe_u32 v3, v21, 16, 7
	v_cmp_ne_u32_e32 vcc, s39, v3
	v_mov_b32_e32 v0, 0x7f800001
	s_and_saveexec_b64 s[78:79], vcc
	s_cbranch_execz .LBB6_8510
; %bb.8509:                             ;   in Loop: Header=BB6_6244 Depth=2
	v_and_b32_e32 v0, 7, v18
	v_lshrrev_b32_e32 v19, 3, v3
	v_cmp_gt_u32_e32 vcc, 8, v3
	v_ffbh_u32_e32 v3, v0
	v_min_u32_e32 v3, 32, v3
	v_subrev_u32_e32 v7, 28, v3
	v_lshlrev_b64 v[7:8], v7, v[18:19]
	v_sub_u32_e32 v3, 29, v3
	v_and_b32_e32 v7, 7, v7
	v_cndmask_b32_e32 v3, v19, v3, vcc
	v_cndmask_b32_e32 v0, v0, v7, vcc
	v_lshlrev_b32_e32 v7, 8, v21
	v_lshlrev_b32_e32 v0, 20, v0
	v_and_b32_e32 v7, 0x80000000, v7
	v_lshl_add_u32 v3, v3, 23, v62
	v_or3_b32 v0, v7, v3, v0
.LBB6_8510:                             ;   in Loop: Header=BB6_6244 Depth=2
	s_or_b64 exec, exec, s[78:79]
.LBB6_8511:                             ;   in Loop: Header=BB6_6244 Depth=2
	s_or_b64 exec, exec, s[76:77]
.LBB6_8512:                             ;   in Loop: Header=BB6_6244 Depth=2
	s_or_b64 exec, exec, s[18:19]
	v_add_f32_e32 v2, v2, v0
	v_and_b32_e32 v7, 0x7f800000, v2
	v_mov_b32_e32 v8, v51
	v_cmp_ne_u64_e32 vcc, s[46:47], v[7:8]
                                        ; implicit-def: $vgpr22
	s_and_saveexec_b64 s[18:19], vcc
	s_xor_b64 s[76:77], exec, s[18:19]
	s_cbranch_execz .LBB6_8526
; %bb.8513:                             ;   in Loop: Header=BB6_6244 Depth=2
	v_and_b32_e32 v7, 0x7fffffff, v2
	v_mov_b32_e32 v8, v51
	v_cmp_gt_u64_e32 vcc, s[56:57], v[7:8]
	v_and_b32_sdwa v0, v2, s50 dst_sel:DWORD dst_unused:UNUSED_PAD src0_sel:BYTE_3 src1_sel:DWORD
                                        ; implicit-def: $vgpr22
	s_and_saveexec_b64 s[18:19], vcc
	s_xor_b64 s[78:79], exec, s[18:19]
	s_cbranch_execz .LBB6_8523
; %bb.8514:                             ;   in Loop: Header=BB6_6244 Depth=2
	v_mov_b32_e32 v22, 0
	v_cmp_ne_u32_e32 vcc, 0, v2
	s_and_saveexec_b64 s[88:89], vcc
	s_cbranch_execz .LBB6_8522
; %bb.8515:                             ;   in Loop: Header=BB6_6244 Depth=2
	v_and_b32_e32 v7, 0x7fffff, v2
	v_bfe_u32 v2, v2, 23, 8
	v_cmp_gt_u32_e64 s[18:19], s51, v2
	v_sub_u32_e32 v3, 0x79, v2
	v_cmp_eq_u32_e32 vcc, 0, v2
	v_cndmask_b32_e64 v3, 0, v3, s[18:19]
	v_mov_b32_e32 v18, 0x78
	v_cndmask_b32_e32 v3, v3, v18, vcc
	v_add_u32_e32 v18, 20, v3
	v_or_b32_e32 v8, 0x800000, v7
	v_lshlrev_b64 v[18:19], v18, -1
	v_add_u32_e32 v22, 19, v3
	v_cndmask_b32_e32 v7, v8, v7, vcc
	v_lshlrev_b64 v[22:23], v22, 1
	v_mov_b32_e32 v8, v51
	v_bfi_b32 v19, v19, 0, 0
	v_bfi_b32 v18, v18, 0, v7
	v_cmp_eq_u64_e64 s[18:19], v[18:19], v[22:23]
	v_lshrrev_b64 v[18:19], v3, v[7:8]
	v_mov_b32_e32 v23, v19
	v_mov_b32_e32 v22, v18
	s_and_saveexec_b64 s[90:91], s[18:19]
; %bb.8516:                             ;   in Loop: Header=BB6_6244 Depth=2
	v_bfe_u32 v7, v18, 20, 1
	v_add_co_u32_e64 v7, s[18:19], v18, v7
	v_add_co_u32_e64 v22, s[18:19], -1, v7
; %bb.8517:                             ;   in Loop: Header=BB6_6244 Depth=2
	s_or_b64 exec, exec, s[90:91]
	v_add_u32_e32 v2, 0xffffff81, v2
	v_mov_b32_e32 v7, 0xffffff82
	v_cndmask_b32_e32 v2, v2, v7, vcc
	v_lshrrev_b32_e32 v7, 23, v18
	v_add3_u32 v7, v3, v2, v7
	v_add_u32_e32 v3, 6, v7
	v_and_b32_e32 v2, 0xfffff, v22
	v_add_u32_e32 v18, v2, v18
	v_mov_b32_e32 v19, v51
	v_cmp_ne_u32_e32 vcc, 0, v3
                                        ; implicit-def: $vgpr2
	s_and_saveexec_b64 s[18:19], vcc
	s_xor_b64 s[18:19], exec, s[18:19]
; %bb.8518:                             ;   in Loop: Header=BB6_6244 Depth=2
	v_cmp_lt_u64_e32 vcc, s[58:59], v[18:19]
	v_add_u32_e32 v2, 7, v7
	v_cndmask_b32_e32 v2, v3, v2, vcc
	v_cndmask_b32_e64 v3, 0, 1, vcc
	v_lshrrev_b64 v[18:19], v3, v[18:19]
; %bb.8519:                             ;   in Loop: Header=BB6_6244 Depth=2
	s_andn2_saveexec_b64 s[18:19], s[18:19]
; %bb.8520:                             ;   in Loop: Header=BB6_6244 Depth=2
	v_bfe_u32 v2, v18, 23, 1
; %bb.8521:                             ;   in Loop: Header=BB6_6244 Depth=2
	s_or_b64 exec, exec, s[18:19]
	v_lshrrev_b64 v[7:8], 20, v[18:19]
	v_cmp_gt_i32_e32 vcc, 16, v2
	v_cndmask_b32_e32 v8, 0, v8, vcc
	v_cndmask_b32_e32 v7, 7, v7, vcc
	v_cmp_eq_u32_e32 vcc, 0, v2
	v_min_i32_e32 v2, 15, v2
	v_cmp_eq_u64_e64 s[18:19], 0, v[7:8]
	v_lshlrev_b32_e32 v2, 3, v2
	v_and_b32_e32 v2, 0xf8, v2
	v_and_or_b32 v2, v7, 7, v2
	s_and_b64 s[18:19], vcc, s[18:19]
	v_cndmask_b32_e64 v2, v2, 0, s[18:19]
	v_or_b32_e32 v22, v2, v0
.LBB6_8522:                             ;   in Loop: Header=BB6_6244 Depth=2
	s_or_b64 exec, exec, s[88:89]
                                        ; implicit-def: $vgpr0
.LBB6_8523:                             ;   in Loop: Header=BB6_6244 Depth=2
	s_andn2_saveexec_b64 s[18:19], s[78:79]
; %bb.8524:                             ;   in Loop: Header=BB6_6244 Depth=2
	v_or_b32_e32 v22, 0x7e, v0
; %bb.8525:                             ;   in Loop: Header=BB6_6244 Depth=2
	s_or_b64 exec, exec, s[18:19]
                                        ; implicit-def: $vgpr2
.LBB6_8526:                             ;   in Loop: Header=BB6_6244 Depth=2
	s_andn2_saveexec_b64 s[18:19], s[76:77]
; %bb.8527:                             ;   in Loop: Header=BB6_6244 Depth=2
	v_or_b32_sdwa v22, v2, s39 dst_sel:DWORD dst_unused:UNUSED_PAD src0_sel:BYTE_3 src1_sel:DWORD
; %bb.8528:                             ;   in Loop: Header=BB6_6244 Depth=2
	s_or_b64 exec, exec, s[18:19]
	v_cmp_lt_u32_e32 vcc, s61, v50
	v_mov_b32_e32 v0, 0
	v_mov_b32_e32 v2, 0
	s_and_saveexec_b64 s[18:19], vcc
	s_cbranch_execz .LBB6_8534
; %bb.8529:                             ;   in Loop: Header=BB6_6244 Depth=2
	v_lshrrev_b32_e32 v18, 24, v50
	v_cmp_ne_u32_sdwa s[78:79], v50, s50 src0_sel:BYTE_3 src1_sel:DWORD
	v_bfrev_b32_e32 v2, 1
	s_and_saveexec_b64 s[76:77], s[78:79]
	s_cbranch_execz .LBB6_8533
; %bb.8530:                             ;   in Loop: Header=BB6_6244 Depth=2
	v_bfe_u32 v3, v50, 24, 7
	v_cmp_ne_u32_e32 vcc, s39, v3
	v_mov_b32_e32 v2, 0x7f800001
	s_and_saveexec_b64 s[78:79], vcc
	s_cbranch_execz .LBB6_8532
; %bb.8531:                             ;   in Loop: Header=BB6_6244 Depth=2
	v_and_b32_e32 v7, 7, v18
	v_ffbh_u32_e32 v2, v7
	v_min_u32_e32 v19, 32, v2
	v_subrev_u32_e32 v2, 28, v19
	v_lshrrev_b32_e32 v8, 3, v3
	v_cmp_gt_u32_e32 vcc, 8, v3
	v_lshlrev_b64 v[2:3], v2, v[18:19]
	v_sub_u32_e32 v3, 29, v19
	v_and_b32_e32 v2, 7, v2
	v_cndmask_b32_e32 v2, v7, v2, vcc
	v_mov_b32_e32 v7, 24
	v_cndmask_b32_e32 v3, v8, v3, vcc
	v_lshlrev_b32_sdwa v7, v7, v50 dst_sel:DWORD dst_unused:UNUSED_PAD src0_sel:DWORD src1_sel:BYTE_3
	v_lshlrev_b32_e32 v2, 20, v2
	v_and_b32_e32 v7, 0x80000000, v7
	v_lshl_add_u32 v3, v3, 23, v62
	v_or3_b32 v2, v7, v3, v2
.LBB6_8532:                             ;   in Loop: Header=BB6_6244 Depth=2
	s_or_b64 exec, exec, s[78:79]
.LBB6_8533:                             ;   in Loop: Header=BB6_6244 Depth=2
	s_or_b64 exec, exec, s[76:77]
.LBB6_8534:                             ;   in Loop: Header=BB6_6244 Depth=2
	s_or_b64 exec, exec, s[18:19]
	v_cmp_lt_u64_e32 vcc, s[60:61], v[20:21]
	s_and_saveexec_b64 s[18:19], vcc
	s_cbranch_execz .LBB6_8540
; %bb.8535:                             ;   in Loop: Header=BB6_6244 Depth=2
	v_lshrrev_b32_e32 v18, 24, v21
	v_cmp_ne_u32_e32 vcc, s50, v18
	v_bfrev_b32_e32 v0, 1
	s_and_saveexec_b64 s[76:77], vcc
	s_cbranch_execz .LBB6_8539
; %bb.8536:                             ;   in Loop: Header=BB6_6244 Depth=2
	v_bfe_u32 v3, v21, 24, 7
	v_cmp_ne_u32_e32 vcc, s39, v3
	v_mov_b32_e32 v0, 0x7f800001
	s_and_saveexec_b64 s[78:79], vcc
	s_cbranch_execz .LBB6_8538
; %bb.8537:                             ;   in Loop: Header=BB6_6244 Depth=2
	v_and_b32_e32 v0, 7, v18
	v_lshrrev_b32_e32 v19, 3, v3
	v_cmp_gt_u32_e32 vcc, 8, v3
	v_ffbh_u32_e32 v3, v0
	v_min_u32_e32 v3, 32, v3
	v_subrev_u32_e32 v7, 28, v3
	v_lshlrev_b64 v[7:8], v7, v[18:19]
	v_sub_u32_e32 v3, 29, v3
	v_and_b32_e32 v7, 7, v7
	v_cndmask_b32_e32 v3, v19, v3, vcc
	v_cndmask_b32_e32 v0, v0, v7, vcc
	v_lshlrev_b32_e32 v7, 24, v18
	v_lshlrev_b32_e32 v0, 20, v0
	v_and_b32_e32 v7, 0x80000000, v7
	v_lshl_add_u32 v3, v3, 23, v62
	v_or3_b32 v0, v7, v3, v0
.LBB6_8538:                             ;   in Loop: Header=BB6_6244 Depth=2
	s_or_b64 exec, exec, s[78:79]
.LBB6_8539:                             ;   in Loop: Header=BB6_6244 Depth=2
	s_or_b64 exec, exec, s[76:77]
.LBB6_8540:                             ;   in Loop: Header=BB6_6244 Depth=2
	s_or_b64 exec, exec, s[18:19]
	v_add_f32_e32 v2, v2, v0
	v_and_b32_e32 v50, 0x7f800000, v2
	v_cmp_ne_u64_e32 vcc, s[46:47], v[50:51]
                                        ; implicit-def: $vgpr21
	s_and_saveexec_b64 s[18:19], vcc
	s_xor_b64 s[76:77], exec, s[18:19]
	s_cbranch_execz .LBB6_8554
; %bb.8541:                             ;   in Loop: Header=BB6_6244 Depth=2
	v_and_b32_e32 v50, 0x7fffffff, v2
	v_cmp_gt_u64_e32 vcc, s[56:57], v[50:51]
	v_and_b32_sdwa v0, v2, s50 dst_sel:DWORD dst_unused:UNUSED_PAD src0_sel:BYTE_3 src1_sel:DWORD
                                        ; implicit-def: $vgpr21
	s_and_saveexec_b64 s[18:19], vcc
	s_xor_b64 s[78:79], exec, s[18:19]
	s_cbranch_execz .LBB6_8551
; %bb.8542:                             ;   in Loop: Header=BB6_6244 Depth=2
	v_mov_b32_e32 v21, 0
	v_cmp_ne_u32_e32 vcc, 0, v2
	s_and_saveexec_b64 s[88:89], vcc
	s_cbranch_execz .LBB6_8550
; %bb.8543:                             ;   in Loop: Header=BB6_6244 Depth=2
	v_and_b32_e32 v7, 0x7fffff, v2
	v_bfe_u32 v2, v2, 23, 8
	v_cmp_gt_u32_e64 s[18:19], s51, v2
	v_sub_u32_e32 v3, 0x79, v2
	v_cmp_eq_u32_e32 vcc, 0, v2
	v_cndmask_b32_e64 v3, 0, v3, s[18:19]
	v_mov_b32_e32 v18, 0x78
	v_or_b32_e32 v8, 0x800000, v7
	v_cndmask_b32_e32 v3, v3, v18, vcc
	v_cndmask_b32_e32 v50, v8, v7, vcc
	v_add_u32_e32 v7, 20, v3
	v_lshlrev_b64 v[7:8], v7, -1
	v_add_u32_e32 v18, 19, v3
	v_lshlrev_b64 v[18:19], v18, 1
	v_bfi_b32 v8, v8, 0, 0
	v_bfi_b32 v7, v7, 0, v50
	v_cmp_eq_u64_e64 s[18:19], v[7:8], v[18:19]
	v_lshrrev_b64 v[18:19], v3, v[50:51]
	v_mov_b32_e32 v20, v19
	v_mov_b32_e32 v19, v18
	s_and_saveexec_b64 s[90:91], s[18:19]
; %bb.8544:                             ;   in Loop: Header=BB6_6244 Depth=2
	v_bfe_u32 v7, v18, 20, 1
	v_add_co_u32_e64 v7, s[18:19], v18, v7
	v_add_co_u32_e64 v19, s[18:19], -1, v7
; %bb.8545:                             ;   in Loop: Header=BB6_6244 Depth=2
	s_or_b64 exec, exec, s[90:91]
	v_add_u32_e32 v2, 0xffffff81, v2
	v_mov_b32_e32 v7, 0xffffff82
	v_cndmask_b32_e32 v2, v2, v7, vcc
	v_lshrrev_b32_e32 v7, 23, v18
	v_add3_u32 v7, v3, v2, v7
	v_add_u32_e32 v3, 6, v7
	v_and_b32_e32 v2, 0xfffff, v19
	v_add_u32_e32 v50, v2, v18
	v_cmp_ne_u32_e32 vcc, 0, v3
                                        ; implicit-def: $vgpr18_vgpr19
                                        ; implicit-def: $vgpr2
	s_and_saveexec_b64 s[18:19], vcc
	s_xor_b64 s[18:19], exec, s[18:19]
; %bb.8546:                             ;   in Loop: Header=BB6_6244 Depth=2
	v_cmp_lt_u64_e32 vcc, s[58:59], v[50:51]
	v_add_u32_e32 v2, 7, v7
	v_cndmask_b32_e32 v2, v3, v2, vcc
	v_cndmask_b32_e64 v3, 0, 1, vcc
	v_lshrrev_b64 v[18:19], v3, v[50:51]
; %bb.8547:                             ;   in Loop: Header=BB6_6244 Depth=2
	s_andn2_saveexec_b64 s[18:19], s[18:19]
; %bb.8548:                             ;   in Loop: Header=BB6_6244 Depth=2
	v_mov_b32_e32 v18, v50
	v_bfe_u32 v2, v50, 23, 1
	v_mov_b32_e32 v19, v51
; %bb.8549:                             ;   in Loop: Header=BB6_6244 Depth=2
	s_or_b64 exec, exec, s[18:19]
	v_lshrrev_b64 v[7:8], 20, v[18:19]
	v_cmp_gt_i32_e32 vcc, 16, v2
	v_cndmask_b32_e32 v8, 0, v8, vcc
	v_cndmask_b32_e32 v7, 7, v7, vcc
	v_cmp_eq_u32_e32 vcc, 0, v2
	v_min_i32_e32 v2, 15, v2
	v_cmp_eq_u64_e64 s[18:19], 0, v[7:8]
	v_lshlrev_b32_e32 v2, 3, v2
	v_and_b32_e32 v2, 0xf8, v2
	v_and_or_b32 v2, v7, 7, v2
	s_and_b64 s[18:19], vcc, s[18:19]
	v_cndmask_b32_e64 v2, v2, 0, s[18:19]
	v_or_b32_e32 v21, v2, v0
.LBB6_8550:                             ;   in Loop: Header=BB6_6244 Depth=2
	s_or_b64 exec, exec, s[88:89]
                                        ; implicit-def: $vgpr0
.LBB6_8551:                             ;   in Loop: Header=BB6_6244 Depth=2
	s_andn2_saveexec_b64 s[18:19], s[78:79]
; %bb.8552:                             ;   in Loop: Header=BB6_6244 Depth=2
	v_or_b32_e32 v21, 0x7e, v0
; %bb.8553:                             ;   in Loop: Header=BB6_6244 Depth=2
	s_or_b64 exec, exec, s[18:19]
                                        ; implicit-def: $vgpr2
.LBB6_8554:                             ;   in Loop: Header=BB6_6244 Depth=2
	s_andn2_saveexec_b64 s[18:19], s[76:77]
; %bb.8555:                             ;   in Loop: Header=BB6_6244 Depth=2
	v_or_b32_sdwa v21, v2, s39 dst_sel:DWORD dst_unused:UNUSED_PAD src0_sel:BYTE_3 src1_sel:DWORD
; %bb.8556:                             ;   in Loop: Header=BB6_6244 Depth=2
	s_or_b64 exec, exec, s[18:19]
	buffer_load_dword v0, off, s[0:3], s33 offset:208 ; 4-byte Folded Reload
	buffer_load_dword v2, off, s[0:3], s33 offset:228 ; 4-byte Folded Reload
	;; [unrolled: 1-line block ×3, first 2 shown]
	v_cmp_ne_u32_e32 vcc, 0, v5
	s_waitcnt vmcnt(2)
	v_lshl_or_b32 v0, v0, 8, v5
	s_waitcnt vmcnt(1)
	v_lshlrev_b32_e32 v2, 16, v2
	s_waitcnt vmcnt(0)
	v_lshlrev_b32_e32 v3, 24, v3
	v_or3_b32 v50, v2, v3, v0
	v_mov_b32_e32 v2, 0
	v_mov_b32_e32 v3, 0
	s_and_saveexec_b64 s[18:19], vcc
	s_cbranch_execz .LBB6_8562
; %bb.8557:                             ;   in Loop: Header=BB6_6244 Depth=2
	v_cmp_ne_u32_e32 vcc, s50, v5
	v_bfrev_b32_e32 v3, 1
	s_and_saveexec_b64 s[76:77], vcc
	s_cbranch_execz .LBB6_8561
; %bb.8558:                             ;   in Loop: Header=BB6_6244 Depth=2
	v_and_b32_e32 v7, 0x7f, v5
	v_cmp_ne_u32_e32 vcc, s39, v7
	v_mov_b32_e32 v3, 0x7f800001
	s_and_saveexec_b64 s[78:79], vcc
	s_cbranch_execz .LBB6_8560
; %bb.8559:                             ;   in Loop: Header=BB6_6244 Depth=2
	v_and_b32_e32 v3, 7, v5
	v_ffbh_u32_e32 v3, v3
	v_min_u32_e32 v3, 32, v3
	v_lshrrev_b32_e32 v5, 3, v7
	v_cmp_gt_u32_e32 vcc, 8, v7
	v_subrev_u32_e32 v7, 28, v3
	v_sub_u32_e32 v3, 29, v3
	v_cndmask_b32_e32 v3, v5, v3, vcc
	v_cndmask_b32_e32 v5, 0, v7, vcc
	v_lshlrev_b64 v[7:8], v5, v[50:51]
	v_lshl_add_u32 v3, v3, 23, v62
	v_lshlrev_b32_e32 v5, 20, v7
	v_lshlrev_b32_e32 v7, 24, v50
	v_and_b32_e32 v5, 0x700000, v5
	v_and_b32_e32 v7, 0x80000000, v7
	v_or3_b32 v3, v7, v3, v5
.LBB6_8560:                             ;   in Loop: Header=BB6_6244 Depth=2
	s_or_b64 exec, exec, s[78:79]
.LBB6_8561:                             ;   in Loop: Header=BB6_6244 Depth=2
	s_or_b64 exec, exec, s[76:77]
.LBB6_8562:                             ;   in Loop: Header=BB6_6244 Depth=2
	s_or_b64 exec, exec, s[18:19]
	v_cmp_ne_u16_sdwa s[76:77], v14, v51 src0_sel:BYTE_0 src1_sel:DWORD
	s_and_saveexec_b64 s[18:19], s[76:77]
	s_cbranch_execz .LBB6_8568
; %bb.8563:                             ;   in Loop: Header=BB6_6244 Depth=2
	v_cmp_ne_u16_sdwa s[78:79], v14, s50 src0_sel:BYTE_0 src1_sel:DWORD
	v_bfrev_b32_e32 v2, 1
	s_and_saveexec_b64 s[76:77], s[78:79]
	s_cbranch_execz .LBB6_8567
; %bb.8564:                             ;   in Loop: Header=BB6_6244 Depth=2
	v_and_b32_e32 v5, 0x7f, v14
	v_cmp_ne_u32_e32 vcc, s39, v5
	v_mov_b32_e32 v2, 0x7f800001
	s_and_saveexec_b64 s[78:79], vcc
	s_cbranch_execz .LBB6_8566
; %bb.8565:                             ;   in Loop: Header=BB6_6244 Depth=2
	v_and_b32_e32 v2, 7, v14
	v_ffbh_u32_e32 v2, v2
	v_min_u32_e32 v2, 32, v2
	v_lshrrev_b32_e32 v7, 3, v5
	v_cmp_gt_u32_e32 vcc, 8, v5
	v_subrev_u32_e32 v5, 28, v2
	v_sub_u32_e32 v2, 29, v2
	v_cndmask_b32_e32 v5, 0, v5, vcc
	v_cndmask_b32_e32 v2, v7, v2, vcc
	v_lshlrev_b64 v[7:8], v5, v[14:15]
	v_lshl_add_u32 v2, v2, 23, v62
	v_lshlrev_b32_e32 v5, 20, v7
	v_lshlrev_b32_e32 v7, 24, v14
	v_and_b32_e32 v5, 0x700000, v5
	v_and_b32_e32 v7, 0x80000000, v7
	v_or3_b32 v2, v7, v2, v5
.LBB6_8566:                             ;   in Loop: Header=BB6_6244 Depth=2
	s_or_b64 exec, exec, s[78:79]
.LBB6_8567:                             ;   in Loop: Header=BB6_6244 Depth=2
	s_or_b64 exec, exec, s[76:77]
.LBB6_8568:                             ;   in Loop: Header=BB6_6244 Depth=2
	s_or_b64 exec, exec, s[18:19]
	v_add_f32_e32 v3, v3, v2
	v_and_b32_e32 v7, 0x7f800000, v3
	v_mov_b32_e32 v8, v51
	v_cmp_ne_u64_e32 vcc, s[46:47], v[7:8]
                                        ; implicit-def: $vgpr5
	s_and_saveexec_b64 s[18:19], vcc
	s_xor_b64 s[76:77], exec, s[18:19]
	s_cbranch_execz .LBB6_8582
; %bb.8569:                             ;   in Loop: Header=BB6_6244 Depth=2
	v_and_b32_e32 v7, 0x7fffffff, v3
	v_mov_b32_e32 v8, v51
	v_cmp_gt_u64_e32 vcc, s[56:57], v[7:8]
	v_and_b32_sdwa v2, v3, s50 dst_sel:DWORD dst_unused:UNUSED_PAD src0_sel:BYTE_3 src1_sel:DWORD
                                        ; implicit-def: $vgpr5
	s_and_saveexec_b64 s[18:19], vcc
	s_xor_b64 s[78:79], exec, s[18:19]
	s_cbranch_execz .LBB6_8579
; %bb.8570:                             ;   in Loop: Header=BB6_6244 Depth=2
	v_mov_b32_e32 v5, 0
	v_cmp_ne_u32_e32 vcc, 0, v3
	s_and_saveexec_b64 s[88:89], vcc
	s_cbranch_execz .LBB6_8578
; %bb.8571:                             ;   in Loop: Header=BB6_6244 Depth=2
	v_and_b32_e32 v7, 0x7fffff, v3
	v_bfe_u32 v3, v3, 23, 8
	v_cmp_gt_u32_e64 s[18:19], s51, v3
	v_sub_u32_e32 v5, 0x79, v3
	v_cmp_eq_u32_e32 vcc, 0, v3
	v_cndmask_b32_e64 v5, 0, v5, s[18:19]
	v_mov_b32_e32 v18, 0x78
	v_cndmask_b32_e32 v5, v5, v18, vcc
	v_add_u32_e32 v18, 20, v5
	v_or_b32_e32 v8, 0x800000, v7
	v_lshlrev_b64 v[18:19], v18, -1
	v_add_u32_e32 v20, 19, v5
	v_cndmask_b32_e32 v7, v8, v7, vcc
	v_lshlrev_b64 v[28:29], v20, 1
	v_mov_b32_e32 v8, v51
	v_bfi_b32 v19, v19, 0, 0
	v_bfi_b32 v18, v18, 0, v7
	v_cmp_eq_u64_e64 s[18:19], v[18:19], v[28:29]
	v_lshrrev_b64 v[18:19], v5, v[7:8]
	v_mov_b32_e32 v20, v19
	v_mov_b32_e32 v19, v18
	s_and_saveexec_b64 s[90:91], s[18:19]
; %bb.8572:                             ;   in Loop: Header=BB6_6244 Depth=2
	v_bfe_u32 v7, v18, 20, 1
	v_add_co_u32_e64 v7, s[18:19], v18, v7
	v_add_co_u32_e64 v19, s[18:19], -1, v7
; %bb.8573:                             ;   in Loop: Header=BB6_6244 Depth=2
	s_or_b64 exec, exec, s[90:91]
	v_add_u32_e32 v3, 0xffffff81, v3
	v_mov_b32_e32 v7, 0xffffff82
	v_cndmask_b32_e32 v3, v3, v7, vcc
	v_lshrrev_b32_e32 v7, 23, v18
	v_add3_u32 v7, v5, v3, v7
	v_add_u32_e32 v5, 6, v7
	v_and_b32_e32 v3, 0xfffff, v19
	v_add_u32_e32 v18, v3, v18
	v_mov_b32_e32 v19, v51
	v_cmp_ne_u32_e32 vcc, 0, v5
                                        ; implicit-def: $vgpr3
	s_and_saveexec_b64 s[18:19], vcc
	s_xor_b64 s[18:19], exec, s[18:19]
; %bb.8574:                             ;   in Loop: Header=BB6_6244 Depth=2
	v_cmp_lt_u64_e32 vcc, s[58:59], v[18:19]
	v_add_u32_e32 v3, 7, v7
	v_cndmask_b32_e32 v3, v5, v3, vcc
	v_cndmask_b32_e64 v5, 0, 1, vcc
	v_lshrrev_b64 v[18:19], v5, v[18:19]
; %bb.8575:                             ;   in Loop: Header=BB6_6244 Depth=2
	s_andn2_saveexec_b64 s[18:19], s[18:19]
; %bb.8576:                             ;   in Loop: Header=BB6_6244 Depth=2
	v_bfe_u32 v3, v18, 23, 1
; %bb.8577:                             ;   in Loop: Header=BB6_6244 Depth=2
	s_or_b64 exec, exec, s[18:19]
	v_lshrrev_b64 v[7:8], 20, v[18:19]
	v_cmp_gt_i32_e32 vcc, 16, v3
	v_cndmask_b32_e32 v8, 0, v8, vcc
	v_cndmask_b32_e32 v7, 7, v7, vcc
	v_cmp_eq_u32_e32 vcc, 0, v3
	v_min_i32_e32 v3, 15, v3
	v_cmp_eq_u64_e64 s[18:19], 0, v[7:8]
	v_lshlrev_b32_e32 v3, 3, v3
	v_and_b32_e32 v3, 0xf8, v3
	v_and_or_b32 v3, v7, 7, v3
	s_and_b64 s[18:19], vcc, s[18:19]
	v_cndmask_b32_e64 v3, v3, 0, s[18:19]
	v_or_b32_e32 v5, v3, v2
.LBB6_8578:                             ;   in Loop: Header=BB6_6244 Depth=2
	s_or_b64 exec, exec, s[88:89]
                                        ; implicit-def: $vgpr2
.LBB6_8579:                             ;   in Loop: Header=BB6_6244 Depth=2
	s_andn2_saveexec_b64 s[18:19], s[78:79]
; %bb.8580:                             ;   in Loop: Header=BB6_6244 Depth=2
	v_or_b32_e32 v5, 0x7e, v2
; %bb.8581:                             ;   in Loop: Header=BB6_6244 Depth=2
	s_or_b64 exec, exec, s[18:19]
                                        ; implicit-def: $vgpr3
.LBB6_8582:                             ;   in Loop: Header=BB6_6244 Depth=2
	s_andn2_saveexec_b64 s[18:19], s[76:77]
; %bb.8583:                             ;   in Loop: Header=BB6_6244 Depth=2
	v_or_b32_sdwa v5, v3, s39 dst_sel:DWORD dst_unused:UNUSED_PAD src0_sel:BYTE_3 src1_sel:DWORD
; %bb.8584:                             ;   in Loop: Header=BB6_6244 Depth=2
	s_or_b64 exec, exec, s[18:19]
	v_lshrrev_b16_e32 v18, 8, v0
	v_cmp_ne_u16_e32 vcc, 0, v18
	v_mov_b32_e32 v2, 0
	v_mov_b32_e32 v3, 0
	s_and_saveexec_b64 s[18:19], vcc
	s_cbranch_execz .LBB6_8590
; %bb.8585:                             ;   in Loop: Header=BB6_6244 Depth=2
	v_cmp_ne_u16_e32 vcc, s50, v18
	v_bfrev_b32_e32 v3, 1
	s_and_saveexec_b64 s[76:77], vcc
	s_cbranch_execz .LBB6_8589
; %bb.8586:                             ;   in Loop: Header=BB6_6244 Depth=2
	v_and_b32_e32 v7, 0x7f, v18
	v_cmp_ne_u32_e32 vcc, s39, v7
	v_mov_b32_e32 v3, 0x7f800001
	s_and_saveexec_b64 s[78:79], vcc
	s_cbranch_execz .LBB6_8588
; %bb.8587:                             ;   in Loop: Header=BB6_6244 Depth=2
	v_and_b32_e32 v3, 7, v18
	v_lshrrev_b32_e32 v19, 3, v7
	v_cmp_gt_u32_e32 vcc, 8, v7
	v_ffbh_u32_e32 v7, v3
	v_min_u32_e32 v20, 32, v7
	v_subrev_u32_e32 v7, 28, v20
	v_lshlrev_b64 v[7:8], v7, v[18:19]
	v_sub_u32_e32 v8, 29, v20
	v_and_b32_e32 v7, 7, v7
	v_cndmask_b32_e32 v8, v19, v8, vcc
	v_cndmask_b32_e32 v3, v3, v7, vcc
	v_lshlrev_b32_e32 v0, 16, v0
	v_lshlrev_b32_e32 v3, 20, v3
	v_and_b32_e32 v0, 0x80000000, v0
	v_lshl_add_u32 v7, v8, 23, v62
	v_or3_b32 v3, v0, v7, v3
.LBB6_8588:                             ;   in Loop: Header=BB6_6244 Depth=2
	s_or_b64 exec, exec, s[78:79]
.LBB6_8589:                             ;   in Loop: Header=BB6_6244 Depth=2
	s_or_b64 exec, exec, s[76:77]
.LBB6_8590:                             ;   in Loop: Header=BB6_6244 Depth=2
	s_or_b64 exec, exec, s[18:19]
	v_lshrrev_b16_e32 v18, 8, v14
	v_cmp_ne_u16_e32 vcc, 0, v18
	s_and_saveexec_b64 s[18:19], vcc
	s_cbranch_execz .LBB6_8596
; %bb.8591:                             ;   in Loop: Header=BB6_6244 Depth=2
	v_cmp_ne_u16_e32 vcc, s50, v18
	v_bfrev_b32_e32 v2, 1
	s_and_saveexec_b64 s[76:77], vcc
	s_cbranch_execz .LBB6_8595
; %bb.8592:                             ;   in Loop: Header=BB6_6244 Depth=2
	v_and_b32_e32 v0, 0x7f, v18
	v_cmp_ne_u32_e32 vcc, s39, v0
	v_mov_b32_e32 v2, 0x7f800001
	s_and_saveexec_b64 s[78:79], vcc
	s_cbranch_execz .LBB6_8594
; %bb.8593:                             ;   in Loop: Header=BB6_6244 Depth=2
	v_and_b32_e32 v2, 7, v18
	v_lshrrev_b32_e32 v19, 3, v0
	v_cmp_gt_u32_e32 vcc, 8, v0
	v_ffbh_u32_e32 v0, v2
	v_min_u32_e32 v0, 32, v0
	v_subrev_u32_e32 v7, 28, v0
	v_lshlrev_b64 v[7:8], v7, v[18:19]
	v_sub_u32_e32 v0, 29, v0
	v_and_b32_e32 v7, 7, v7
	v_cndmask_b32_e32 v0, v19, v0, vcc
	v_cndmask_b32_e32 v2, v2, v7, vcc
	v_lshlrev_b32_e32 v7, 16, v14
	v_lshlrev_b32_e32 v2, 20, v2
	v_and_b32_e32 v7, 0x80000000, v7
	v_lshl_add_u32 v0, v0, 23, v62
	v_or3_b32 v2, v7, v0, v2
.LBB6_8594:                             ;   in Loop: Header=BB6_6244 Depth=2
	s_or_b64 exec, exec, s[78:79]
.LBB6_8595:                             ;   in Loop: Header=BB6_6244 Depth=2
	s_or_b64 exec, exec, s[76:77]
.LBB6_8596:                             ;   in Loop: Header=BB6_6244 Depth=2
	s_or_b64 exec, exec, s[18:19]
	v_add_f32_e32 v2, v3, v2
	v_and_b32_e32 v7, 0x7f800000, v2
	v_mov_b32_e32 v8, v51
	v_cmp_ne_u64_e32 vcc, s[46:47], v[7:8]
                                        ; implicit-def: $vgpr23
	s_and_saveexec_b64 s[18:19], vcc
	s_xor_b64 s[76:77], exec, s[18:19]
	s_cbranch_execz .LBB6_8610
; %bb.8597:                             ;   in Loop: Header=BB6_6244 Depth=2
	v_and_b32_e32 v7, 0x7fffffff, v2
	v_mov_b32_e32 v8, v51
	v_cmp_gt_u64_e32 vcc, s[56:57], v[7:8]
	v_and_b32_sdwa v0, v2, s50 dst_sel:DWORD dst_unused:UNUSED_PAD src0_sel:BYTE_3 src1_sel:DWORD
                                        ; implicit-def: $vgpr23
	s_and_saveexec_b64 s[18:19], vcc
	s_xor_b64 s[78:79], exec, s[18:19]
	s_cbranch_execz .LBB6_8607
; %bb.8598:                             ;   in Loop: Header=BB6_6244 Depth=2
	v_mov_b32_e32 v23, 0
	v_cmp_ne_u32_e32 vcc, 0, v2
	s_and_saveexec_b64 s[88:89], vcc
	s_cbranch_execz .LBB6_8606
; %bb.8599:                             ;   in Loop: Header=BB6_6244 Depth=2
	v_and_b32_e32 v7, 0x7fffff, v2
	v_bfe_u32 v2, v2, 23, 8
	v_cmp_gt_u32_e64 s[18:19], s51, v2
	v_sub_u32_e32 v3, 0x79, v2
	v_cmp_eq_u32_e32 vcc, 0, v2
	v_cndmask_b32_e64 v3, 0, v3, s[18:19]
	v_mov_b32_e32 v18, 0x78
	v_cndmask_b32_e32 v3, v3, v18, vcc
	v_add_u32_e32 v18, 20, v3
	v_or_b32_e32 v8, 0x800000, v7
	v_lshlrev_b64 v[18:19], v18, -1
	v_add_u32_e32 v20, 19, v3
	v_cndmask_b32_e32 v7, v8, v7, vcc
	v_lshlrev_b64 v[28:29], v20, 1
	v_mov_b32_e32 v8, v51
	v_bfi_b32 v19, v19, 0, 0
	v_bfi_b32 v18, v18, 0, v7
	v_cmp_eq_u64_e64 s[18:19], v[18:19], v[28:29]
	v_lshrrev_b64 v[18:19], v3, v[7:8]
	v_mov_b32_e32 v20, v19
	v_mov_b32_e32 v19, v18
	s_and_saveexec_b64 s[90:91], s[18:19]
; %bb.8600:                             ;   in Loop: Header=BB6_6244 Depth=2
	v_bfe_u32 v7, v18, 20, 1
	v_add_co_u32_e64 v7, s[18:19], v18, v7
	v_add_co_u32_e64 v19, s[18:19], -1, v7
; %bb.8601:                             ;   in Loop: Header=BB6_6244 Depth=2
	s_or_b64 exec, exec, s[90:91]
	v_add_u32_e32 v2, 0xffffff81, v2
	v_mov_b32_e32 v7, 0xffffff82
	v_cndmask_b32_e32 v2, v2, v7, vcc
	v_lshrrev_b32_e32 v7, 23, v18
	v_add3_u32 v7, v3, v2, v7
	v_add_u32_e32 v3, 6, v7
	v_and_b32_e32 v2, 0xfffff, v19
	v_add_u32_e32 v18, v2, v18
	v_mov_b32_e32 v19, v51
	v_cmp_ne_u32_e32 vcc, 0, v3
                                        ; implicit-def: $vgpr2
	s_and_saveexec_b64 s[18:19], vcc
	s_xor_b64 s[18:19], exec, s[18:19]
; %bb.8602:                             ;   in Loop: Header=BB6_6244 Depth=2
	v_cmp_lt_u64_e32 vcc, s[58:59], v[18:19]
	v_add_u32_e32 v2, 7, v7
	v_cndmask_b32_e32 v2, v3, v2, vcc
	v_cndmask_b32_e64 v3, 0, 1, vcc
	v_lshrrev_b64 v[18:19], v3, v[18:19]
; %bb.8603:                             ;   in Loop: Header=BB6_6244 Depth=2
	s_andn2_saveexec_b64 s[18:19], s[18:19]
; %bb.8604:                             ;   in Loop: Header=BB6_6244 Depth=2
	v_bfe_u32 v2, v18, 23, 1
; %bb.8605:                             ;   in Loop: Header=BB6_6244 Depth=2
	s_or_b64 exec, exec, s[18:19]
	v_lshrrev_b64 v[7:8], 20, v[18:19]
	v_cmp_gt_i32_e32 vcc, 16, v2
	v_cndmask_b32_e32 v8, 0, v8, vcc
	v_cndmask_b32_e32 v7, 7, v7, vcc
	v_cmp_eq_u32_e32 vcc, 0, v2
	v_min_i32_e32 v2, 15, v2
	v_cmp_eq_u64_e64 s[18:19], 0, v[7:8]
	v_lshlrev_b32_e32 v2, 3, v2
	v_and_b32_e32 v2, 0xf8, v2
	v_and_or_b32 v2, v7, 7, v2
	s_and_b64 s[18:19], vcc, s[18:19]
	v_cndmask_b32_e64 v2, v2, 0, s[18:19]
	v_or_b32_e32 v23, v2, v0
.LBB6_8606:                             ;   in Loop: Header=BB6_6244 Depth=2
	s_or_b64 exec, exec, s[88:89]
                                        ; implicit-def: $vgpr0
.LBB6_8607:                             ;   in Loop: Header=BB6_6244 Depth=2
	s_andn2_saveexec_b64 s[18:19], s[78:79]
; %bb.8608:                             ;   in Loop: Header=BB6_6244 Depth=2
	v_or_b32_e32 v23, 0x7e, v0
; %bb.8609:                             ;   in Loop: Header=BB6_6244 Depth=2
	s_or_b64 exec, exec, s[18:19]
                                        ; implicit-def: $vgpr2
.LBB6_8610:                             ;   in Loop: Header=BB6_6244 Depth=2
	s_andn2_saveexec_b64 s[18:19], s[76:77]
; %bb.8611:                             ;   in Loop: Header=BB6_6244 Depth=2
	v_or_b32_sdwa v23, v2, s39 dst_sel:DWORD dst_unused:UNUSED_PAD src0_sel:BYTE_3 src1_sel:DWORD
; %bb.8612:                             ;   in Loop: Header=BB6_6244 Depth=2
	s_or_b64 exec, exec, s[18:19]
	v_lshrrev_b32_e32 v18, 16, v50
	v_cmp_ne_u16_sdwa s[76:77], v18, v51 src0_sel:BYTE_0 src1_sel:DWORD
	v_mov_b32_e32 v0, 0
	v_mov_b32_e32 v2, 0
	s_and_saveexec_b64 s[18:19], s[76:77]
	s_cbranch_execz .LBB6_8618
; %bb.8613:                             ;   in Loop: Header=BB6_6244 Depth=2
	v_cmp_ne_u16_sdwa s[78:79], v18, s50 src0_sel:BYTE_0 src1_sel:DWORD
	v_bfrev_b32_e32 v2, 1
	s_and_saveexec_b64 s[76:77], s[78:79]
	s_cbranch_execz .LBB6_8617
; %bb.8614:                             ;   in Loop: Header=BB6_6244 Depth=2
	v_bfe_u32 v3, v50, 16, 7
	v_cmp_ne_u32_e32 vcc, s39, v3
	v_mov_b32_e32 v2, 0x7f800001
	s_and_saveexec_b64 s[78:79], vcc
	s_cbranch_execz .LBB6_8616
; %bb.8615:                             ;   in Loop: Header=BB6_6244 Depth=2
	v_and_b32_e32 v7, 7, v18
	v_ffbh_u32_e32 v2, v7
	v_min_u32_e32 v19, 32, v2
	v_subrev_u32_e32 v2, 28, v19
	v_lshrrev_b32_e32 v8, 3, v3
	v_cmp_gt_u32_e32 vcc, 8, v3
	v_lshlrev_b64 v[2:3], v2, v[18:19]
	v_sub_u32_e32 v3, 29, v19
	v_and_b32_e32 v2, 7, v2
	v_cndmask_b32_e32 v3, v8, v3, vcc
	v_cndmask_b32_e32 v2, v7, v2, vcc
	v_lshlrev_b32_e32 v7, 24, v18
	v_lshlrev_b32_e32 v2, 20, v2
	v_and_b32_e32 v7, 0x80000000, v7
	v_lshl_add_u32 v3, v3, 23, v62
	v_or3_b32 v2, v7, v3, v2
.LBB6_8616:                             ;   in Loop: Header=BB6_6244 Depth=2
	s_or_b64 exec, exec, s[78:79]
.LBB6_8617:                             ;   in Loop: Header=BB6_6244 Depth=2
	s_or_b64 exec, exec, s[76:77]
.LBB6_8618:                             ;   in Loop: Header=BB6_6244 Depth=2
	s_or_b64 exec, exec, s[18:19]
	v_lshrrev_b32_e32 v18, 16, v14
	v_cmp_ne_u16_sdwa s[76:77], v18, v51 src0_sel:BYTE_0 src1_sel:DWORD
	s_and_saveexec_b64 s[18:19], s[76:77]
	s_cbranch_execz .LBB6_8624
; %bb.8619:                             ;   in Loop: Header=BB6_6244 Depth=2
	v_cmp_ne_u16_sdwa s[78:79], v18, s50 src0_sel:BYTE_0 src1_sel:DWORD
	v_bfrev_b32_e32 v0, 1
	s_and_saveexec_b64 s[76:77], s[78:79]
	s_cbranch_execz .LBB6_8623
; %bb.8620:                             ;   in Loop: Header=BB6_6244 Depth=2
	v_bfe_u32 v3, v14, 16, 7
	v_cmp_ne_u32_e32 vcc, s39, v3
	v_mov_b32_e32 v0, 0x7f800001
	s_and_saveexec_b64 s[78:79], vcc
	s_cbranch_execz .LBB6_8622
; %bb.8621:                             ;   in Loop: Header=BB6_6244 Depth=2
	v_and_b32_e32 v0, 7, v18
	v_lshrrev_b32_e32 v19, 3, v3
	v_cmp_gt_u32_e32 vcc, 8, v3
	v_ffbh_u32_e32 v3, v0
	v_min_u32_e32 v3, 32, v3
	v_subrev_u32_e32 v7, 28, v3
	v_lshlrev_b64 v[7:8], v7, v[18:19]
	v_sub_u32_e32 v3, 29, v3
	v_and_b32_e32 v7, 7, v7
	v_cndmask_b32_e32 v3, v19, v3, vcc
	v_cndmask_b32_e32 v0, v0, v7, vcc
	v_lshlrev_b32_e32 v7, 8, v14
	v_lshlrev_b32_e32 v0, 20, v0
	v_and_b32_e32 v7, 0x80000000, v7
	v_lshl_add_u32 v3, v3, 23, v62
	v_or3_b32 v0, v7, v3, v0
.LBB6_8622:                             ;   in Loop: Header=BB6_6244 Depth=2
	s_or_b64 exec, exec, s[78:79]
.LBB6_8623:                             ;   in Loop: Header=BB6_6244 Depth=2
	s_or_b64 exec, exec, s[76:77]
.LBB6_8624:                             ;   in Loop: Header=BB6_6244 Depth=2
	s_or_b64 exec, exec, s[18:19]
	v_add_f32_e32 v2, v2, v0
	v_and_b32_e32 v7, 0x7f800000, v2
	v_mov_b32_e32 v8, v51
	v_cmp_ne_u64_e32 vcc, s[46:47], v[7:8]
                                        ; implicit-def: $vgpr38
	s_and_saveexec_b64 s[18:19], vcc
	s_xor_b64 s[76:77], exec, s[18:19]
	s_cbranch_execz .LBB6_8638
; %bb.8625:                             ;   in Loop: Header=BB6_6244 Depth=2
	v_and_b32_e32 v7, 0x7fffffff, v2
	v_mov_b32_e32 v8, v51
	v_cmp_gt_u64_e32 vcc, s[56:57], v[7:8]
	v_and_b32_sdwa v0, v2, s50 dst_sel:DWORD dst_unused:UNUSED_PAD src0_sel:BYTE_3 src1_sel:DWORD
                                        ; implicit-def: $vgpr38
	s_and_saveexec_b64 s[18:19], vcc
	s_xor_b64 s[78:79], exec, s[18:19]
	s_cbranch_execz .LBB6_8635
; %bb.8626:                             ;   in Loop: Header=BB6_6244 Depth=2
	v_mov_b32_e32 v38, 0
	v_cmp_ne_u32_e32 vcc, 0, v2
	s_and_saveexec_b64 s[88:89], vcc
	s_cbranch_execz .LBB6_8634
; %bb.8627:                             ;   in Loop: Header=BB6_6244 Depth=2
	v_and_b32_e32 v7, 0x7fffff, v2
	v_bfe_u32 v2, v2, 23, 8
	v_cmp_gt_u32_e64 s[18:19], s51, v2
	v_sub_u32_e32 v3, 0x79, v2
	v_cmp_eq_u32_e32 vcc, 0, v2
	v_cndmask_b32_e64 v3, 0, v3, s[18:19]
	v_mov_b32_e32 v18, 0x78
	v_cndmask_b32_e32 v3, v3, v18, vcc
	v_add_u32_e32 v18, 20, v3
	v_or_b32_e32 v8, 0x800000, v7
	v_lshlrev_b64 v[18:19], v18, -1
	v_add_u32_e32 v20, 19, v3
	v_cndmask_b32_e32 v7, v8, v7, vcc
	v_lshlrev_b64 v[28:29], v20, 1
	v_mov_b32_e32 v8, v51
	v_bfi_b32 v19, v19, 0, 0
	v_bfi_b32 v18, v18, 0, v7
	v_cmp_eq_u64_e64 s[18:19], v[18:19], v[28:29]
	v_lshrrev_b64 v[18:19], v3, v[7:8]
	v_mov_b32_e32 v20, v19
	v_mov_b32_e32 v19, v18
	s_and_saveexec_b64 s[90:91], s[18:19]
; %bb.8628:                             ;   in Loop: Header=BB6_6244 Depth=2
	v_bfe_u32 v7, v18, 20, 1
	v_add_co_u32_e64 v7, s[18:19], v18, v7
	v_add_co_u32_e64 v19, s[18:19], -1, v7
; %bb.8629:                             ;   in Loop: Header=BB6_6244 Depth=2
	s_or_b64 exec, exec, s[90:91]
	v_add_u32_e32 v2, 0xffffff81, v2
	v_mov_b32_e32 v7, 0xffffff82
	v_cndmask_b32_e32 v2, v2, v7, vcc
	v_lshrrev_b32_e32 v7, 23, v18
	v_add3_u32 v7, v3, v2, v7
	v_add_u32_e32 v3, 6, v7
	v_and_b32_e32 v2, 0xfffff, v19
	v_add_u32_e32 v18, v2, v18
	v_mov_b32_e32 v19, v51
	v_cmp_ne_u32_e32 vcc, 0, v3
                                        ; implicit-def: $vgpr2
	s_and_saveexec_b64 s[18:19], vcc
	s_xor_b64 s[18:19], exec, s[18:19]
; %bb.8630:                             ;   in Loop: Header=BB6_6244 Depth=2
	v_cmp_lt_u64_e32 vcc, s[58:59], v[18:19]
	v_add_u32_e32 v2, 7, v7
	v_cndmask_b32_e32 v2, v3, v2, vcc
	v_cndmask_b32_e64 v3, 0, 1, vcc
	v_lshrrev_b64 v[18:19], v3, v[18:19]
; %bb.8631:                             ;   in Loop: Header=BB6_6244 Depth=2
	s_andn2_saveexec_b64 s[18:19], s[18:19]
; %bb.8632:                             ;   in Loop: Header=BB6_6244 Depth=2
	v_bfe_u32 v2, v18, 23, 1
; %bb.8633:                             ;   in Loop: Header=BB6_6244 Depth=2
	s_or_b64 exec, exec, s[18:19]
	v_lshrrev_b64 v[7:8], 20, v[18:19]
	v_cmp_gt_i32_e32 vcc, 16, v2
	v_cndmask_b32_e32 v8, 0, v8, vcc
	v_cndmask_b32_e32 v7, 7, v7, vcc
	v_cmp_eq_u32_e32 vcc, 0, v2
	v_min_i32_e32 v2, 15, v2
	v_cmp_eq_u64_e64 s[18:19], 0, v[7:8]
	v_lshlrev_b32_e32 v2, 3, v2
	v_and_b32_e32 v2, 0xf8, v2
	v_and_or_b32 v2, v7, 7, v2
	s_and_b64 s[18:19], vcc, s[18:19]
	v_cndmask_b32_e64 v2, v2, 0, s[18:19]
	v_or_b32_e32 v38, v2, v0
.LBB6_8634:                             ;   in Loop: Header=BB6_6244 Depth=2
	s_or_b64 exec, exec, s[88:89]
                                        ; implicit-def: $vgpr0
.LBB6_8635:                             ;   in Loop: Header=BB6_6244 Depth=2
	s_andn2_saveexec_b64 s[18:19], s[78:79]
; %bb.8636:                             ;   in Loop: Header=BB6_6244 Depth=2
	v_or_b32_e32 v38, 0x7e, v0
; %bb.8637:                             ;   in Loop: Header=BB6_6244 Depth=2
	s_or_b64 exec, exec, s[18:19]
                                        ; implicit-def: $vgpr2
.LBB6_8638:                             ;   in Loop: Header=BB6_6244 Depth=2
	s_andn2_saveexec_b64 s[18:19], s[76:77]
; %bb.8639:                             ;   in Loop: Header=BB6_6244 Depth=2
	v_or_b32_sdwa v38, v2, s39 dst_sel:DWORD dst_unused:UNUSED_PAD src0_sel:BYTE_3 src1_sel:DWORD
; %bb.8640:                             ;   in Loop: Header=BB6_6244 Depth=2
	s_or_b64 exec, exec, s[18:19]
	v_cmp_lt_u32_e32 vcc, s61, v50
	v_mov_b32_e32 v0, 0
	v_mov_b32_e32 v2, 0
	s_and_saveexec_b64 s[18:19], vcc
	s_cbranch_execz .LBB6_8646
; %bb.8641:                             ;   in Loop: Header=BB6_6244 Depth=2
	v_lshrrev_b32_e32 v18, 24, v50
	v_cmp_ne_u32_sdwa s[78:79], v50, s50 src0_sel:BYTE_3 src1_sel:DWORD
	v_bfrev_b32_e32 v2, 1
	s_and_saveexec_b64 s[76:77], s[78:79]
	s_cbranch_execz .LBB6_8645
; %bb.8642:                             ;   in Loop: Header=BB6_6244 Depth=2
	v_bfe_u32 v3, v50, 24, 7
	v_cmp_ne_u32_e32 vcc, s39, v3
	v_mov_b32_e32 v2, 0x7f800001
	s_and_saveexec_b64 s[78:79], vcc
	s_cbranch_execz .LBB6_8644
; %bb.8643:                             ;   in Loop: Header=BB6_6244 Depth=2
	v_and_b32_e32 v7, 7, v18
	v_ffbh_u32_e32 v2, v7
	v_min_u32_e32 v19, 32, v2
	v_subrev_u32_e32 v2, 28, v19
	v_lshrrev_b32_e32 v8, 3, v3
	v_cmp_gt_u32_e32 vcc, 8, v3
	v_lshlrev_b64 v[2:3], v2, v[18:19]
	v_sub_u32_e32 v3, 29, v19
	v_and_b32_e32 v2, 7, v2
	v_cndmask_b32_e32 v2, v7, v2, vcc
	v_mov_b32_e32 v7, 24
	v_cndmask_b32_e32 v3, v8, v3, vcc
	v_lshlrev_b32_sdwa v7, v7, v50 dst_sel:DWORD dst_unused:UNUSED_PAD src0_sel:DWORD src1_sel:BYTE_3
	v_lshlrev_b32_e32 v2, 20, v2
	v_and_b32_e32 v7, 0x80000000, v7
	v_lshl_add_u32 v3, v3, 23, v62
	v_or3_b32 v2, v7, v3, v2
.LBB6_8644:                             ;   in Loop: Header=BB6_6244 Depth=2
	s_or_b64 exec, exec, s[78:79]
.LBB6_8645:                             ;   in Loop: Header=BB6_6244 Depth=2
	s_or_b64 exec, exec, s[76:77]
.LBB6_8646:                             ;   in Loop: Header=BB6_6244 Depth=2
	s_or_b64 exec, exec, s[18:19]
	v_cmp_lt_u32_e32 vcc, s61, v14
	s_and_saveexec_b64 s[18:19], vcc
	s_cbranch_execz .LBB6_8652
; %bb.8647:                             ;   in Loop: Header=BB6_6244 Depth=2
	v_lshrrev_b32_e32 v18, 24, v14
	v_cmp_ne_u32_e32 vcc, s50, v18
	v_bfrev_b32_e32 v0, 1
	s_and_saveexec_b64 s[76:77], vcc
	s_cbranch_execz .LBB6_8651
; %bb.8648:                             ;   in Loop: Header=BB6_6244 Depth=2
	v_bfe_u32 v3, v14, 24, 7
	v_cmp_ne_u32_e32 vcc, s39, v3
	v_mov_b32_e32 v0, 0x7f800001
	s_and_saveexec_b64 s[78:79], vcc
	s_cbranch_execz .LBB6_8650
; %bb.8649:                             ;   in Loop: Header=BB6_6244 Depth=2
	v_and_b32_e32 v0, 7, v18
	v_lshrrev_b32_e32 v19, 3, v3
	v_cmp_gt_u32_e32 vcc, 8, v3
	v_ffbh_u32_e32 v3, v0
	v_min_u32_e32 v3, 32, v3
	v_subrev_u32_e32 v7, 28, v3
	v_lshlrev_b64 v[7:8], v7, v[18:19]
	v_sub_u32_e32 v3, 29, v3
	v_and_b32_e32 v7, 7, v7
	v_cndmask_b32_e32 v3, v19, v3, vcc
	v_cndmask_b32_e32 v0, v0, v7, vcc
	v_lshlrev_b32_e32 v7, 24, v18
	v_lshlrev_b32_e32 v0, 20, v0
	v_and_b32_e32 v7, 0x80000000, v7
	v_lshl_add_u32 v3, v3, 23, v62
	v_or3_b32 v0, v7, v3, v0
.LBB6_8650:                             ;   in Loop: Header=BB6_6244 Depth=2
	s_or_b64 exec, exec, s[78:79]
.LBB6_8651:                             ;   in Loop: Header=BB6_6244 Depth=2
	s_or_b64 exec, exec, s[76:77]
.LBB6_8652:                             ;   in Loop: Header=BB6_6244 Depth=2
	s_or_b64 exec, exec, s[18:19]
	v_add_f32_e32 v2, v2, v0
	v_and_b32_e32 v50, 0x7f800000, v2
	v_cmp_ne_u64_e32 vcc, s[46:47], v[50:51]
                                        ; implicit-def: $vgpr39
	s_and_saveexec_b64 s[18:19], vcc
	s_xor_b64 s[76:77], exec, s[18:19]
	s_cbranch_execz .LBB6_8666
; %bb.8653:                             ;   in Loop: Header=BB6_6244 Depth=2
	v_and_b32_e32 v50, 0x7fffffff, v2
	v_cmp_gt_u64_e32 vcc, s[56:57], v[50:51]
	v_and_b32_sdwa v0, v2, s50 dst_sel:DWORD dst_unused:UNUSED_PAD src0_sel:BYTE_3 src1_sel:DWORD
                                        ; implicit-def: $vgpr39
	s_and_saveexec_b64 s[18:19], vcc
	s_xor_b64 s[78:79], exec, s[18:19]
	s_cbranch_execz .LBB6_8663
; %bb.8654:                             ;   in Loop: Header=BB6_6244 Depth=2
	v_mov_b32_e32 v39, 0
	v_cmp_ne_u32_e32 vcc, 0, v2
	s_and_saveexec_b64 s[88:89], vcc
	s_cbranch_execz .LBB6_8662
; %bb.8655:                             ;   in Loop: Header=BB6_6244 Depth=2
	v_and_b32_e32 v7, 0x7fffff, v2
	v_bfe_u32 v2, v2, 23, 8
	v_cmp_gt_u32_e64 s[18:19], s51, v2
	v_sub_u32_e32 v3, 0x79, v2
	v_cmp_eq_u32_e32 vcc, 0, v2
	v_cndmask_b32_e64 v3, 0, v3, s[18:19]
	v_mov_b32_e32 v18, 0x78
	v_or_b32_e32 v8, 0x800000, v7
	v_cndmask_b32_e32 v3, v3, v18, vcc
	v_cndmask_b32_e32 v50, v8, v7, vcc
	v_add_u32_e32 v7, 20, v3
	v_lshlrev_b64 v[7:8], v7, -1
	v_add_u32_e32 v18, 19, v3
	v_lshlrev_b64 v[18:19], v18, 1
	v_bfi_b32 v8, v8, 0, 0
	v_bfi_b32 v7, v7, 0, v50
	v_cmp_eq_u64_e64 s[18:19], v[7:8], v[18:19]
	v_lshrrev_b64 v[18:19], v3, v[50:51]
	v_mov_b32_e32 v20, v19
	v_mov_b32_e32 v19, v18
	s_and_saveexec_b64 s[90:91], s[18:19]
; %bb.8656:                             ;   in Loop: Header=BB6_6244 Depth=2
	v_bfe_u32 v7, v18, 20, 1
	v_add_co_u32_e64 v7, s[18:19], v18, v7
	v_add_co_u32_e64 v19, s[18:19], -1, v7
; %bb.8657:                             ;   in Loop: Header=BB6_6244 Depth=2
	s_or_b64 exec, exec, s[90:91]
	v_add_u32_e32 v2, 0xffffff81, v2
	v_mov_b32_e32 v7, 0xffffff82
	v_cndmask_b32_e32 v2, v2, v7, vcc
	v_lshrrev_b32_e32 v7, 23, v18
	v_add3_u32 v7, v3, v2, v7
	v_add_u32_e32 v3, 6, v7
	v_and_b32_e32 v2, 0xfffff, v19
	v_add_u32_e32 v50, v2, v18
	v_cmp_ne_u32_e32 vcc, 0, v3
                                        ; implicit-def: $vgpr18_vgpr19
                                        ; implicit-def: $vgpr2
	s_and_saveexec_b64 s[18:19], vcc
	s_xor_b64 s[18:19], exec, s[18:19]
; %bb.8658:                             ;   in Loop: Header=BB6_6244 Depth=2
	v_cmp_lt_u64_e32 vcc, s[58:59], v[50:51]
	v_add_u32_e32 v2, 7, v7
	v_cndmask_b32_e32 v2, v3, v2, vcc
	v_cndmask_b32_e64 v3, 0, 1, vcc
	v_lshrrev_b64 v[18:19], v3, v[50:51]
; %bb.8659:                             ;   in Loop: Header=BB6_6244 Depth=2
	s_andn2_saveexec_b64 s[18:19], s[18:19]
; %bb.8660:                             ;   in Loop: Header=BB6_6244 Depth=2
	v_mov_b32_e32 v18, v50
	v_bfe_u32 v2, v50, 23, 1
	v_mov_b32_e32 v19, v51
; %bb.8661:                             ;   in Loop: Header=BB6_6244 Depth=2
	s_or_b64 exec, exec, s[18:19]
	v_lshrrev_b64 v[7:8], 20, v[18:19]
	v_cmp_gt_i32_e32 vcc, 16, v2
	v_cndmask_b32_e32 v8, 0, v8, vcc
	v_cndmask_b32_e32 v7, 7, v7, vcc
	v_cmp_eq_u32_e32 vcc, 0, v2
	v_min_i32_e32 v2, 15, v2
	v_cmp_eq_u64_e64 s[18:19], 0, v[7:8]
	v_lshlrev_b32_e32 v2, 3, v2
	v_and_b32_e32 v2, 0xf8, v2
	v_and_or_b32 v2, v7, 7, v2
	s_and_b64 s[18:19], vcc, s[18:19]
	v_cndmask_b32_e64 v2, v2, 0, s[18:19]
	v_or_b32_e32 v39, v2, v0
.LBB6_8662:                             ;   in Loop: Header=BB6_6244 Depth=2
	s_or_b64 exec, exec, s[88:89]
                                        ; implicit-def: $vgpr0
.LBB6_8663:                             ;   in Loop: Header=BB6_6244 Depth=2
	s_andn2_saveexec_b64 s[18:19], s[78:79]
; %bb.8664:                             ;   in Loop: Header=BB6_6244 Depth=2
	v_or_b32_e32 v39, 0x7e, v0
; %bb.8665:                             ;   in Loop: Header=BB6_6244 Depth=2
	s_or_b64 exec, exec, s[18:19]
                                        ; implicit-def: $vgpr2
.LBB6_8666:                             ;   in Loop: Header=BB6_6244 Depth=2
	s_andn2_saveexec_b64 s[18:19], s[76:77]
; %bb.8667:                             ;   in Loop: Header=BB6_6244 Depth=2
	v_or_b32_sdwa v39, v2, s39 dst_sel:DWORD dst_unused:UNUSED_PAD src0_sel:BYTE_3 src1_sel:DWORD
; %bb.8668:                             ;   in Loop: Header=BB6_6244 Depth=2
	s_or_b64 exec, exec, s[18:19]
	buffer_load_dword v0, off, s[0:3], s33 offset:192 ; 4-byte Folded Reload
	buffer_load_dword v2, off, s[0:3], s33 offset:212 ; 4-byte Folded Reload
	buffer_load_dword v3, off, s[0:3], s33 offset:232 ; 4-byte Folded Reload
	v_cmp_ne_u32_e32 vcc, 0, v61
	s_waitcnt vmcnt(2)
	v_lshl_or_b32 v0, v0, 8, v61
	s_waitcnt vmcnt(1)
	v_lshlrev_b32_e32 v2, 16, v2
	s_waitcnt vmcnt(0)
	v_lshlrev_b32_e32 v3, 24, v3
	v_or3_b32 v50, v2, v3, v0
	v_mov_b32_e32 v3, 0
	v_mov_b32_e32 v2, 0
	s_and_saveexec_b64 s[18:19], vcc
	s_cbranch_execz .LBB6_8674
; %bb.8669:                             ;   in Loop: Header=BB6_6244 Depth=2
	v_cmp_ne_u32_e32 vcc, s50, v61
	v_bfrev_b32_e32 v2, 1
	s_and_saveexec_b64 s[76:77], vcc
	s_cbranch_execz .LBB6_8673
; %bb.8670:                             ;   in Loop: Header=BB6_6244 Depth=2
	v_and_b32_e32 v7, 0x7f, v61
	v_cmp_ne_u32_e32 vcc, s39, v7
	v_mov_b32_e32 v2, 0x7f800001
	s_and_saveexec_b64 s[78:79], vcc
	s_cbranch_execz .LBB6_8672
; %bb.8671:                             ;   in Loop: Header=BB6_6244 Depth=2
	v_and_b32_e32 v2, 7, v61
	v_ffbh_u32_e32 v2, v2
	v_min_u32_e32 v2, 32, v2
	v_lshrrev_b32_e32 v8, 3, v7
	v_cmp_gt_u32_e32 vcc, 8, v7
	v_subrev_u32_e32 v7, 28, v2
	v_sub_u32_e32 v2, 29, v2
	v_cndmask_b32_e32 v7, 0, v7, vcc
	v_cndmask_b32_e32 v2, v8, v2, vcc
	v_lshlrev_b64 v[7:8], v7, v[50:51]
	v_lshlrev_b32_e32 v8, 24, v50
	v_lshlrev_b32_e32 v7, 20, v7
	v_and_b32_e32 v7, 0x700000, v7
	v_and_b32_e32 v8, 0x80000000, v8
	v_lshl_add_u32 v2, v2, 23, v62
	v_or3_b32 v2, v8, v2, v7
.LBB6_8672:                             ;   in Loop: Header=BB6_6244 Depth=2
	s_or_b64 exec, exec, s[78:79]
.LBB6_8673:                             ;   in Loop: Header=BB6_6244 Depth=2
	s_or_b64 exec, exec, s[76:77]
.LBB6_8674:                             ;   in Loop: Header=BB6_6244 Depth=2
	s_or_b64 exec, exec, s[18:19]
	v_cmp_ne_u16_sdwa s[76:77], v15, v51 src0_sel:BYTE_0 src1_sel:DWORD
	s_and_saveexec_b64 s[18:19], s[76:77]
	s_cbranch_execz .LBB6_8680
; %bb.8675:                             ;   in Loop: Header=BB6_6244 Depth=2
	v_cmp_ne_u16_sdwa s[78:79], v15, s50 src0_sel:BYTE_0 src1_sel:DWORD
	v_bfrev_b32_e32 v3, 1
	s_and_saveexec_b64 s[76:77], s[78:79]
	s_cbranch_execz .LBB6_8679
; %bb.8676:                             ;   in Loop: Header=BB6_6244 Depth=2
	v_and_b32_e32 v7, 0x7f, v15
	v_cmp_ne_u32_e32 vcc, s39, v7
	v_mov_b32_e32 v3, 0x7f800001
	s_and_saveexec_b64 s[78:79], vcc
	s_cbranch_execz .LBB6_8678
; %bb.8677:                             ;   in Loop: Header=BB6_6244 Depth=2
	v_and_b32_e32 v3, 7, v15
	v_ffbh_u32_e32 v3, v3
	v_min_u32_e32 v3, 32, v3
	v_lshrrev_b32_e32 v8, 3, v7
	v_cmp_gt_u32_e32 vcc, 8, v7
	v_subrev_u32_e32 v7, 28, v3
	v_mov_b32_e32 v18, v15
	v_mov_b32_e32 v19, v51
	v_sub_u32_e32 v3, 29, v3
	v_cndmask_b32_e32 v7, 0, v7, vcc
	v_cndmask_b32_e32 v3, v8, v3, vcc
	v_lshlrev_b64 v[7:8], v7, v[18:19]
	v_lshlrev_b32_e32 v8, 24, v18
	v_lshlrev_b32_e32 v7, 20, v7
	v_and_b32_e32 v7, 0x700000, v7
	v_and_b32_e32 v8, 0x80000000, v8
	v_lshl_add_u32 v3, v3, 23, v62
	v_or3_b32 v3, v8, v3, v7
.LBB6_8678:                             ;   in Loop: Header=BB6_6244 Depth=2
	s_or_b64 exec, exec, s[78:79]
.LBB6_8679:                             ;   in Loop: Header=BB6_6244 Depth=2
	s_or_b64 exec, exec, s[76:77]
.LBB6_8680:                             ;   in Loop: Header=BB6_6244 Depth=2
	s_or_b64 exec, exec, s[18:19]
	v_add_f32_e32 v3, v2, v3
	v_and_b32_e32 v7, 0x7f800000, v3
	v_mov_b32_e32 v8, v51
	v_cmp_ne_u64_e32 vcc, s[46:47], v[7:8]
                                        ; implicit-def: $vgpr43
	s_and_saveexec_b64 s[18:19], vcc
	s_xor_b64 s[76:77], exec, s[18:19]
	s_cbranch_execz .LBB6_8694
; %bb.8681:                             ;   in Loop: Header=BB6_6244 Depth=2
	v_and_b32_e32 v7, 0x7fffffff, v3
	v_mov_b32_e32 v8, v51
	v_cmp_gt_u64_e32 vcc, s[56:57], v[7:8]
	v_and_b32_sdwa v2, v3, s50 dst_sel:DWORD dst_unused:UNUSED_PAD src0_sel:BYTE_3 src1_sel:DWORD
                                        ; implicit-def: $vgpr43
	s_and_saveexec_b64 s[18:19], vcc
	s_xor_b64 s[78:79], exec, s[18:19]
	s_cbranch_execz .LBB6_8691
; %bb.8682:                             ;   in Loop: Header=BB6_6244 Depth=2
	v_mov_b32_e32 v43, 0
	v_cmp_ne_u32_e32 vcc, 0, v3
	s_and_saveexec_b64 s[88:89], vcc
	s_cbranch_execz .LBB6_8690
; %bb.8683:                             ;   in Loop: Header=BB6_6244 Depth=2
	v_and_b32_e32 v8, 0x7fffff, v3
	v_bfe_u32 v3, v3, 23, 8
	v_cmp_gt_u32_e64 s[18:19], s51, v3
	v_sub_u32_e32 v7, 0x79, v3
	v_cmp_eq_u32_e32 vcc, 0, v3
	v_cndmask_b32_e64 v7, 0, v7, s[18:19]
	v_mov_b32_e32 v19, 0x78
	v_or_b32_e32 v18, 0x800000, v8
	v_cndmask_b32_e32 v7, v7, v19, vcc
	v_cndmask_b32_e32 v18, v18, v8, vcc
	v_add_u32_e32 v8, 20, v7
	v_lshlrev_b64 v[28:29], v8, -1
	v_mov_b32_e32 v19, v51
	v_add_u32_e32 v8, 19, v7
	v_bfi_b32 v28, v28, 0, v18
	v_lshlrev_b64 v[30:31], v8, 1
	v_lshrrev_b64 v[18:19], v7, v[18:19]
	v_bfi_b32 v29, v29, 0, 0
	v_cmp_eq_u64_e64 s[18:19], v[28:29], v[30:31]
	v_mov_b32_e32 v20, v19
	v_mov_b32_e32 v19, v18
	s_and_saveexec_b64 s[90:91], s[18:19]
; %bb.8684:                             ;   in Loop: Header=BB6_6244 Depth=2
	v_bfe_u32 v8, v18, 20, 1
	v_add_co_u32_e64 v8, s[18:19], v18, v8
	v_add_co_u32_e64 v19, s[18:19], -1, v8
; %bb.8685:                             ;   in Loop: Header=BB6_6244 Depth=2
	s_or_b64 exec, exec, s[90:91]
	v_add_u32_e32 v3, 0xffffff81, v3
	v_mov_b32_e32 v8, 0xffffff82
	v_cndmask_b32_e32 v3, v3, v8, vcc
	v_lshrrev_b32_e32 v8, 23, v18
	v_add3_u32 v8, v7, v3, v8
	v_add_u32_e32 v7, 6, v8
	v_and_b32_e32 v3, 0xfffff, v19
	v_add_u32_e32 v18, v3, v18
	v_mov_b32_e32 v19, v51
	v_cmp_ne_u32_e32 vcc, 0, v7
                                        ; implicit-def: $vgpr3
	s_and_saveexec_b64 s[18:19], vcc
	s_xor_b64 s[18:19], exec, s[18:19]
; %bb.8686:                             ;   in Loop: Header=BB6_6244 Depth=2
	v_cmp_lt_u64_e32 vcc, s[58:59], v[18:19]
	v_add_u32_e32 v3, 7, v8
	v_cndmask_b32_e32 v3, v7, v3, vcc
	v_cndmask_b32_e64 v7, 0, 1, vcc
	v_lshrrev_b64 v[18:19], v7, v[18:19]
; %bb.8687:                             ;   in Loop: Header=BB6_6244 Depth=2
	s_andn2_saveexec_b64 s[18:19], s[18:19]
; %bb.8688:                             ;   in Loop: Header=BB6_6244 Depth=2
	v_bfe_u32 v3, v18, 23, 1
; %bb.8689:                             ;   in Loop: Header=BB6_6244 Depth=2
	s_or_b64 exec, exec, s[18:19]
	v_lshrrev_b64 v[7:8], 20, v[18:19]
	v_cmp_gt_i32_e32 vcc, 16, v3
	v_cndmask_b32_e32 v8, 0, v8, vcc
	v_cndmask_b32_e32 v7, 7, v7, vcc
	v_cmp_eq_u32_e32 vcc, 0, v3
	v_min_i32_e32 v3, 15, v3
	v_cmp_eq_u64_e64 s[18:19], 0, v[7:8]
	v_lshlrev_b32_e32 v3, 3, v3
	v_and_b32_e32 v3, 0xf8, v3
	v_and_or_b32 v3, v7, 7, v3
	s_and_b64 s[18:19], vcc, s[18:19]
	v_cndmask_b32_e64 v3, v3, 0, s[18:19]
	v_or_b32_e32 v43, v3, v2
.LBB6_8690:                             ;   in Loop: Header=BB6_6244 Depth=2
	s_or_b64 exec, exec, s[88:89]
                                        ; implicit-def: $vgpr2
.LBB6_8691:                             ;   in Loop: Header=BB6_6244 Depth=2
	s_andn2_saveexec_b64 s[18:19], s[78:79]
; %bb.8692:                             ;   in Loop: Header=BB6_6244 Depth=2
	v_or_b32_e32 v43, 0x7e, v2
; %bb.8693:                             ;   in Loop: Header=BB6_6244 Depth=2
	s_or_b64 exec, exec, s[18:19]
                                        ; implicit-def: $vgpr3
.LBB6_8694:                             ;   in Loop: Header=BB6_6244 Depth=2
	s_andn2_saveexec_b64 s[18:19], s[76:77]
; %bb.8695:                             ;   in Loop: Header=BB6_6244 Depth=2
	v_or_b32_sdwa v43, v3, s39 dst_sel:DWORD dst_unused:UNUSED_PAD src0_sel:BYTE_3 src1_sel:DWORD
; %bb.8696:                             ;   in Loop: Header=BB6_6244 Depth=2
	s_or_b64 exec, exec, s[18:19]
	v_lshrrev_b16_e32 v18, 8, v0
	v_cmp_ne_u16_e32 vcc, 0, v18
	v_mov_b32_e32 v2, 0
	v_mov_b32_e32 v3, 0
	s_and_saveexec_b64 s[18:19], vcc
	s_cbranch_execz .LBB6_8702
; %bb.8697:                             ;   in Loop: Header=BB6_6244 Depth=2
	v_cmp_ne_u16_e32 vcc, s50, v18
	v_bfrev_b32_e32 v3, 1
	s_and_saveexec_b64 s[76:77], vcc
	s_cbranch_execz .LBB6_8701
; %bb.8698:                             ;   in Loop: Header=BB6_6244 Depth=2
	v_and_b32_e32 v7, 0x7f, v18
	v_cmp_ne_u32_e32 vcc, s39, v7
	v_mov_b32_e32 v3, 0x7f800001
	s_and_saveexec_b64 s[78:79], vcc
	s_cbranch_execz .LBB6_8700
; %bb.8699:                             ;   in Loop: Header=BB6_6244 Depth=2
	v_and_b32_e32 v3, 7, v18
	v_lshrrev_b32_e32 v19, 3, v7
	v_cmp_gt_u32_e32 vcc, 8, v7
	v_ffbh_u32_e32 v7, v3
	v_min_u32_e32 v20, 32, v7
	v_subrev_u32_e32 v7, 28, v20
	v_lshlrev_b64 v[7:8], v7, v[18:19]
	v_sub_u32_e32 v8, 29, v20
	v_and_b32_e32 v7, 7, v7
	v_cndmask_b32_e32 v8, v19, v8, vcc
	v_cndmask_b32_e32 v3, v3, v7, vcc
	v_lshlrev_b32_e32 v0, 16, v0
	v_lshlrev_b32_e32 v3, 20, v3
	v_and_b32_e32 v0, 0x80000000, v0
	v_lshl_add_u32 v7, v8, 23, v62
	v_or3_b32 v3, v0, v7, v3
.LBB6_8700:                             ;   in Loop: Header=BB6_6244 Depth=2
	s_or_b64 exec, exec, s[78:79]
.LBB6_8701:                             ;   in Loop: Header=BB6_6244 Depth=2
	s_or_b64 exec, exec, s[76:77]
.LBB6_8702:                             ;   in Loop: Header=BB6_6244 Depth=2
	s_or_b64 exec, exec, s[18:19]
	v_lshrrev_b16_e32 v18, 8, v15
	v_cmp_ne_u16_e32 vcc, 0, v18
	s_and_saveexec_b64 s[18:19], vcc
	s_cbranch_execz .LBB6_8708
; %bb.8703:                             ;   in Loop: Header=BB6_6244 Depth=2
	v_cmp_ne_u16_e32 vcc, s50, v18
	v_bfrev_b32_e32 v2, 1
	s_and_saveexec_b64 s[76:77], vcc
	s_cbranch_execz .LBB6_8707
; %bb.8704:                             ;   in Loop: Header=BB6_6244 Depth=2
	v_and_b32_e32 v0, 0x7f, v18
	v_cmp_ne_u32_e32 vcc, s39, v0
	v_mov_b32_e32 v2, 0x7f800001
	s_and_saveexec_b64 s[78:79], vcc
	s_cbranch_execz .LBB6_8706
; %bb.8705:                             ;   in Loop: Header=BB6_6244 Depth=2
	v_and_b32_e32 v2, 7, v18
	v_lshrrev_b32_e32 v19, 3, v0
	v_cmp_gt_u32_e32 vcc, 8, v0
	v_ffbh_u32_e32 v0, v2
	v_min_u32_e32 v0, 32, v0
	v_subrev_u32_e32 v7, 28, v0
	v_lshlrev_b64 v[7:8], v7, v[18:19]
	v_sub_u32_e32 v0, 29, v0
	v_and_b32_e32 v7, 7, v7
	v_cndmask_b32_e32 v0, v19, v0, vcc
	v_cndmask_b32_e32 v2, v2, v7, vcc
	v_lshlrev_b32_e32 v7, 16, v15
	v_lshlrev_b32_e32 v2, 20, v2
	v_and_b32_e32 v7, 0x80000000, v7
	v_lshl_add_u32 v0, v0, 23, v62
	v_or3_b32 v2, v7, v0, v2
.LBB6_8706:                             ;   in Loop: Header=BB6_6244 Depth=2
	s_or_b64 exec, exec, s[78:79]
.LBB6_8707:                             ;   in Loop: Header=BB6_6244 Depth=2
	s_or_b64 exec, exec, s[76:77]
.LBB6_8708:                             ;   in Loop: Header=BB6_6244 Depth=2
	s_or_b64 exec, exec, s[18:19]
	v_add_f32_e32 v2, v3, v2
	v_and_b32_e32 v7, 0x7f800000, v2
	v_mov_b32_e32 v8, v51
	v_cmp_ne_u64_e32 vcc, s[46:47], v[7:8]
                                        ; implicit-def: $vgpr57
	s_and_saveexec_b64 s[18:19], vcc
	s_xor_b64 s[76:77], exec, s[18:19]
	s_cbranch_execz .LBB6_8722
; %bb.8709:                             ;   in Loop: Header=BB6_6244 Depth=2
	v_and_b32_e32 v7, 0x7fffffff, v2
	v_mov_b32_e32 v8, v51
	v_cmp_gt_u64_e32 vcc, s[56:57], v[7:8]
	v_and_b32_sdwa v0, v2, s50 dst_sel:DWORD dst_unused:UNUSED_PAD src0_sel:BYTE_3 src1_sel:DWORD
                                        ; implicit-def: $vgpr57
	s_and_saveexec_b64 s[18:19], vcc
	s_xor_b64 s[78:79], exec, s[18:19]
	s_cbranch_execz .LBB6_8719
; %bb.8710:                             ;   in Loop: Header=BB6_6244 Depth=2
	v_mov_b32_e32 v57, 0
	v_cmp_ne_u32_e32 vcc, 0, v2
	s_and_saveexec_b64 s[88:89], vcc
	s_cbranch_execz .LBB6_8718
; %bb.8711:                             ;   in Loop: Header=BB6_6244 Depth=2
	v_and_b32_e32 v7, 0x7fffff, v2
	v_bfe_u32 v2, v2, 23, 8
	v_cmp_gt_u32_e64 s[18:19], s51, v2
	v_sub_u32_e32 v3, 0x79, v2
	v_cmp_eq_u32_e32 vcc, 0, v2
	v_cndmask_b32_e64 v3, 0, v3, s[18:19]
	v_mov_b32_e32 v18, 0x78
	v_cndmask_b32_e32 v3, v3, v18, vcc
	v_add_u32_e32 v18, 20, v3
	v_or_b32_e32 v8, 0x800000, v7
	v_lshlrev_b64 v[18:19], v18, -1
	v_add_u32_e32 v20, 19, v3
	v_cndmask_b32_e32 v7, v8, v7, vcc
	v_lshlrev_b64 v[28:29], v20, 1
	v_mov_b32_e32 v8, v51
	v_bfi_b32 v19, v19, 0, 0
	v_bfi_b32 v18, v18, 0, v7
	v_cmp_eq_u64_e64 s[18:19], v[18:19], v[28:29]
	v_lshrrev_b64 v[18:19], v3, v[7:8]
	v_mov_b32_e32 v20, v19
	v_mov_b32_e32 v19, v18
	s_and_saveexec_b64 s[90:91], s[18:19]
; %bb.8712:                             ;   in Loop: Header=BB6_6244 Depth=2
	v_bfe_u32 v7, v18, 20, 1
	v_add_co_u32_e64 v7, s[18:19], v18, v7
	v_add_co_u32_e64 v19, s[18:19], -1, v7
; %bb.8713:                             ;   in Loop: Header=BB6_6244 Depth=2
	s_or_b64 exec, exec, s[90:91]
	v_add_u32_e32 v2, 0xffffff81, v2
	v_mov_b32_e32 v7, 0xffffff82
	v_cndmask_b32_e32 v2, v2, v7, vcc
	v_lshrrev_b32_e32 v7, 23, v18
	v_add3_u32 v7, v3, v2, v7
	v_add_u32_e32 v3, 6, v7
	v_and_b32_e32 v2, 0xfffff, v19
	v_add_u32_e32 v18, v2, v18
	v_mov_b32_e32 v19, v51
	v_cmp_ne_u32_e32 vcc, 0, v3
                                        ; implicit-def: $vgpr2
	s_and_saveexec_b64 s[18:19], vcc
	s_xor_b64 s[18:19], exec, s[18:19]
; %bb.8714:                             ;   in Loop: Header=BB6_6244 Depth=2
	v_cmp_lt_u64_e32 vcc, s[58:59], v[18:19]
	v_add_u32_e32 v2, 7, v7
	v_cndmask_b32_e32 v2, v3, v2, vcc
	v_cndmask_b32_e64 v3, 0, 1, vcc
	v_lshrrev_b64 v[18:19], v3, v[18:19]
; %bb.8715:                             ;   in Loop: Header=BB6_6244 Depth=2
	s_andn2_saveexec_b64 s[18:19], s[18:19]
; %bb.8716:                             ;   in Loop: Header=BB6_6244 Depth=2
	v_bfe_u32 v2, v18, 23, 1
; %bb.8717:                             ;   in Loop: Header=BB6_6244 Depth=2
	s_or_b64 exec, exec, s[18:19]
	v_lshrrev_b64 v[7:8], 20, v[18:19]
	v_cmp_gt_i32_e32 vcc, 16, v2
	v_cndmask_b32_e32 v8, 0, v8, vcc
	v_cndmask_b32_e32 v7, 7, v7, vcc
	v_cmp_eq_u32_e32 vcc, 0, v2
	v_min_i32_e32 v2, 15, v2
	v_cmp_eq_u64_e64 s[18:19], 0, v[7:8]
	v_lshlrev_b32_e32 v2, 3, v2
	v_and_b32_e32 v2, 0xf8, v2
	v_and_or_b32 v2, v7, 7, v2
	s_and_b64 s[18:19], vcc, s[18:19]
	v_cndmask_b32_e64 v2, v2, 0, s[18:19]
	v_or_b32_e32 v57, v2, v0
.LBB6_8718:                             ;   in Loop: Header=BB6_6244 Depth=2
	s_or_b64 exec, exec, s[88:89]
                                        ; implicit-def: $vgpr0
.LBB6_8719:                             ;   in Loop: Header=BB6_6244 Depth=2
	s_andn2_saveexec_b64 s[18:19], s[78:79]
; %bb.8720:                             ;   in Loop: Header=BB6_6244 Depth=2
	v_or_b32_e32 v57, 0x7e, v0
; %bb.8721:                             ;   in Loop: Header=BB6_6244 Depth=2
	s_or_b64 exec, exec, s[18:19]
                                        ; implicit-def: $vgpr2
.LBB6_8722:                             ;   in Loop: Header=BB6_6244 Depth=2
	s_andn2_saveexec_b64 s[18:19], s[76:77]
; %bb.8723:                             ;   in Loop: Header=BB6_6244 Depth=2
	v_or_b32_sdwa v57, v2, s39 dst_sel:DWORD dst_unused:UNUSED_PAD src0_sel:BYTE_3 src1_sel:DWORD
; %bb.8724:                             ;   in Loop: Header=BB6_6244 Depth=2
	s_or_b64 exec, exec, s[18:19]
	v_lshrrev_b32_e32 v18, 16, v50
	v_cmp_ne_u16_sdwa s[76:77], v18, v51 src0_sel:BYTE_0 src1_sel:DWORD
	v_mov_b32_e32 v0, 0
	v_mov_b32_e32 v2, 0
	s_and_saveexec_b64 s[18:19], s[76:77]
	s_cbranch_execz .LBB6_8730
; %bb.8725:                             ;   in Loop: Header=BB6_6244 Depth=2
	v_cmp_ne_u16_sdwa s[78:79], v18, s50 src0_sel:BYTE_0 src1_sel:DWORD
	v_bfrev_b32_e32 v2, 1
	s_and_saveexec_b64 s[76:77], s[78:79]
	s_cbranch_execz .LBB6_8729
; %bb.8726:                             ;   in Loop: Header=BB6_6244 Depth=2
	v_bfe_u32 v3, v50, 16, 7
	v_cmp_ne_u32_e32 vcc, s39, v3
	v_mov_b32_e32 v2, 0x7f800001
	s_and_saveexec_b64 s[78:79], vcc
	s_cbranch_execz .LBB6_8728
; %bb.8727:                             ;   in Loop: Header=BB6_6244 Depth=2
	v_and_b32_e32 v7, 7, v18
	v_ffbh_u32_e32 v2, v7
	v_min_u32_e32 v19, 32, v2
	v_subrev_u32_e32 v2, 28, v19
	v_lshrrev_b32_e32 v8, 3, v3
	v_cmp_gt_u32_e32 vcc, 8, v3
	v_lshlrev_b64 v[2:3], v2, v[18:19]
	v_sub_u32_e32 v3, 29, v19
	v_and_b32_e32 v2, 7, v2
	v_cndmask_b32_e32 v3, v8, v3, vcc
	v_cndmask_b32_e32 v2, v7, v2, vcc
	v_lshlrev_b32_e32 v7, 24, v18
	v_lshlrev_b32_e32 v2, 20, v2
	v_and_b32_e32 v7, 0x80000000, v7
	v_lshl_add_u32 v3, v3, 23, v62
	v_or3_b32 v2, v7, v3, v2
.LBB6_8728:                             ;   in Loop: Header=BB6_6244 Depth=2
	s_or_b64 exec, exec, s[78:79]
.LBB6_8729:                             ;   in Loop: Header=BB6_6244 Depth=2
	s_or_b64 exec, exec, s[76:77]
.LBB6_8730:                             ;   in Loop: Header=BB6_6244 Depth=2
	s_or_b64 exec, exec, s[18:19]
	v_lshrrev_b32_e32 v18, 16, v15
	v_cmp_ne_u16_sdwa s[76:77], v18, v51 src0_sel:BYTE_0 src1_sel:DWORD
	s_and_saveexec_b64 s[18:19], s[76:77]
	s_cbranch_execz .LBB6_8736
; %bb.8731:                             ;   in Loop: Header=BB6_6244 Depth=2
	v_cmp_ne_u16_sdwa s[78:79], v18, s50 src0_sel:BYTE_0 src1_sel:DWORD
	v_bfrev_b32_e32 v0, 1
	s_and_saveexec_b64 s[76:77], s[78:79]
	s_cbranch_execz .LBB6_8735
; %bb.8732:                             ;   in Loop: Header=BB6_6244 Depth=2
	v_bfe_u32 v3, v15, 16, 7
	v_cmp_ne_u32_e32 vcc, s39, v3
	v_mov_b32_e32 v0, 0x7f800001
	s_and_saveexec_b64 s[78:79], vcc
	s_cbranch_execz .LBB6_8734
; %bb.8733:                             ;   in Loop: Header=BB6_6244 Depth=2
	v_and_b32_e32 v0, 7, v18
	v_lshrrev_b32_e32 v19, 3, v3
	v_cmp_gt_u32_e32 vcc, 8, v3
	v_ffbh_u32_e32 v3, v0
	v_min_u32_e32 v3, 32, v3
	v_subrev_u32_e32 v7, 28, v3
	v_lshlrev_b64 v[7:8], v7, v[18:19]
	v_sub_u32_e32 v3, 29, v3
	v_and_b32_e32 v7, 7, v7
	v_cndmask_b32_e32 v3, v19, v3, vcc
	v_cndmask_b32_e32 v0, v0, v7, vcc
	v_lshlrev_b32_e32 v7, 8, v15
	v_lshlrev_b32_e32 v0, 20, v0
	v_and_b32_e32 v7, 0x80000000, v7
	v_lshl_add_u32 v3, v3, 23, v62
	v_or3_b32 v0, v7, v3, v0
.LBB6_8734:                             ;   in Loop: Header=BB6_6244 Depth=2
	s_or_b64 exec, exec, s[78:79]
.LBB6_8735:                             ;   in Loop: Header=BB6_6244 Depth=2
	s_or_b64 exec, exec, s[76:77]
.LBB6_8736:                             ;   in Loop: Header=BB6_6244 Depth=2
	s_or_b64 exec, exec, s[18:19]
	v_add_f32_e32 v2, v2, v0
	v_and_b32_e32 v7, 0x7f800000, v2
	v_mov_b32_e32 v8, v51
	v_cmp_ne_u64_e32 vcc, s[46:47], v[7:8]
                                        ; implicit-def: $vgpr20
	s_and_saveexec_b64 s[18:19], vcc
	s_xor_b64 s[76:77], exec, s[18:19]
	s_cbranch_execz .LBB6_8750
; %bb.8737:                             ;   in Loop: Header=BB6_6244 Depth=2
	v_and_b32_e32 v7, 0x7fffffff, v2
	v_mov_b32_e32 v8, v51
	v_cmp_gt_u64_e32 vcc, s[56:57], v[7:8]
	v_and_b32_sdwa v0, v2, s50 dst_sel:DWORD dst_unused:UNUSED_PAD src0_sel:BYTE_3 src1_sel:DWORD
                                        ; implicit-def: $vgpr20
	s_and_saveexec_b64 s[18:19], vcc
	s_xor_b64 s[78:79], exec, s[18:19]
	s_cbranch_execz .LBB6_8747
; %bb.8738:                             ;   in Loop: Header=BB6_6244 Depth=2
	v_mov_b32_e32 v20, 0
	v_cmp_ne_u32_e32 vcc, 0, v2
	s_and_saveexec_b64 s[88:89], vcc
	s_cbranch_execz .LBB6_8746
; %bb.8739:                             ;   in Loop: Header=BB6_6244 Depth=2
	v_and_b32_e32 v7, 0x7fffff, v2
	v_bfe_u32 v2, v2, 23, 8
	v_cmp_gt_u32_e64 s[18:19], s51, v2
	v_sub_u32_e32 v3, 0x79, v2
	v_cmp_eq_u32_e32 vcc, 0, v2
	v_cndmask_b32_e64 v3, 0, v3, s[18:19]
	v_mov_b32_e32 v18, 0x78
	v_cndmask_b32_e32 v3, v3, v18, vcc
	v_add_u32_e32 v18, 20, v3
	v_or_b32_e32 v8, 0x800000, v7
	v_lshlrev_b64 v[18:19], v18, -1
	v_add_u32_e32 v20, 19, v3
	v_cndmask_b32_e32 v7, v8, v7, vcc
	v_lshlrev_b64 v[28:29], v20, 1
	v_mov_b32_e32 v8, v51
	v_bfi_b32 v19, v19, 0, 0
	v_bfi_b32 v18, v18, 0, v7
	v_cmp_eq_u64_e64 s[18:19], v[18:19], v[28:29]
	v_lshrrev_b64 v[18:19], v3, v[7:8]
	v_mov_b32_e32 v20, v19
	v_mov_b32_e32 v19, v18
	s_and_saveexec_b64 s[90:91], s[18:19]
; %bb.8740:                             ;   in Loop: Header=BB6_6244 Depth=2
	v_bfe_u32 v7, v18, 20, 1
	v_add_co_u32_e64 v7, s[18:19], v18, v7
	v_add_co_u32_e64 v19, s[18:19], -1, v7
; %bb.8741:                             ;   in Loop: Header=BB6_6244 Depth=2
	s_or_b64 exec, exec, s[90:91]
	v_add_u32_e32 v2, 0xffffff81, v2
	v_mov_b32_e32 v7, 0xffffff82
	v_cndmask_b32_e32 v2, v2, v7, vcc
	v_lshrrev_b32_e32 v7, 23, v18
	v_add3_u32 v7, v3, v2, v7
	v_add_u32_e32 v3, 6, v7
	v_and_b32_e32 v2, 0xfffff, v19
	v_add_u32_e32 v18, v2, v18
	v_mov_b32_e32 v19, v51
	v_cmp_ne_u32_e32 vcc, 0, v3
                                        ; implicit-def: $vgpr2
	s_and_saveexec_b64 s[18:19], vcc
	s_xor_b64 s[18:19], exec, s[18:19]
; %bb.8742:                             ;   in Loop: Header=BB6_6244 Depth=2
	v_cmp_lt_u64_e32 vcc, s[58:59], v[18:19]
	v_add_u32_e32 v2, 7, v7
	v_cndmask_b32_e32 v2, v3, v2, vcc
	v_cndmask_b32_e64 v3, 0, 1, vcc
	v_lshrrev_b64 v[18:19], v3, v[18:19]
; %bb.8743:                             ;   in Loop: Header=BB6_6244 Depth=2
	s_andn2_saveexec_b64 s[18:19], s[18:19]
; %bb.8744:                             ;   in Loop: Header=BB6_6244 Depth=2
	v_bfe_u32 v2, v18, 23, 1
; %bb.8745:                             ;   in Loop: Header=BB6_6244 Depth=2
	s_or_b64 exec, exec, s[18:19]
	v_lshrrev_b64 v[7:8], 20, v[18:19]
	v_cmp_gt_i32_e32 vcc, 16, v2
	v_cndmask_b32_e32 v8, 0, v8, vcc
	v_cndmask_b32_e32 v7, 7, v7, vcc
	v_cmp_eq_u32_e32 vcc, 0, v2
	v_min_i32_e32 v2, 15, v2
	v_cmp_eq_u64_e64 s[18:19], 0, v[7:8]
	v_lshlrev_b32_e32 v2, 3, v2
	v_and_b32_e32 v2, 0xf8, v2
	v_and_or_b32 v2, v7, 7, v2
	s_and_b64 s[18:19], vcc, s[18:19]
	v_cndmask_b32_e64 v2, v2, 0, s[18:19]
	v_or_b32_e32 v20, v2, v0
.LBB6_8746:                             ;   in Loop: Header=BB6_6244 Depth=2
	s_or_b64 exec, exec, s[88:89]
                                        ; implicit-def: $vgpr0
.LBB6_8747:                             ;   in Loop: Header=BB6_6244 Depth=2
	s_andn2_saveexec_b64 s[18:19], s[78:79]
; %bb.8748:                             ;   in Loop: Header=BB6_6244 Depth=2
	v_or_b32_e32 v20, 0x7e, v0
; %bb.8749:                             ;   in Loop: Header=BB6_6244 Depth=2
	s_or_b64 exec, exec, s[18:19]
                                        ; implicit-def: $vgpr2
.LBB6_8750:                             ;   in Loop: Header=BB6_6244 Depth=2
	s_andn2_saveexec_b64 s[18:19], s[76:77]
; %bb.8751:                             ;   in Loop: Header=BB6_6244 Depth=2
	v_or_b32_sdwa v20, v2, s39 dst_sel:DWORD dst_unused:UNUSED_PAD src0_sel:BYTE_3 src1_sel:DWORD
; %bb.8752:                             ;   in Loop: Header=BB6_6244 Depth=2
	s_or_b64 exec, exec, s[18:19]
	v_cmp_lt_u32_e32 vcc, s61, v50
	v_mov_b32_e32 v0, 0
	v_mov_b32_e32 v2, 0
	s_and_saveexec_b64 s[18:19], vcc
	s_cbranch_execz .LBB6_8758
; %bb.8753:                             ;   in Loop: Header=BB6_6244 Depth=2
	v_lshrrev_b32_e32 v18, 24, v50
	v_cmp_ne_u32_sdwa s[78:79], v50, s50 src0_sel:BYTE_3 src1_sel:DWORD
	v_bfrev_b32_e32 v2, 1
	s_and_saveexec_b64 s[76:77], s[78:79]
	s_cbranch_execz .LBB6_8757
; %bb.8754:                             ;   in Loop: Header=BB6_6244 Depth=2
	v_bfe_u32 v3, v50, 24, 7
	v_cmp_ne_u32_e32 vcc, s39, v3
	v_mov_b32_e32 v2, 0x7f800001
	s_and_saveexec_b64 s[78:79], vcc
	s_cbranch_execz .LBB6_8756
; %bb.8755:                             ;   in Loop: Header=BB6_6244 Depth=2
	v_and_b32_e32 v7, 7, v18
	v_ffbh_u32_e32 v2, v7
	v_min_u32_e32 v19, 32, v2
	v_subrev_u32_e32 v2, 28, v19
	v_lshrrev_b32_e32 v8, 3, v3
	v_cmp_gt_u32_e32 vcc, 8, v3
	v_lshlrev_b64 v[2:3], v2, v[18:19]
	v_sub_u32_e32 v3, 29, v19
	v_and_b32_e32 v2, 7, v2
	v_cndmask_b32_e32 v2, v7, v2, vcc
	v_mov_b32_e32 v7, 24
	v_cndmask_b32_e32 v3, v8, v3, vcc
	v_lshlrev_b32_sdwa v7, v7, v50 dst_sel:DWORD dst_unused:UNUSED_PAD src0_sel:DWORD src1_sel:BYTE_3
	v_lshlrev_b32_e32 v2, 20, v2
	v_and_b32_e32 v7, 0x80000000, v7
	v_lshl_add_u32 v3, v3, 23, v62
	v_or3_b32 v2, v7, v3, v2
.LBB6_8756:                             ;   in Loop: Header=BB6_6244 Depth=2
	s_or_b64 exec, exec, s[78:79]
.LBB6_8757:                             ;   in Loop: Header=BB6_6244 Depth=2
	s_or_b64 exec, exec, s[76:77]
.LBB6_8758:                             ;   in Loop: Header=BB6_6244 Depth=2
	s_or_b64 exec, exec, s[18:19]
	v_cmp_lt_u64_e32 vcc, s[60:61], v[14:15]
	s_and_saveexec_b64 s[18:19], vcc
	s_cbranch_execz .LBB6_8764
; %bb.8759:                             ;   in Loop: Header=BB6_6244 Depth=2
	v_lshrrev_b32_e32 v14, 24, v15
	v_cmp_ne_u32_e32 vcc, s50, v14
	v_bfrev_b32_e32 v0, 1
	s_and_saveexec_b64 s[76:77], vcc
	s_cbranch_execz .LBB6_8763
; %bb.8760:                             ;   in Loop: Header=BB6_6244 Depth=2
	v_bfe_u32 v3, v15, 24, 7
	v_cmp_ne_u32_e32 vcc, s39, v3
	v_mov_b32_e32 v0, 0x7f800001
	s_and_saveexec_b64 s[78:79], vcc
	s_cbranch_execz .LBB6_8762
; %bb.8761:                             ;   in Loop: Header=BB6_6244 Depth=2
	v_and_b32_e32 v0, 7, v14
	v_lshrrev_b32_e32 v15, 3, v3
	v_cmp_gt_u32_e32 vcc, 8, v3
	v_ffbh_u32_e32 v3, v0
	v_min_u32_e32 v3, 32, v3
	v_subrev_u32_e32 v7, 28, v3
	v_lshlrev_b64 v[7:8], v7, v[14:15]
	v_sub_u32_e32 v3, 29, v3
	v_and_b32_e32 v7, 7, v7
	v_cndmask_b32_e32 v3, v15, v3, vcc
	v_cndmask_b32_e32 v0, v0, v7, vcc
	v_lshlrev_b32_e32 v7, 24, v14
	v_lshlrev_b32_e32 v0, 20, v0
	v_and_b32_e32 v7, 0x80000000, v7
	v_lshl_add_u32 v3, v3, 23, v62
	v_or3_b32 v0, v7, v3, v0
.LBB6_8762:                             ;   in Loop: Header=BB6_6244 Depth=2
	s_or_b64 exec, exec, s[78:79]
.LBB6_8763:                             ;   in Loop: Header=BB6_6244 Depth=2
	s_or_b64 exec, exec, s[76:77]
.LBB6_8764:                             ;   in Loop: Header=BB6_6244 Depth=2
	s_or_b64 exec, exec, s[18:19]
	v_add_f32_e32 v2, v2, v0
	v_and_b32_e32 v50, 0x7f800000, v2
	v_cmp_ne_u64_e32 vcc, s[46:47], v[50:51]
                                        ; implicit-def: $vgpr58
	s_and_saveexec_b64 s[18:19], vcc
	s_xor_b64 s[76:77], exec, s[18:19]
	s_cbranch_execz .LBB6_8778
; %bb.8765:                             ;   in Loop: Header=BB6_6244 Depth=2
	v_and_b32_e32 v50, 0x7fffffff, v2
	v_cmp_gt_u64_e32 vcc, s[56:57], v[50:51]
	v_and_b32_sdwa v0, v2, s50 dst_sel:DWORD dst_unused:UNUSED_PAD src0_sel:BYTE_3 src1_sel:DWORD
                                        ; implicit-def: $vgpr58
	s_and_saveexec_b64 s[18:19], vcc
	s_xor_b64 s[78:79], exec, s[18:19]
	s_cbranch_execz .LBB6_8775
; %bb.8766:                             ;   in Loop: Header=BB6_6244 Depth=2
	v_mov_b32_e32 v58, 0
	v_cmp_ne_u32_e32 vcc, 0, v2
	s_and_saveexec_b64 s[88:89], vcc
	s_cbranch_execz .LBB6_8774
; %bb.8767:                             ;   in Loop: Header=BB6_6244 Depth=2
	v_and_b32_e32 v7, 0x7fffff, v2
	v_bfe_u32 v2, v2, 23, 8
	v_cmp_gt_u32_e64 s[18:19], s51, v2
	v_sub_u32_e32 v3, 0x79, v2
	v_cmp_eq_u32_e32 vcc, 0, v2
	v_cndmask_b32_e64 v3, 0, v3, s[18:19]
	v_mov_b32_e32 v14, 0x78
	v_or_b32_e32 v8, 0x800000, v7
	v_cndmask_b32_e32 v3, v3, v14, vcc
	v_cndmask_b32_e32 v50, v8, v7, vcc
	v_add_u32_e32 v7, 20, v3
	v_lshlrev_b64 v[7:8], v7, -1
	v_add_u32_e32 v14, 19, v3
	v_lshlrev_b64 v[14:15], v14, 1
	v_bfi_b32 v8, v8, 0, 0
	v_bfi_b32 v7, v7, 0, v50
	v_cmp_eq_u64_e64 s[18:19], v[7:8], v[14:15]
	v_lshrrev_b64 v[14:15], v3, v[50:51]
	v_mov_b32_e32 v19, v15
	v_mov_b32_e32 v18, v14
	s_and_saveexec_b64 s[90:91], s[18:19]
; %bb.8768:                             ;   in Loop: Header=BB6_6244 Depth=2
	v_bfe_u32 v7, v14, 20, 1
	v_add_co_u32_e64 v7, s[18:19], v14, v7
	v_add_co_u32_e64 v18, s[18:19], -1, v7
; %bb.8769:                             ;   in Loop: Header=BB6_6244 Depth=2
	s_or_b64 exec, exec, s[90:91]
	v_add_u32_e32 v2, 0xffffff81, v2
	v_mov_b32_e32 v7, 0xffffff82
	v_cndmask_b32_e32 v2, v2, v7, vcc
	v_lshrrev_b32_e32 v7, 23, v14
	v_add3_u32 v7, v3, v2, v7
	v_add_u32_e32 v3, 6, v7
	v_and_b32_e32 v2, 0xfffff, v18
	v_add_u32_e32 v50, v2, v14
	v_cmp_ne_u32_e32 vcc, 0, v3
                                        ; implicit-def: $vgpr14_vgpr15
                                        ; implicit-def: $vgpr2
	s_and_saveexec_b64 s[18:19], vcc
	s_xor_b64 s[18:19], exec, s[18:19]
; %bb.8770:                             ;   in Loop: Header=BB6_6244 Depth=2
	v_cmp_lt_u64_e32 vcc, s[58:59], v[50:51]
	v_add_u32_e32 v2, 7, v7
	v_cndmask_b32_e32 v2, v3, v2, vcc
	v_cndmask_b32_e64 v3, 0, 1, vcc
	v_lshrrev_b64 v[14:15], v3, v[50:51]
; %bb.8771:                             ;   in Loop: Header=BB6_6244 Depth=2
	s_andn2_saveexec_b64 s[18:19], s[18:19]
; %bb.8772:                             ;   in Loop: Header=BB6_6244 Depth=2
	v_mov_b32_e32 v14, v50
	v_bfe_u32 v2, v50, 23, 1
	v_mov_b32_e32 v15, v51
; %bb.8773:                             ;   in Loop: Header=BB6_6244 Depth=2
	s_or_b64 exec, exec, s[18:19]
	v_lshrrev_b64 v[7:8], 20, v[14:15]
	v_cmp_gt_i32_e32 vcc, 16, v2
	v_cndmask_b32_e32 v8, 0, v8, vcc
	v_cndmask_b32_e32 v7, 7, v7, vcc
	v_cmp_eq_u32_e32 vcc, 0, v2
	v_min_i32_e32 v2, 15, v2
	v_cmp_eq_u64_e64 s[18:19], 0, v[7:8]
	v_lshlrev_b32_e32 v2, 3, v2
	v_and_b32_e32 v2, 0xf8, v2
	v_and_or_b32 v2, v7, 7, v2
	s_and_b64 s[18:19], vcc, s[18:19]
	v_cndmask_b32_e64 v2, v2, 0, s[18:19]
	v_or_b32_e32 v58, v2, v0
.LBB6_8774:                             ;   in Loop: Header=BB6_6244 Depth=2
	s_or_b64 exec, exec, s[88:89]
                                        ; implicit-def: $vgpr0
.LBB6_8775:                             ;   in Loop: Header=BB6_6244 Depth=2
	s_andn2_saveexec_b64 s[18:19], s[78:79]
; %bb.8776:                             ;   in Loop: Header=BB6_6244 Depth=2
	v_or_b32_e32 v58, 0x7e, v0
; %bb.8777:                             ;   in Loop: Header=BB6_6244 Depth=2
	s_or_b64 exec, exec, s[18:19]
                                        ; implicit-def: $vgpr2
.LBB6_8778:                             ;   in Loop: Header=BB6_6244 Depth=2
	s_andn2_saveexec_b64 s[18:19], s[76:77]
; %bb.8779:                             ;   in Loop: Header=BB6_6244 Depth=2
	v_or_b32_sdwa v58, v2, s39 dst_sel:DWORD dst_unused:UNUSED_PAD src0_sel:BYTE_3 src1_sel:DWORD
; %bb.8780:                             ;   in Loop: Header=BB6_6244 Depth=2
	s_or_b64 exec, exec, s[18:19]
	buffer_load_dword v0, off, s[0:3], s33 offset:172 ; 4-byte Folded Reload
	buffer_load_dword v2, off, s[0:3], s33 offset:200 ; 4-byte Folded Reload
	;; [unrolled: 1-line block ×3, first 2 shown]
	v_cmp_ne_u32_e32 vcc, 0, v27
	s_waitcnt vmcnt(2)
	v_lshl_or_b32 v0, v0, 8, v27
	s_waitcnt vmcnt(1)
	v_lshlrev_b32_e32 v2, 16, v2
	s_waitcnt vmcnt(0)
	v_lshlrev_b32_e32 v3, 24, v3
	v_or3_b32 v50, v2, v3, v0
	v_mov_b32_e32 v2, 0
	v_mov_b32_e32 v3, 0
	s_and_saveexec_b64 s[18:19], vcc
	s_cbranch_execz .LBB6_8786
; %bb.8781:                             ;   in Loop: Header=BB6_6244 Depth=2
	v_cmp_ne_u32_e32 vcc, s50, v27
	v_bfrev_b32_e32 v3, 1
	s_and_saveexec_b64 s[76:77], vcc
	s_cbranch_execz .LBB6_8785
; %bb.8782:                             ;   in Loop: Header=BB6_6244 Depth=2
	v_and_b32_e32 v7, 0x7f, v27
	v_cmp_ne_u32_e32 vcc, s39, v7
	v_mov_b32_e32 v3, 0x7f800001
	s_and_saveexec_b64 s[78:79], vcc
	s_cbranch_execz .LBB6_8784
; %bb.8783:                             ;   in Loop: Header=BB6_6244 Depth=2
	v_and_b32_e32 v3, 7, v27
	v_ffbh_u32_e32 v3, v3
	v_min_u32_e32 v3, 32, v3
	v_lshrrev_b32_e32 v8, 3, v7
	v_cmp_gt_u32_e32 vcc, 8, v7
	v_subrev_u32_e32 v7, 28, v3
	v_sub_u32_e32 v3, 29, v3
	v_cndmask_b32_e32 v7, 0, v7, vcc
	v_cndmask_b32_e32 v3, v8, v3, vcc
	v_lshlrev_b64 v[7:8], v7, v[50:51]
	v_lshlrev_b32_e32 v8, 24, v50
	v_lshlrev_b32_e32 v7, 20, v7
	v_and_b32_e32 v7, 0x700000, v7
	v_and_b32_e32 v8, 0x80000000, v8
	v_lshl_add_u32 v3, v3, 23, v62
	v_or3_b32 v3, v8, v3, v7
.LBB6_8784:                             ;   in Loop: Header=BB6_6244 Depth=2
	s_or_b64 exec, exec, s[78:79]
.LBB6_8785:                             ;   in Loop: Header=BB6_6244 Depth=2
	s_or_b64 exec, exec, s[76:77]
.LBB6_8786:                             ;   in Loop: Header=BB6_6244 Depth=2
	s_or_b64 exec, exec, s[18:19]
	v_cmp_ne_u16_sdwa s[76:77], v16, v51 src0_sel:BYTE_0 src1_sel:DWORD
	s_and_saveexec_b64 s[18:19], s[76:77]
	s_cbranch_execz .LBB6_8792
; %bb.8787:                             ;   in Loop: Header=BB6_6244 Depth=2
	v_cmp_ne_u16_sdwa s[78:79], v16, s50 src0_sel:BYTE_0 src1_sel:DWORD
	v_bfrev_b32_e32 v2, 1
	s_and_saveexec_b64 s[76:77], s[78:79]
	s_cbranch_execz .LBB6_8791
; %bb.8788:                             ;   in Loop: Header=BB6_6244 Depth=2
	v_and_b32_e32 v7, 0x7f, v16
	v_cmp_ne_u32_e32 vcc, s39, v7
	v_mov_b32_e32 v2, 0x7f800001
	s_and_saveexec_b64 s[78:79], vcc
	s_cbranch_execz .LBB6_8790
; %bb.8789:                             ;   in Loop: Header=BB6_6244 Depth=2
	v_and_b32_e32 v2, 7, v16
	v_ffbh_u32_e32 v2, v2
	v_min_u32_e32 v2, 32, v2
	v_lshrrev_b32_e32 v8, 3, v7
	v_cmp_gt_u32_e32 vcc, 8, v7
	v_subrev_u32_e32 v7, 28, v2
	v_sub_u32_e32 v2, 29, v2
	v_cndmask_b32_e32 v7, 0, v7, vcc
	v_cndmask_b32_e32 v2, v8, v2, vcc
	v_lshlrev_b64 v[7:8], v7, v[16:17]
	v_lshlrev_b32_e32 v8, 24, v16
	v_lshlrev_b32_e32 v7, 20, v7
	v_and_b32_e32 v7, 0x700000, v7
	v_and_b32_e32 v8, 0x80000000, v8
	v_lshl_add_u32 v2, v2, 23, v62
	v_or3_b32 v2, v8, v2, v7
.LBB6_8790:                             ;   in Loop: Header=BB6_6244 Depth=2
	s_or_b64 exec, exec, s[78:79]
.LBB6_8791:                             ;   in Loop: Header=BB6_6244 Depth=2
	s_or_b64 exec, exec, s[76:77]
.LBB6_8792:                             ;   in Loop: Header=BB6_6244 Depth=2
	s_or_b64 exec, exec, s[18:19]
	v_add_f32_e32 v3, v3, v2
	v_and_b32_e32 v7, 0x7f800000, v3
	v_mov_b32_e32 v8, v51
	v_cmp_ne_u64_e32 vcc, s[46:47], v[7:8]
                                        ; implicit-def: $vgpr27
	s_and_saveexec_b64 s[18:19], vcc
	s_xor_b64 s[76:77], exec, s[18:19]
	s_cbranch_execz .LBB6_8806
; %bb.8793:                             ;   in Loop: Header=BB6_6244 Depth=2
	v_and_b32_e32 v7, 0x7fffffff, v3
	v_mov_b32_e32 v8, v51
	v_cmp_gt_u64_e32 vcc, s[56:57], v[7:8]
	v_and_b32_sdwa v2, v3, s50 dst_sel:DWORD dst_unused:UNUSED_PAD src0_sel:BYTE_3 src1_sel:DWORD
                                        ; implicit-def: $vgpr27
	s_and_saveexec_b64 s[18:19], vcc
	s_xor_b64 s[78:79], exec, s[18:19]
	s_cbranch_execz .LBB6_8803
; %bb.8794:                             ;   in Loop: Header=BB6_6244 Depth=2
	v_mov_b32_e32 v27, 0
	v_cmp_ne_u32_e32 vcc, 0, v3
	s_and_saveexec_b64 s[88:89], vcc
	s_cbranch_execz .LBB6_8802
; %bb.8795:                             ;   in Loop: Header=BB6_6244 Depth=2
	v_and_b32_e32 v8, 0x7fffff, v3
	v_bfe_u32 v3, v3, 23, 8
	v_cmp_gt_u32_e64 s[18:19], s51, v3
	v_sub_u32_e32 v7, 0x79, v3
	v_cmp_eq_u32_e32 vcc, 0, v3
	v_cndmask_b32_e64 v7, 0, v7, s[18:19]
	v_mov_b32_e32 v15, 0x78
	v_or_b32_e32 v14, 0x800000, v8
	v_cndmask_b32_e32 v7, v7, v15, vcc
	v_cndmask_b32_e32 v14, v14, v8, vcc
	v_add_u32_e32 v8, 20, v7
	v_lshlrev_b64 v[18:19], v8, -1
	v_mov_b32_e32 v15, v51
	v_add_u32_e32 v8, 19, v7
	v_bfi_b32 v18, v18, 0, v14
	v_lshlrev_b64 v[27:28], v8, 1
	v_lshrrev_b64 v[14:15], v7, v[14:15]
	v_bfi_b32 v19, v19, 0, 0
	v_cmp_eq_u64_e64 s[18:19], v[18:19], v[27:28]
	v_mov_b32_e32 v19, v15
	v_mov_b32_e32 v18, v14
	s_and_saveexec_b64 s[90:91], s[18:19]
; %bb.8796:                             ;   in Loop: Header=BB6_6244 Depth=2
	v_bfe_u32 v8, v14, 20, 1
	v_add_co_u32_e64 v8, s[18:19], v14, v8
	v_add_co_u32_e64 v18, s[18:19], -1, v8
; %bb.8797:                             ;   in Loop: Header=BB6_6244 Depth=2
	s_or_b64 exec, exec, s[90:91]
	v_add_u32_e32 v3, 0xffffff81, v3
	v_mov_b32_e32 v8, 0xffffff82
	v_cndmask_b32_e32 v3, v3, v8, vcc
	v_lshrrev_b32_e32 v8, 23, v14
	v_add3_u32 v8, v7, v3, v8
	v_add_u32_e32 v7, 6, v8
	v_and_b32_e32 v3, 0xfffff, v18
	v_add_u32_e32 v14, v3, v14
	v_mov_b32_e32 v15, v51
	v_cmp_ne_u32_e32 vcc, 0, v7
                                        ; implicit-def: $vgpr3
	s_and_saveexec_b64 s[18:19], vcc
	s_xor_b64 s[18:19], exec, s[18:19]
; %bb.8798:                             ;   in Loop: Header=BB6_6244 Depth=2
	v_cmp_lt_u64_e32 vcc, s[58:59], v[14:15]
	v_add_u32_e32 v3, 7, v8
	v_cndmask_b32_e32 v3, v7, v3, vcc
	v_cndmask_b32_e64 v7, 0, 1, vcc
	v_lshrrev_b64 v[14:15], v7, v[14:15]
; %bb.8799:                             ;   in Loop: Header=BB6_6244 Depth=2
	s_andn2_saveexec_b64 s[18:19], s[18:19]
; %bb.8800:                             ;   in Loop: Header=BB6_6244 Depth=2
	v_bfe_u32 v3, v14, 23, 1
; %bb.8801:                             ;   in Loop: Header=BB6_6244 Depth=2
	s_or_b64 exec, exec, s[18:19]
	v_lshrrev_b64 v[7:8], 20, v[14:15]
	v_cmp_gt_i32_e32 vcc, 16, v3
	v_cndmask_b32_e32 v8, 0, v8, vcc
	v_cndmask_b32_e32 v7, 7, v7, vcc
	v_cmp_eq_u32_e32 vcc, 0, v3
	v_min_i32_e32 v3, 15, v3
	v_cmp_eq_u64_e64 s[18:19], 0, v[7:8]
	v_lshlrev_b32_e32 v3, 3, v3
	v_and_b32_e32 v3, 0xf8, v3
	v_and_or_b32 v3, v7, 7, v3
	s_and_b64 s[18:19], vcc, s[18:19]
	v_cndmask_b32_e64 v3, v3, 0, s[18:19]
	v_or_b32_e32 v27, v3, v2
.LBB6_8802:                             ;   in Loop: Header=BB6_6244 Depth=2
	s_or_b64 exec, exec, s[88:89]
                                        ; implicit-def: $vgpr2
.LBB6_8803:                             ;   in Loop: Header=BB6_6244 Depth=2
	s_andn2_saveexec_b64 s[18:19], s[78:79]
; %bb.8804:                             ;   in Loop: Header=BB6_6244 Depth=2
	v_or_b32_e32 v27, 0x7e, v2
; %bb.8805:                             ;   in Loop: Header=BB6_6244 Depth=2
	s_or_b64 exec, exec, s[18:19]
                                        ; implicit-def: $vgpr3
.LBB6_8806:                             ;   in Loop: Header=BB6_6244 Depth=2
	s_andn2_saveexec_b64 s[18:19], s[76:77]
; %bb.8807:                             ;   in Loop: Header=BB6_6244 Depth=2
	v_or_b32_sdwa v27, v3, s39 dst_sel:DWORD dst_unused:UNUSED_PAD src0_sel:BYTE_3 src1_sel:DWORD
; %bb.8808:                             ;   in Loop: Header=BB6_6244 Depth=2
	s_or_b64 exec, exec, s[18:19]
	v_lshrrev_b16_e32 v14, 8, v0
	v_cmp_ne_u16_e32 vcc, 0, v14
	v_mov_b32_e32 v2, 0
	v_mov_b32_e32 v3, 0
	s_and_saveexec_b64 s[18:19], vcc
	s_cbranch_execz .LBB6_8814
; %bb.8809:                             ;   in Loop: Header=BB6_6244 Depth=2
	v_cmp_ne_u16_e32 vcc, s50, v14
	v_bfrev_b32_e32 v3, 1
	s_and_saveexec_b64 s[76:77], vcc
	s_cbranch_execz .LBB6_8813
; %bb.8810:                             ;   in Loop: Header=BB6_6244 Depth=2
	v_and_b32_e32 v7, 0x7f, v14
	v_cmp_ne_u32_e32 vcc, s39, v7
	v_mov_b32_e32 v3, 0x7f800001
	s_and_saveexec_b64 s[78:79], vcc
	s_cbranch_execz .LBB6_8812
; %bb.8811:                             ;   in Loop: Header=BB6_6244 Depth=2
	v_and_b32_e32 v3, 7, v14
	v_lshrrev_b32_e32 v15, 3, v7
	v_cmp_gt_u32_e32 vcc, 8, v7
	v_ffbh_u32_e32 v7, v3
	v_min_u32_e32 v18, 32, v7
	v_subrev_u32_e32 v7, 28, v18
	v_lshlrev_b64 v[7:8], v7, v[14:15]
	v_sub_u32_e32 v8, 29, v18
	v_and_b32_e32 v7, 7, v7
	v_cndmask_b32_e32 v8, v15, v8, vcc
	v_cndmask_b32_e32 v3, v3, v7, vcc
	v_lshlrev_b32_e32 v0, 16, v0
	v_lshlrev_b32_e32 v3, 20, v3
	v_and_b32_e32 v0, 0x80000000, v0
	v_lshl_add_u32 v7, v8, 23, v62
	v_or3_b32 v3, v0, v7, v3
.LBB6_8812:                             ;   in Loop: Header=BB6_6244 Depth=2
	s_or_b64 exec, exec, s[78:79]
.LBB6_8813:                             ;   in Loop: Header=BB6_6244 Depth=2
	s_or_b64 exec, exec, s[76:77]
.LBB6_8814:                             ;   in Loop: Header=BB6_6244 Depth=2
	s_or_b64 exec, exec, s[18:19]
	v_lshrrev_b16_e32 v14, 8, v16
	v_cmp_ne_u16_e32 vcc, 0, v14
	s_and_saveexec_b64 s[18:19], vcc
	s_cbranch_execz .LBB6_8820
; %bb.8815:                             ;   in Loop: Header=BB6_6244 Depth=2
	v_cmp_ne_u16_e32 vcc, s50, v14
	v_bfrev_b32_e32 v2, 1
	s_and_saveexec_b64 s[76:77], vcc
	s_cbranch_execz .LBB6_8819
; %bb.8816:                             ;   in Loop: Header=BB6_6244 Depth=2
	v_and_b32_e32 v0, 0x7f, v14
	v_cmp_ne_u32_e32 vcc, s39, v0
	v_mov_b32_e32 v2, 0x7f800001
	s_and_saveexec_b64 s[78:79], vcc
	s_cbranch_execz .LBB6_8818
; %bb.8817:                             ;   in Loop: Header=BB6_6244 Depth=2
	v_and_b32_e32 v2, 7, v14
	v_lshrrev_b32_e32 v15, 3, v0
	v_cmp_gt_u32_e32 vcc, 8, v0
	v_ffbh_u32_e32 v0, v2
	v_min_u32_e32 v0, 32, v0
	v_subrev_u32_e32 v7, 28, v0
	v_lshlrev_b64 v[7:8], v7, v[14:15]
	v_sub_u32_e32 v0, 29, v0
	v_and_b32_e32 v7, 7, v7
	v_cndmask_b32_e32 v0, v15, v0, vcc
	v_cndmask_b32_e32 v2, v2, v7, vcc
	v_lshlrev_b32_e32 v7, 16, v16
	v_lshlrev_b32_e32 v2, 20, v2
	v_and_b32_e32 v7, 0x80000000, v7
	v_lshl_add_u32 v0, v0, 23, v62
	v_or3_b32 v2, v7, v0, v2
.LBB6_8818:                             ;   in Loop: Header=BB6_6244 Depth=2
	s_or_b64 exec, exec, s[78:79]
.LBB6_8819:                             ;   in Loop: Header=BB6_6244 Depth=2
	s_or_b64 exec, exec, s[76:77]
.LBB6_8820:                             ;   in Loop: Header=BB6_6244 Depth=2
	s_or_b64 exec, exec, s[18:19]
	v_add_f32_e32 v2, v3, v2
	v_and_b32_e32 v7, 0x7f800000, v2
	v_mov_b32_e32 v8, v51
	v_cmp_ne_u64_e32 vcc, s[46:47], v[7:8]
                                        ; implicit-def: $vgpr61
	s_and_saveexec_b64 s[18:19], vcc
	s_xor_b64 s[76:77], exec, s[18:19]
	s_cbranch_execz .LBB6_8834
; %bb.8821:                             ;   in Loop: Header=BB6_6244 Depth=2
	v_and_b32_e32 v7, 0x7fffffff, v2
	v_mov_b32_e32 v8, v51
	v_cmp_gt_u64_e32 vcc, s[56:57], v[7:8]
	v_and_b32_sdwa v0, v2, s50 dst_sel:DWORD dst_unused:UNUSED_PAD src0_sel:BYTE_3 src1_sel:DWORD
                                        ; implicit-def: $vgpr61
	s_and_saveexec_b64 s[18:19], vcc
	s_xor_b64 s[78:79], exec, s[18:19]
	s_cbranch_execz .LBB6_8831
; %bb.8822:                             ;   in Loop: Header=BB6_6244 Depth=2
	v_mov_b32_e32 v61, 0
	v_cmp_ne_u32_e32 vcc, 0, v2
	s_and_saveexec_b64 s[88:89], vcc
	s_cbranch_execz .LBB6_8830
; %bb.8823:                             ;   in Loop: Header=BB6_6244 Depth=2
	v_and_b32_e32 v7, 0x7fffff, v2
	v_bfe_u32 v2, v2, 23, 8
	v_cmp_gt_u32_e64 s[18:19], s51, v2
	v_sub_u32_e32 v3, 0x79, v2
	v_cmp_eq_u32_e32 vcc, 0, v2
	v_cndmask_b32_e64 v3, 0, v3, s[18:19]
	v_mov_b32_e32 v14, 0x78
	v_cndmask_b32_e32 v3, v3, v14, vcc
	v_add_u32_e32 v14, 20, v3
	v_or_b32_e32 v8, 0x800000, v7
	v_lshlrev_b64 v[14:15], v14, -1
	v_add_u32_e32 v18, 19, v3
	v_cndmask_b32_e32 v7, v8, v7, vcc
	v_lshlrev_b64 v[18:19], v18, 1
	v_mov_b32_e32 v8, v51
	v_bfi_b32 v15, v15, 0, 0
	v_bfi_b32 v14, v14, 0, v7
	v_cmp_eq_u64_e64 s[18:19], v[14:15], v[18:19]
	v_lshrrev_b64 v[14:15], v3, v[7:8]
	v_mov_b32_e32 v19, v15
	v_mov_b32_e32 v18, v14
	s_and_saveexec_b64 s[90:91], s[18:19]
; %bb.8824:                             ;   in Loop: Header=BB6_6244 Depth=2
	v_bfe_u32 v7, v14, 20, 1
	v_add_co_u32_e64 v7, s[18:19], v14, v7
	v_add_co_u32_e64 v18, s[18:19], -1, v7
; %bb.8825:                             ;   in Loop: Header=BB6_6244 Depth=2
	s_or_b64 exec, exec, s[90:91]
	v_add_u32_e32 v2, 0xffffff81, v2
	v_mov_b32_e32 v7, 0xffffff82
	v_cndmask_b32_e32 v2, v2, v7, vcc
	v_lshrrev_b32_e32 v7, 23, v14
	v_add3_u32 v7, v3, v2, v7
	v_add_u32_e32 v3, 6, v7
	v_and_b32_e32 v2, 0xfffff, v18
	v_add_u32_e32 v14, v2, v14
	v_mov_b32_e32 v15, v51
	v_cmp_ne_u32_e32 vcc, 0, v3
                                        ; implicit-def: $vgpr2
	s_and_saveexec_b64 s[18:19], vcc
	s_xor_b64 s[18:19], exec, s[18:19]
; %bb.8826:                             ;   in Loop: Header=BB6_6244 Depth=2
	v_cmp_lt_u64_e32 vcc, s[58:59], v[14:15]
	v_add_u32_e32 v2, 7, v7
	v_cndmask_b32_e32 v2, v3, v2, vcc
	v_cndmask_b32_e64 v3, 0, 1, vcc
	v_lshrrev_b64 v[14:15], v3, v[14:15]
; %bb.8827:                             ;   in Loop: Header=BB6_6244 Depth=2
	s_andn2_saveexec_b64 s[18:19], s[18:19]
; %bb.8828:                             ;   in Loop: Header=BB6_6244 Depth=2
	v_bfe_u32 v2, v14, 23, 1
; %bb.8829:                             ;   in Loop: Header=BB6_6244 Depth=2
	s_or_b64 exec, exec, s[18:19]
	v_lshrrev_b64 v[7:8], 20, v[14:15]
	v_cmp_gt_i32_e32 vcc, 16, v2
	v_cndmask_b32_e32 v8, 0, v8, vcc
	v_cndmask_b32_e32 v7, 7, v7, vcc
	v_cmp_eq_u32_e32 vcc, 0, v2
	v_min_i32_e32 v2, 15, v2
	v_cmp_eq_u64_e64 s[18:19], 0, v[7:8]
	v_lshlrev_b32_e32 v2, 3, v2
	v_and_b32_e32 v2, 0xf8, v2
	v_and_or_b32 v2, v7, 7, v2
	s_and_b64 s[18:19], vcc, s[18:19]
	v_cndmask_b32_e64 v2, v2, 0, s[18:19]
	v_or_b32_e32 v61, v2, v0
.LBB6_8830:                             ;   in Loop: Header=BB6_6244 Depth=2
	s_or_b64 exec, exec, s[88:89]
                                        ; implicit-def: $vgpr0
.LBB6_8831:                             ;   in Loop: Header=BB6_6244 Depth=2
	s_andn2_saveexec_b64 s[18:19], s[78:79]
; %bb.8832:                             ;   in Loop: Header=BB6_6244 Depth=2
	v_or_b32_e32 v61, 0x7e, v0
; %bb.8833:                             ;   in Loop: Header=BB6_6244 Depth=2
	s_or_b64 exec, exec, s[18:19]
                                        ; implicit-def: $vgpr2
.LBB6_8834:                             ;   in Loop: Header=BB6_6244 Depth=2
	s_andn2_saveexec_b64 s[18:19], s[76:77]
; %bb.8835:                             ;   in Loop: Header=BB6_6244 Depth=2
	v_or_b32_sdwa v61, v2, s39 dst_sel:DWORD dst_unused:UNUSED_PAD src0_sel:BYTE_3 src1_sel:DWORD
; %bb.8836:                             ;   in Loop: Header=BB6_6244 Depth=2
	s_or_b64 exec, exec, s[18:19]
	v_lshrrev_b32_e32 v14, 16, v50
	v_cmp_ne_u16_sdwa s[76:77], v14, v51 src0_sel:BYTE_0 src1_sel:DWORD
	v_mov_b32_e32 v0, 0
	v_mov_b32_e32 v2, 0
	s_and_saveexec_b64 s[18:19], s[76:77]
	s_cbranch_execz .LBB6_8842
; %bb.8837:                             ;   in Loop: Header=BB6_6244 Depth=2
	v_cmp_ne_u16_sdwa s[78:79], v14, s50 src0_sel:BYTE_0 src1_sel:DWORD
	v_bfrev_b32_e32 v2, 1
	s_and_saveexec_b64 s[76:77], s[78:79]
	s_cbranch_execz .LBB6_8841
; %bb.8838:                             ;   in Loop: Header=BB6_6244 Depth=2
	v_bfe_u32 v3, v50, 16, 7
	v_cmp_ne_u32_e32 vcc, s39, v3
	v_mov_b32_e32 v2, 0x7f800001
	s_and_saveexec_b64 s[78:79], vcc
	s_cbranch_execz .LBB6_8840
; %bb.8839:                             ;   in Loop: Header=BB6_6244 Depth=2
	v_and_b32_e32 v7, 7, v14
	v_ffbh_u32_e32 v2, v7
	v_min_u32_e32 v15, 32, v2
	v_subrev_u32_e32 v2, 28, v15
	v_lshrrev_b32_e32 v8, 3, v3
	v_cmp_gt_u32_e32 vcc, 8, v3
	v_lshlrev_b64 v[2:3], v2, v[14:15]
	v_sub_u32_e32 v3, 29, v15
	v_and_b32_e32 v2, 7, v2
	v_cndmask_b32_e32 v3, v8, v3, vcc
	v_cndmask_b32_e32 v2, v7, v2, vcc
	v_lshlrev_b32_e32 v7, 24, v14
	v_lshlrev_b32_e32 v2, 20, v2
	v_and_b32_e32 v7, 0x80000000, v7
	v_lshl_add_u32 v3, v3, 23, v62
	v_or3_b32 v2, v7, v3, v2
.LBB6_8840:                             ;   in Loop: Header=BB6_6244 Depth=2
	s_or_b64 exec, exec, s[78:79]
.LBB6_8841:                             ;   in Loop: Header=BB6_6244 Depth=2
	s_or_b64 exec, exec, s[76:77]
.LBB6_8842:                             ;   in Loop: Header=BB6_6244 Depth=2
	s_or_b64 exec, exec, s[18:19]
	v_lshrrev_b32_e32 v14, 16, v16
	v_cmp_ne_u16_sdwa s[76:77], v14, v51 src0_sel:BYTE_0 src1_sel:DWORD
	s_and_saveexec_b64 s[18:19], s[76:77]
	s_cbranch_execz .LBB6_8848
; %bb.8843:                             ;   in Loop: Header=BB6_6244 Depth=2
	v_cmp_ne_u16_sdwa s[78:79], v14, s50 src0_sel:BYTE_0 src1_sel:DWORD
	v_bfrev_b32_e32 v0, 1
	s_and_saveexec_b64 s[76:77], s[78:79]
	s_cbranch_execz .LBB6_8847
; %bb.8844:                             ;   in Loop: Header=BB6_6244 Depth=2
	v_bfe_u32 v3, v16, 16, 7
	v_cmp_ne_u32_e32 vcc, s39, v3
	v_mov_b32_e32 v0, 0x7f800001
	s_and_saveexec_b64 s[78:79], vcc
	s_cbranch_execz .LBB6_8846
; %bb.8845:                             ;   in Loop: Header=BB6_6244 Depth=2
	v_and_b32_e32 v0, 7, v14
	v_lshrrev_b32_e32 v15, 3, v3
	v_cmp_gt_u32_e32 vcc, 8, v3
	v_ffbh_u32_e32 v3, v0
	v_min_u32_e32 v3, 32, v3
	v_subrev_u32_e32 v7, 28, v3
	v_lshlrev_b64 v[7:8], v7, v[14:15]
	v_sub_u32_e32 v3, 29, v3
	v_and_b32_e32 v7, 7, v7
	v_cndmask_b32_e32 v3, v15, v3, vcc
	v_cndmask_b32_e32 v0, v0, v7, vcc
	v_lshlrev_b32_e32 v7, 8, v16
	v_lshlrev_b32_e32 v0, 20, v0
	v_and_b32_e32 v7, 0x80000000, v7
	v_lshl_add_u32 v3, v3, 23, v62
	v_or3_b32 v0, v7, v3, v0
.LBB6_8846:                             ;   in Loop: Header=BB6_6244 Depth=2
	s_or_b64 exec, exec, s[78:79]
.LBB6_8847:                             ;   in Loop: Header=BB6_6244 Depth=2
	s_or_b64 exec, exec, s[76:77]
.LBB6_8848:                             ;   in Loop: Header=BB6_6244 Depth=2
	s_or_b64 exec, exec, s[18:19]
	v_add_f32_e32 v2, v2, v0
	v_and_b32_e32 v7, 0x7f800000, v2
	v_mov_b32_e32 v8, v51
	v_cmp_ne_u64_e32 vcc, s[46:47], v[7:8]
                                        ; implicit-def: $vgpr31
	s_and_saveexec_b64 s[18:19], vcc
	s_xor_b64 s[76:77], exec, s[18:19]
	s_cbranch_execz .LBB6_8862
; %bb.8849:                             ;   in Loop: Header=BB6_6244 Depth=2
	v_and_b32_e32 v7, 0x7fffffff, v2
	v_mov_b32_e32 v8, v51
	v_cmp_gt_u64_e32 vcc, s[56:57], v[7:8]
	v_and_b32_sdwa v0, v2, s50 dst_sel:DWORD dst_unused:UNUSED_PAD src0_sel:BYTE_3 src1_sel:DWORD
                                        ; implicit-def: $vgpr31
	s_and_saveexec_b64 s[18:19], vcc
	s_xor_b64 s[78:79], exec, s[18:19]
	s_cbranch_execz .LBB6_8859
; %bb.8850:                             ;   in Loop: Header=BB6_6244 Depth=2
	v_mov_b32_e32 v31, 0
	v_cmp_ne_u32_e32 vcc, 0, v2
	s_and_saveexec_b64 s[88:89], vcc
	s_cbranch_execz .LBB6_8858
; %bb.8851:                             ;   in Loop: Header=BB6_6244 Depth=2
	v_and_b32_e32 v7, 0x7fffff, v2
	v_bfe_u32 v2, v2, 23, 8
	v_cmp_gt_u32_e64 s[18:19], s51, v2
	v_sub_u32_e32 v3, 0x79, v2
	v_cmp_eq_u32_e32 vcc, 0, v2
	v_cndmask_b32_e64 v3, 0, v3, s[18:19]
	v_mov_b32_e32 v14, 0x78
	v_cndmask_b32_e32 v3, v3, v14, vcc
	v_add_u32_e32 v14, 20, v3
	v_or_b32_e32 v8, 0x800000, v7
	v_lshlrev_b64 v[14:15], v14, -1
	v_add_u32_e32 v18, 19, v3
	v_cndmask_b32_e32 v7, v8, v7, vcc
	v_lshlrev_b64 v[18:19], v18, 1
	v_mov_b32_e32 v8, v51
	v_bfi_b32 v15, v15, 0, 0
	v_bfi_b32 v14, v14, 0, v7
	v_cmp_eq_u64_e64 s[18:19], v[14:15], v[18:19]
	v_lshrrev_b64 v[14:15], v3, v[7:8]
	v_mov_b32_e32 v19, v15
	v_mov_b32_e32 v18, v14
	s_and_saveexec_b64 s[90:91], s[18:19]
; %bb.8852:                             ;   in Loop: Header=BB6_6244 Depth=2
	v_bfe_u32 v7, v14, 20, 1
	v_add_co_u32_e64 v7, s[18:19], v14, v7
	v_add_co_u32_e64 v18, s[18:19], -1, v7
; %bb.8853:                             ;   in Loop: Header=BB6_6244 Depth=2
	s_or_b64 exec, exec, s[90:91]
	v_add_u32_e32 v2, 0xffffff81, v2
	v_mov_b32_e32 v7, 0xffffff82
	v_cndmask_b32_e32 v2, v2, v7, vcc
	v_lshrrev_b32_e32 v7, 23, v14
	v_add3_u32 v7, v3, v2, v7
	v_add_u32_e32 v3, 6, v7
	v_and_b32_e32 v2, 0xfffff, v18
	v_add_u32_e32 v14, v2, v14
	v_mov_b32_e32 v15, v51
	v_cmp_ne_u32_e32 vcc, 0, v3
                                        ; implicit-def: $vgpr2
	s_and_saveexec_b64 s[18:19], vcc
	s_xor_b64 s[18:19], exec, s[18:19]
; %bb.8854:                             ;   in Loop: Header=BB6_6244 Depth=2
	v_cmp_lt_u64_e32 vcc, s[58:59], v[14:15]
	v_add_u32_e32 v2, 7, v7
	v_cndmask_b32_e32 v2, v3, v2, vcc
	v_cndmask_b32_e64 v3, 0, 1, vcc
	v_lshrrev_b64 v[14:15], v3, v[14:15]
; %bb.8855:                             ;   in Loop: Header=BB6_6244 Depth=2
	s_andn2_saveexec_b64 s[18:19], s[18:19]
; %bb.8856:                             ;   in Loop: Header=BB6_6244 Depth=2
	v_bfe_u32 v2, v14, 23, 1
; %bb.8857:                             ;   in Loop: Header=BB6_6244 Depth=2
	s_or_b64 exec, exec, s[18:19]
	v_lshrrev_b64 v[7:8], 20, v[14:15]
	v_cmp_gt_i32_e32 vcc, 16, v2
	v_cndmask_b32_e32 v8, 0, v8, vcc
	v_cndmask_b32_e32 v7, 7, v7, vcc
	v_cmp_eq_u32_e32 vcc, 0, v2
	v_min_i32_e32 v2, 15, v2
	v_cmp_eq_u64_e64 s[18:19], 0, v[7:8]
	v_lshlrev_b32_e32 v2, 3, v2
	v_and_b32_e32 v2, 0xf8, v2
	v_and_or_b32 v2, v7, 7, v2
	s_and_b64 s[18:19], vcc, s[18:19]
	v_cndmask_b32_e64 v2, v2, 0, s[18:19]
	v_or_b32_e32 v31, v2, v0
.LBB6_8858:                             ;   in Loop: Header=BB6_6244 Depth=2
	s_or_b64 exec, exec, s[88:89]
                                        ; implicit-def: $vgpr0
.LBB6_8859:                             ;   in Loop: Header=BB6_6244 Depth=2
	s_andn2_saveexec_b64 s[18:19], s[78:79]
; %bb.8860:                             ;   in Loop: Header=BB6_6244 Depth=2
	v_or_b32_e32 v31, 0x7e, v0
; %bb.8861:                             ;   in Loop: Header=BB6_6244 Depth=2
	s_or_b64 exec, exec, s[18:19]
                                        ; implicit-def: $vgpr2
.LBB6_8862:                             ;   in Loop: Header=BB6_6244 Depth=2
	s_andn2_saveexec_b64 s[18:19], s[76:77]
; %bb.8863:                             ;   in Loop: Header=BB6_6244 Depth=2
	v_or_b32_sdwa v31, v2, s39 dst_sel:DWORD dst_unused:UNUSED_PAD src0_sel:BYTE_3 src1_sel:DWORD
; %bb.8864:                             ;   in Loop: Header=BB6_6244 Depth=2
	s_or_b64 exec, exec, s[18:19]
	v_cmp_lt_u32_e32 vcc, s61, v50
	v_mov_b32_e32 v0, 0
	v_mov_b32_e32 v2, 0
	s_and_saveexec_b64 s[18:19], vcc
	s_cbranch_execz .LBB6_8870
; %bb.8865:                             ;   in Loop: Header=BB6_6244 Depth=2
	v_lshrrev_b32_e32 v14, 24, v50
	v_cmp_ne_u32_sdwa s[78:79], v50, s50 src0_sel:BYTE_3 src1_sel:DWORD
	v_bfrev_b32_e32 v2, 1
	s_and_saveexec_b64 s[76:77], s[78:79]
	s_cbranch_execz .LBB6_8869
; %bb.8866:                             ;   in Loop: Header=BB6_6244 Depth=2
	v_bfe_u32 v3, v50, 24, 7
	v_cmp_ne_u32_e32 vcc, s39, v3
	v_mov_b32_e32 v2, 0x7f800001
	s_and_saveexec_b64 s[78:79], vcc
	s_cbranch_execz .LBB6_8868
; %bb.8867:                             ;   in Loop: Header=BB6_6244 Depth=2
	v_and_b32_e32 v7, 7, v14
	v_ffbh_u32_e32 v2, v7
	v_min_u32_e32 v15, 32, v2
	v_subrev_u32_e32 v2, 28, v15
	v_lshrrev_b32_e32 v8, 3, v3
	v_cmp_gt_u32_e32 vcc, 8, v3
	v_lshlrev_b64 v[2:3], v2, v[14:15]
	v_sub_u32_e32 v3, 29, v15
	v_and_b32_e32 v2, 7, v2
	v_cndmask_b32_e32 v2, v7, v2, vcc
	v_mov_b32_e32 v7, 24
	v_cndmask_b32_e32 v3, v8, v3, vcc
	v_lshlrev_b32_sdwa v7, v7, v50 dst_sel:DWORD dst_unused:UNUSED_PAD src0_sel:DWORD src1_sel:BYTE_3
	v_lshlrev_b32_e32 v2, 20, v2
	v_and_b32_e32 v7, 0x80000000, v7
	v_lshl_add_u32 v3, v3, 23, v62
	v_or3_b32 v2, v7, v3, v2
.LBB6_8868:                             ;   in Loop: Header=BB6_6244 Depth=2
	s_or_b64 exec, exec, s[78:79]
.LBB6_8869:                             ;   in Loop: Header=BB6_6244 Depth=2
	s_or_b64 exec, exec, s[76:77]
.LBB6_8870:                             ;   in Loop: Header=BB6_6244 Depth=2
	s_or_b64 exec, exec, s[18:19]
	v_cmp_lt_u32_e32 vcc, s61, v16
	s_and_saveexec_b64 s[18:19], vcc
	s_cbranch_execz .LBB6_8876
; %bb.8871:                             ;   in Loop: Header=BB6_6244 Depth=2
	v_lshrrev_b32_e32 v14, 24, v16
	v_cmp_ne_u32_e32 vcc, s50, v14
	v_bfrev_b32_e32 v0, 1
	s_and_saveexec_b64 s[76:77], vcc
	s_cbranch_execz .LBB6_8875
; %bb.8872:                             ;   in Loop: Header=BB6_6244 Depth=2
	v_bfe_u32 v3, v16, 24, 7
	v_cmp_ne_u32_e32 vcc, s39, v3
	v_mov_b32_e32 v0, 0x7f800001
	s_and_saveexec_b64 s[78:79], vcc
	s_cbranch_execz .LBB6_8874
; %bb.8873:                             ;   in Loop: Header=BB6_6244 Depth=2
	v_and_b32_e32 v0, 7, v14
	v_lshrrev_b32_e32 v15, 3, v3
	v_cmp_gt_u32_e32 vcc, 8, v3
	v_ffbh_u32_e32 v3, v0
	v_min_u32_e32 v3, 32, v3
	v_subrev_u32_e32 v7, 28, v3
	v_lshlrev_b64 v[7:8], v7, v[14:15]
	v_sub_u32_e32 v3, 29, v3
	v_and_b32_e32 v7, 7, v7
	v_cndmask_b32_e32 v3, v15, v3, vcc
	v_cndmask_b32_e32 v0, v0, v7, vcc
	v_lshlrev_b32_e32 v7, 24, v14
	v_lshlrev_b32_e32 v0, 20, v0
	v_and_b32_e32 v7, 0x80000000, v7
	v_lshl_add_u32 v3, v3, 23, v62
	v_or3_b32 v0, v7, v3, v0
.LBB6_8874:                             ;   in Loop: Header=BB6_6244 Depth=2
	s_or_b64 exec, exec, s[78:79]
.LBB6_8875:                             ;   in Loop: Header=BB6_6244 Depth=2
	s_or_b64 exec, exec, s[76:77]
.LBB6_8876:                             ;   in Loop: Header=BB6_6244 Depth=2
	s_or_b64 exec, exec, s[18:19]
	v_add_f32_e32 v2, v2, v0
	v_and_b32_e32 v50, 0x7f800000, v2
	v_cmp_ne_u64_e32 vcc, s[46:47], v[50:51]
                                        ; implicit-def: $vgpr3
	s_and_saveexec_b64 s[18:19], vcc
	s_xor_b64 s[76:77], exec, s[18:19]
	s_cbranch_execz .LBB6_8890
; %bb.8877:                             ;   in Loop: Header=BB6_6244 Depth=2
	v_and_b32_e32 v50, 0x7fffffff, v2
	v_cmp_gt_u64_e32 vcc, s[56:57], v[50:51]
	v_and_b32_sdwa v0, v2, s50 dst_sel:DWORD dst_unused:UNUSED_PAD src0_sel:BYTE_3 src1_sel:DWORD
                                        ; implicit-def: $vgpr3
	s_and_saveexec_b64 s[18:19], vcc
	s_xor_b64 s[78:79], exec, s[18:19]
	s_cbranch_execz .LBB6_8887
; %bb.8878:                             ;   in Loop: Header=BB6_6244 Depth=2
	v_mov_b32_e32 v3, 0
	v_cmp_ne_u32_e32 vcc, 0, v2
	s_and_saveexec_b64 s[88:89], vcc
	s_cbranch_execz .LBB6_8886
; %bb.8879:                             ;   in Loop: Header=BB6_6244 Depth=2
	v_and_b32_e32 v7, 0x7fffff, v2
	v_bfe_u32 v2, v2, 23, 8
	v_cmp_gt_u32_e64 s[18:19], s51, v2
	v_sub_u32_e32 v3, 0x79, v2
	v_cmp_eq_u32_e32 vcc, 0, v2
	v_cndmask_b32_e64 v3, 0, v3, s[18:19]
	v_mov_b32_e32 v14, 0x78
	v_or_b32_e32 v8, 0x800000, v7
	v_cndmask_b32_e32 v3, v3, v14, vcc
	v_cndmask_b32_e32 v50, v8, v7, vcc
	v_add_u32_e32 v7, 20, v3
	v_lshlrev_b64 v[7:8], v7, -1
	v_add_u32_e32 v14, 19, v3
	v_lshlrev_b64 v[14:15], v14, 1
	v_bfi_b32 v8, v8, 0, 0
	v_bfi_b32 v7, v7, 0, v50
	v_cmp_eq_u64_e64 s[18:19], v[7:8], v[14:15]
	v_lshrrev_b64 v[14:15], v3, v[50:51]
	v_mov_b32_e32 v19, v15
	v_mov_b32_e32 v18, v14
	s_and_saveexec_b64 s[90:91], s[18:19]
; %bb.8880:                             ;   in Loop: Header=BB6_6244 Depth=2
	v_bfe_u32 v7, v14, 20, 1
	v_add_co_u32_e64 v7, s[18:19], v14, v7
	v_add_co_u32_e64 v18, s[18:19], -1, v7
; %bb.8881:                             ;   in Loop: Header=BB6_6244 Depth=2
	s_or_b64 exec, exec, s[90:91]
	v_add_u32_e32 v2, 0xffffff81, v2
	v_mov_b32_e32 v7, 0xffffff82
	v_cndmask_b32_e32 v2, v2, v7, vcc
	v_lshrrev_b32_e32 v7, 23, v14
	v_add3_u32 v7, v3, v2, v7
	v_add_u32_e32 v3, 6, v7
	v_and_b32_e32 v2, 0xfffff, v18
	v_add_u32_e32 v50, v2, v14
	v_cmp_ne_u32_e32 vcc, 0, v3
                                        ; implicit-def: $vgpr14_vgpr15
                                        ; implicit-def: $vgpr2
	s_and_saveexec_b64 s[18:19], vcc
	s_xor_b64 s[18:19], exec, s[18:19]
; %bb.8882:                             ;   in Loop: Header=BB6_6244 Depth=2
	v_cmp_lt_u64_e32 vcc, s[58:59], v[50:51]
	v_add_u32_e32 v2, 7, v7
	v_cndmask_b32_e32 v2, v3, v2, vcc
	v_cndmask_b32_e64 v3, 0, 1, vcc
	v_lshrrev_b64 v[14:15], v3, v[50:51]
; %bb.8883:                             ;   in Loop: Header=BB6_6244 Depth=2
	s_andn2_saveexec_b64 s[18:19], s[18:19]
; %bb.8884:                             ;   in Loop: Header=BB6_6244 Depth=2
	v_mov_b32_e32 v14, v50
	v_bfe_u32 v2, v50, 23, 1
	v_mov_b32_e32 v15, v51
; %bb.8885:                             ;   in Loop: Header=BB6_6244 Depth=2
	s_or_b64 exec, exec, s[18:19]
	v_lshrrev_b64 v[7:8], 20, v[14:15]
	v_cmp_gt_i32_e32 vcc, 16, v2
	v_cndmask_b32_e32 v8, 0, v8, vcc
	v_cndmask_b32_e32 v7, 7, v7, vcc
	v_cmp_eq_u32_e32 vcc, 0, v2
	v_min_i32_e32 v2, 15, v2
	v_cmp_eq_u64_e64 s[18:19], 0, v[7:8]
	v_lshlrev_b32_e32 v2, 3, v2
	v_and_b32_e32 v2, 0xf8, v2
	v_and_or_b32 v2, v7, 7, v2
	s_and_b64 s[18:19], vcc, s[18:19]
	v_cndmask_b32_e64 v2, v2, 0, s[18:19]
	v_or_b32_e32 v3, v2, v0
.LBB6_8886:                             ;   in Loop: Header=BB6_6244 Depth=2
	s_or_b64 exec, exec, s[88:89]
                                        ; implicit-def: $vgpr0
.LBB6_8887:                             ;   in Loop: Header=BB6_6244 Depth=2
	s_andn2_saveexec_b64 s[18:19], s[78:79]
; %bb.8888:                             ;   in Loop: Header=BB6_6244 Depth=2
	v_or_b32_e32 v3, 0x7e, v0
; %bb.8889:                             ;   in Loop: Header=BB6_6244 Depth=2
	s_or_b64 exec, exec, s[18:19]
                                        ; implicit-def: $vgpr2
.LBB6_8890:                             ;   in Loop: Header=BB6_6244 Depth=2
	s_andn2_saveexec_b64 s[18:19], s[76:77]
; %bb.8891:                             ;   in Loop: Header=BB6_6244 Depth=2
	v_or_b32_sdwa v3, v2, s39 dst_sel:DWORD dst_unused:UNUSED_PAD src0_sel:BYTE_3 src1_sel:DWORD
; %bb.8892:                             ;   in Loop: Header=BB6_6244 Depth=2
	s_or_b64 exec, exec, s[18:19]
	buffer_load_dword v0, off, s[0:3], s33 offset:204 ; 4-byte Folded Reload
	v_cmp_ne_u32_e32 vcc, 0, v49
	s_waitcnt vmcnt(0)
	v_lshlrev_b32_e32 v2, 24, v0
	buffer_load_dword v0, off, s[0:3], s33 offset:184 ; 4-byte Folded Reload
	s_waitcnt vmcnt(0)
	v_lshlrev_b32_e32 v7, 16, v0
	buffer_load_dword v0, off, s[0:3], s33 offset:152 ; 4-byte Folded Reload
	s_waitcnt vmcnt(0)
	v_lshl_or_b32 v0, v0, 8, v49
	v_or3_b32 v50, v7, v2, v0
	v_mov_b32_e32 v7, 0
	v_mov_b32_e32 v2, 0
	s_and_saveexec_b64 s[18:19], vcc
	s_cbranch_execz .LBB6_8898
; %bb.8893:                             ;   in Loop: Header=BB6_6244 Depth=2
	v_cmp_ne_u32_e32 vcc, s50, v49
	v_bfrev_b32_e32 v2, 1
	s_and_saveexec_b64 s[76:77], vcc
	s_cbranch_execz .LBB6_8897
; %bb.8894:                             ;   in Loop: Header=BB6_6244 Depth=2
	v_and_b32_e32 v8, 0x7f, v49
	v_cmp_ne_u32_e32 vcc, s39, v8
	v_mov_b32_e32 v2, 0x7f800001
	s_and_saveexec_b64 s[78:79], vcc
	s_cbranch_execz .LBB6_8896
; %bb.8895:                             ;   in Loop: Header=BB6_6244 Depth=2
	v_and_b32_e32 v2, 7, v49
	v_ffbh_u32_e32 v2, v2
	v_min_u32_e32 v2, 32, v2
	v_lshrrev_b32_e32 v14, 3, v8
	v_cmp_gt_u32_e32 vcc, 8, v8
	v_subrev_u32_e32 v8, 28, v2
	v_sub_u32_e32 v2, 29, v2
	v_cndmask_b32_e32 v8, 0, v8, vcc
	v_cndmask_b32_e32 v2, v14, v2, vcc
	v_lshlrev_b64 v[14:15], v8, v[50:51]
	v_lshl_add_u32 v2, v2, 23, v62
	v_lshlrev_b32_e32 v8, 20, v14
	v_lshlrev_b32_e32 v14, 24, v50
	v_and_b32_e32 v8, 0x700000, v8
	v_and_b32_e32 v14, 0x80000000, v14
	v_or3_b32 v2, v14, v2, v8
.LBB6_8896:                             ;   in Loop: Header=BB6_6244 Depth=2
	s_or_b64 exec, exec, s[78:79]
.LBB6_8897:                             ;   in Loop: Header=BB6_6244 Depth=2
	s_or_b64 exec, exec, s[76:77]
.LBB6_8898:                             ;   in Loop: Header=BB6_6244 Depth=2
	s_or_b64 exec, exec, s[18:19]
	v_cmp_ne_u16_sdwa s[76:77], v17, v51 src0_sel:BYTE_0 src1_sel:DWORD
	s_and_saveexec_b64 s[18:19], s[76:77]
	s_cbranch_execz .LBB6_8904
; %bb.8899:                             ;   in Loop: Header=BB6_6244 Depth=2
	v_cmp_ne_u16_sdwa s[78:79], v17, s50 src0_sel:BYTE_0 src1_sel:DWORD
	v_bfrev_b32_e32 v7, 1
	s_and_saveexec_b64 s[76:77], s[78:79]
	s_cbranch_execz .LBB6_8903
; %bb.8900:                             ;   in Loop: Header=BB6_6244 Depth=2
	v_and_b32_e32 v8, 0x7f, v17
	v_cmp_ne_u32_e32 vcc, s39, v8
	v_mov_b32_e32 v7, 0x7f800001
	s_and_saveexec_b64 s[78:79], vcc
	s_cbranch_execz .LBB6_8902
; %bb.8901:                             ;   in Loop: Header=BB6_6244 Depth=2
	v_and_b32_e32 v7, 7, v17
	v_ffbh_u32_e32 v7, v7
	v_min_u32_e32 v7, 32, v7
	v_lshrrev_b32_e32 v18, 3, v8
	v_cmp_gt_u32_e32 vcc, 8, v8
	v_subrev_u32_e32 v8, 28, v7
	v_sub_u32_e32 v7, 29, v7
	v_mov_b32_e32 v14, v17
	v_mov_b32_e32 v15, v51
	v_cndmask_b32_e32 v18, v18, v7, vcc
	v_cndmask_b32_e32 v7, 0, v8, vcc
	v_lshlrev_b64 v[7:8], v7, v[14:15]
	v_lshlrev_b32_e32 v8, 24, v14
	v_lshlrev_b32_e32 v7, 20, v7
	v_and_b32_e32 v7, 0x700000, v7
	v_and_b32_e32 v8, 0x80000000, v8
	v_lshl_add_u32 v14, v18, 23, v62
	v_or3_b32 v7, v8, v14, v7
.LBB6_8902:                             ;   in Loop: Header=BB6_6244 Depth=2
	s_or_b64 exec, exec, s[78:79]
.LBB6_8903:                             ;   in Loop: Header=BB6_6244 Depth=2
	s_or_b64 exec, exec, s[76:77]
.LBB6_8904:                             ;   in Loop: Header=BB6_6244 Depth=2
	s_or_b64 exec, exec, s[18:19]
	v_add_f32_e32 v7, v2, v7
	v_and_b32_e32 v14, 0x7f800000, v7
	v_mov_b32_e32 v15, v51
	v_cmp_ne_u64_e32 vcc, s[46:47], v[14:15]
                                        ; implicit-def: $vgpr49
	s_and_saveexec_b64 s[18:19], vcc
	s_xor_b64 s[76:77], exec, s[18:19]
	s_cbranch_execz .LBB6_8918
; %bb.8905:                             ;   in Loop: Header=BB6_6244 Depth=2
	v_and_b32_e32 v14, 0x7fffffff, v7
	v_mov_b32_e32 v15, v51
	v_cmp_gt_u64_e32 vcc, s[56:57], v[14:15]
	v_and_b32_sdwa v2, v7, s50 dst_sel:DWORD dst_unused:UNUSED_PAD src0_sel:BYTE_3 src1_sel:DWORD
                                        ; implicit-def: $vgpr49
	s_and_saveexec_b64 s[18:19], vcc
	s_xor_b64 s[78:79], exec, s[18:19]
	s_cbranch_execz .LBB6_8915
; %bb.8906:                             ;   in Loop: Header=BB6_6244 Depth=2
	v_mov_b32_e32 v49, 0
	v_cmp_ne_u32_e32 vcc, 0, v7
	s_and_saveexec_b64 s[88:89], vcc
	s_cbranch_execz .LBB6_8914
; %bb.8907:                             ;   in Loop: Header=BB6_6244 Depth=2
	v_and_b32_e32 v14, 0x7fffff, v7
	v_bfe_u32 v7, v7, 23, 8
	v_cmp_gt_u32_e64 s[18:19], s51, v7
	v_sub_u32_e32 v8, 0x79, v7
	v_cmp_eq_u32_e32 vcc, 0, v7
	v_cndmask_b32_e64 v8, 0, v8, s[18:19]
	v_mov_b32_e32 v18, 0x78
	v_cndmask_b32_e32 v8, v8, v18, vcc
	v_add_u32_e32 v18, 20, v8
	v_or_b32_e32 v15, 0x800000, v14
	v_lshlrev_b64 v[18:19], v18, -1
	v_cndmask_b32_e32 v14, v15, v14, vcc
	v_mov_b32_e32 v15, v51
	v_add_u32_e32 v24, 19, v8
	v_bfi_b32 v18, v18, 0, v14
	v_lshlrev_b64 v[28:29], v24, 1
	v_lshrrev_b64 v[14:15], v8, v[14:15]
	v_bfi_b32 v19, v19, 0, 0
	v_cmp_eq_u64_e64 s[18:19], v[18:19], v[28:29]
	v_mov_b32_e32 v19, v15
	v_mov_b32_e32 v18, v14
	s_and_saveexec_b64 s[90:91], s[18:19]
; %bb.8908:                             ;   in Loop: Header=BB6_6244 Depth=2
	v_bfe_u32 v15, v14, 20, 1
	v_add_co_u32_e64 v15, s[18:19], v14, v15
	v_add_co_u32_e64 v18, s[18:19], -1, v15
; %bb.8909:                             ;   in Loop: Header=BB6_6244 Depth=2
	s_or_b64 exec, exec, s[90:91]
	v_add_u32_e32 v7, 0xffffff81, v7
	v_mov_b32_e32 v15, 0xffffff82
	v_cndmask_b32_e32 v7, v7, v15, vcc
	v_lshrrev_b32_e32 v15, 23, v14
	v_add3_u32 v19, v8, v7, v15
	v_add_u32_e32 v8, 6, v19
	v_and_b32_e32 v7, 0xfffff, v18
	v_add_u32_e32 v14, v7, v14
	v_mov_b32_e32 v15, v51
	v_cmp_ne_u32_e32 vcc, 0, v8
                                        ; implicit-def: $vgpr7
	s_and_saveexec_b64 s[18:19], vcc
	s_xor_b64 s[18:19], exec, s[18:19]
; %bb.8910:                             ;   in Loop: Header=BB6_6244 Depth=2
	v_cmp_lt_u64_e32 vcc, s[58:59], v[14:15]
	v_add_u32_e32 v7, 7, v19
	v_cndmask_b32_e32 v7, v8, v7, vcc
	v_cndmask_b32_e64 v8, 0, 1, vcc
	v_lshrrev_b64 v[14:15], v8, v[14:15]
; %bb.8911:                             ;   in Loop: Header=BB6_6244 Depth=2
	s_andn2_saveexec_b64 s[18:19], s[18:19]
; %bb.8912:                             ;   in Loop: Header=BB6_6244 Depth=2
	v_bfe_u32 v7, v14, 23, 1
; %bb.8913:                             ;   in Loop: Header=BB6_6244 Depth=2
	s_or_b64 exec, exec, s[18:19]
	v_lshrrev_b64 v[14:15], 20, v[14:15]
	v_cmp_gt_i32_e32 vcc, 16, v7
	v_cndmask_b32_e32 v15, 0, v15, vcc
	v_cndmask_b32_e32 v14, 7, v14, vcc
	v_cmp_eq_u32_e32 vcc, 0, v7
	v_min_i32_e32 v7, 15, v7
	v_cmp_eq_u64_e64 s[18:19], 0, v[14:15]
	v_lshlrev_b32_e32 v7, 3, v7
	v_and_b32_e32 v7, 0xf8, v7
	v_and_or_b32 v7, v14, 7, v7
	s_and_b64 s[18:19], vcc, s[18:19]
	v_cndmask_b32_e64 v7, v7, 0, s[18:19]
	v_or_b32_e32 v49, v7, v2
.LBB6_8914:                             ;   in Loop: Header=BB6_6244 Depth=2
	s_or_b64 exec, exec, s[88:89]
                                        ; implicit-def: $vgpr2
.LBB6_8915:                             ;   in Loop: Header=BB6_6244 Depth=2
	s_andn2_saveexec_b64 s[18:19], s[78:79]
; %bb.8916:                             ;   in Loop: Header=BB6_6244 Depth=2
	v_or_b32_e32 v49, 0x7e, v2
; %bb.8917:                             ;   in Loop: Header=BB6_6244 Depth=2
	s_or_b64 exec, exec, s[18:19]
                                        ; implicit-def: $vgpr7
.LBB6_8918:                             ;   in Loop: Header=BB6_6244 Depth=2
	s_andn2_saveexec_b64 s[18:19], s[76:77]
; %bb.8919:                             ;   in Loop: Header=BB6_6244 Depth=2
	v_or_b32_sdwa v49, v7, s39 dst_sel:DWORD dst_unused:UNUSED_PAD src0_sel:BYTE_3 src1_sel:DWORD
; %bb.8920:                             ;   in Loop: Header=BB6_6244 Depth=2
	s_or_b64 exec, exec, s[18:19]
	v_lshrrev_b16_e32 v14, 8, v0
	v_cmp_ne_u16_e32 vcc, 0, v14
	v_mov_b32_e32 v2, 0
	v_mov_b32_e32 v7, 0
	s_and_saveexec_b64 s[18:19], vcc
	s_cbranch_execz .LBB6_8926
; %bb.8921:                             ;   in Loop: Header=BB6_6244 Depth=2
	v_cmp_ne_u16_e32 vcc, s50, v14
	v_bfrev_b32_e32 v7, 1
	s_and_saveexec_b64 s[76:77], vcc
	s_cbranch_execz .LBB6_8925
; %bb.8922:                             ;   in Loop: Header=BB6_6244 Depth=2
	v_and_b32_e32 v8, 0x7f, v14
	v_cmp_ne_u32_e32 vcc, s39, v8
	v_mov_b32_e32 v7, 0x7f800001
	s_and_saveexec_b64 s[78:79], vcc
	s_cbranch_execz .LBB6_8924
; %bb.8923:                             ;   in Loop: Header=BB6_6244 Depth=2
	v_and_b32_e32 v15, 7, v14
	v_ffbh_u32_e32 v7, v15
	v_min_u32_e32 v19, 32, v7
	v_subrev_u32_e32 v7, 28, v19
	v_lshrrev_b32_e32 v18, 3, v8
	v_cmp_gt_u32_e32 vcc, 8, v8
	v_lshlrev_b64 v[7:8], v7, v[14:15]
	v_sub_u32_e32 v8, 29, v19
	v_and_b32_e32 v7, 7, v7
	v_cndmask_b32_e32 v8, v18, v8, vcc
	v_cndmask_b32_e32 v7, v15, v7, vcc
	v_lshlrev_b32_e32 v0, 16, v0
	v_lshlrev_b32_e32 v7, 20, v7
	v_and_b32_e32 v0, 0x80000000, v0
	v_lshl_add_u32 v8, v8, 23, v62
	v_or3_b32 v7, v0, v8, v7
.LBB6_8924:                             ;   in Loop: Header=BB6_6244 Depth=2
	s_or_b64 exec, exec, s[78:79]
.LBB6_8925:                             ;   in Loop: Header=BB6_6244 Depth=2
	s_or_b64 exec, exec, s[76:77]
.LBB6_8926:                             ;   in Loop: Header=BB6_6244 Depth=2
	s_or_b64 exec, exec, s[18:19]
	v_lshrrev_b16_e32 v14, 8, v17
	v_cmp_ne_u16_e32 vcc, 0, v14
	s_and_saveexec_b64 s[18:19], vcc
	s_cbranch_execz .LBB6_8932
; %bb.8927:                             ;   in Loop: Header=BB6_6244 Depth=2
	v_cmp_ne_u16_e32 vcc, s50, v14
	v_bfrev_b32_e32 v2, 1
	s_and_saveexec_b64 s[76:77], vcc
	s_cbranch_execz .LBB6_8931
; %bb.8928:                             ;   in Loop: Header=BB6_6244 Depth=2
	v_and_b32_e32 v0, 0x7f, v14
	v_cmp_ne_u32_e32 vcc, s39, v0
	v_mov_b32_e32 v2, 0x7f800001
	s_and_saveexec_b64 s[78:79], vcc
	s_cbranch_execz .LBB6_8930
; %bb.8929:                             ;   in Loop: Header=BB6_6244 Depth=2
	v_and_b32_e32 v2, 7, v14
	v_lshrrev_b32_e32 v8, 3, v0
	v_cmp_gt_u32_e32 vcc, 8, v0
	v_ffbh_u32_e32 v0, v2
	v_min_u32_e32 v0, 32, v0
	v_subrev_u32_e32 v15, 28, v0
	v_lshlrev_b64 v[14:15], v15, v[14:15]
	v_sub_u32_e32 v0, 29, v0
	v_and_b32_e32 v14, 7, v14
	v_cndmask_b32_e32 v0, v8, v0, vcc
	v_cndmask_b32_e32 v2, v2, v14, vcc
	v_lshlrev_b32_e32 v8, 16, v17
	v_lshlrev_b32_e32 v2, 20, v2
	v_and_b32_e32 v8, 0x80000000, v8
	v_lshl_add_u32 v0, v0, 23, v62
	v_or3_b32 v2, v8, v0, v2
.LBB6_8930:                             ;   in Loop: Header=BB6_6244 Depth=2
	s_or_b64 exec, exec, s[78:79]
.LBB6_8931:                             ;   in Loop: Header=BB6_6244 Depth=2
	s_or_b64 exec, exec, s[76:77]
.LBB6_8932:                             ;   in Loop: Header=BB6_6244 Depth=2
	s_or_b64 exec, exec, s[18:19]
	v_add_f32_e32 v2, v7, v2
	v_and_b32_e32 v7, 0x7f800000, v2
	v_mov_b32_e32 v8, v51
	v_cmp_ne_u64_e32 vcc, s[46:47], v[7:8]
                                        ; implicit-def: $vgpr52
	s_and_saveexec_b64 s[18:19], vcc
	s_xor_b64 s[76:77], exec, s[18:19]
	s_cbranch_execz .LBB6_8946
; %bb.8933:                             ;   in Loop: Header=BB6_6244 Depth=2
	v_and_b32_e32 v7, 0x7fffffff, v2
	v_mov_b32_e32 v8, v51
	v_cmp_gt_u64_e32 vcc, s[56:57], v[7:8]
	v_and_b32_sdwa v0, v2, s50 dst_sel:DWORD dst_unused:UNUSED_PAD src0_sel:BYTE_3 src1_sel:DWORD
                                        ; implicit-def: $vgpr52
	s_and_saveexec_b64 s[18:19], vcc
	s_xor_b64 s[78:79], exec, s[18:19]
	s_cbranch_execz .LBB6_8943
; %bb.8934:                             ;   in Loop: Header=BB6_6244 Depth=2
	v_mov_b32_e32 v52, 0
	v_cmp_ne_u32_e32 vcc, 0, v2
	s_and_saveexec_b64 s[88:89], vcc
	s_cbranch_execz .LBB6_8942
; %bb.8935:                             ;   in Loop: Header=BB6_6244 Depth=2
	v_and_b32_e32 v8, 0x7fffff, v2
	v_bfe_u32 v2, v2, 23, 8
	v_cmp_gt_u32_e64 s[18:19], s51, v2
	v_sub_u32_e32 v7, 0x79, v2
	v_cmp_eq_u32_e32 vcc, 0, v2
	v_cndmask_b32_e64 v7, 0, v7, s[18:19]
	v_mov_b32_e32 v15, 0x78
	v_or_b32_e32 v14, 0x800000, v8
	v_cndmask_b32_e32 v7, v7, v15, vcc
	v_cndmask_b32_e32 v14, v14, v8, vcc
	v_add_u32_e32 v8, 20, v7
	v_lshlrev_b64 v[18:19], v8, -1
	v_mov_b32_e32 v15, v51
	v_add_u32_e32 v8, 19, v7
	v_bfi_b32 v18, v18, 0, v14
	v_lshlrev_b64 v[28:29], v8, 1
	v_lshrrev_b64 v[14:15], v7, v[14:15]
	v_bfi_b32 v19, v19, 0, 0
	v_cmp_eq_u64_e64 s[18:19], v[18:19], v[28:29]
	v_mov_b32_e32 v19, v15
	v_mov_b32_e32 v18, v14
	s_and_saveexec_b64 s[90:91], s[18:19]
; %bb.8936:                             ;   in Loop: Header=BB6_6244 Depth=2
	v_bfe_u32 v8, v14, 20, 1
	v_add_co_u32_e64 v8, s[18:19], v14, v8
	v_add_co_u32_e64 v18, s[18:19], -1, v8
; %bb.8937:                             ;   in Loop: Header=BB6_6244 Depth=2
	s_or_b64 exec, exec, s[90:91]
	v_add_u32_e32 v2, 0xffffff81, v2
	v_mov_b32_e32 v8, 0xffffff82
	v_cndmask_b32_e32 v2, v2, v8, vcc
	v_lshrrev_b32_e32 v8, 23, v14
	v_add3_u32 v8, v7, v2, v8
	v_add_u32_e32 v7, 6, v8
	v_and_b32_e32 v2, 0xfffff, v18
	v_add_u32_e32 v14, v2, v14
	v_mov_b32_e32 v15, v51
	v_cmp_ne_u32_e32 vcc, 0, v7
                                        ; implicit-def: $vgpr2
	s_and_saveexec_b64 s[18:19], vcc
	s_xor_b64 s[18:19], exec, s[18:19]
; %bb.8938:                             ;   in Loop: Header=BB6_6244 Depth=2
	v_cmp_lt_u64_e32 vcc, s[58:59], v[14:15]
	v_add_u32_e32 v2, 7, v8
	v_cndmask_b32_e32 v2, v7, v2, vcc
	v_cndmask_b32_e64 v7, 0, 1, vcc
	v_lshrrev_b64 v[14:15], v7, v[14:15]
; %bb.8939:                             ;   in Loop: Header=BB6_6244 Depth=2
	s_andn2_saveexec_b64 s[18:19], s[18:19]
; %bb.8940:                             ;   in Loop: Header=BB6_6244 Depth=2
	v_bfe_u32 v2, v14, 23, 1
; %bb.8941:                             ;   in Loop: Header=BB6_6244 Depth=2
	s_or_b64 exec, exec, s[18:19]
	v_lshrrev_b64 v[7:8], 20, v[14:15]
	v_cmp_gt_i32_e32 vcc, 16, v2
	v_cndmask_b32_e32 v8, 0, v8, vcc
	v_cndmask_b32_e32 v7, 7, v7, vcc
	v_cmp_eq_u32_e32 vcc, 0, v2
	v_min_i32_e32 v2, 15, v2
	v_cmp_eq_u64_e64 s[18:19], 0, v[7:8]
	v_lshlrev_b32_e32 v2, 3, v2
	v_and_b32_e32 v2, 0xf8, v2
	v_and_or_b32 v2, v7, 7, v2
	s_and_b64 s[18:19], vcc, s[18:19]
	v_cndmask_b32_e64 v2, v2, 0, s[18:19]
	v_or_b32_e32 v52, v2, v0
.LBB6_8942:                             ;   in Loop: Header=BB6_6244 Depth=2
	s_or_b64 exec, exec, s[88:89]
                                        ; implicit-def: $vgpr0
.LBB6_8943:                             ;   in Loop: Header=BB6_6244 Depth=2
	s_andn2_saveexec_b64 s[18:19], s[78:79]
; %bb.8944:                             ;   in Loop: Header=BB6_6244 Depth=2
	v_or_b32_e32 v52, 0x7e, v0
; %bb.8945:                             ;   in Loop: Header=BB6_6244 Depth=2
	s_or_b64 exec, exec, s[18:19]
                                        ; implicit-def: $vgpr2
.LBB6_8946:                             ;   in Loop: Header=BB6_6244 Depth=2
	s_andn2_saveexec_b64 s[18:19], s[76:77]
; %bb.8947:                             ;   in Loop: Header=BB6_6244 Depth=2
	v_or_b32_sdwa v52, v2, s39 dst_sel:DWORD dst_unused:UNUSED_PAD src0_sel:BYTE_3 src1_sel:DWORD
; %bb.8948:                             ;   in Loop: Header=BB6_6244 Depth=2
	s_or_b64 exec, exec, s[18:19]
	v_lshrrev_b32_e32 v14, 16, v50
	v_cmp_ne_u16_sdwa s[76:77], v14, v51 src0_sel:BYTE_0 src1_sel:DWORD
	v_mov_b32_e32 v0, 0
	v_mov_b32_e32 v2, 0
	s_and_saveexec_b64 s[18:19], s[76:77]
	s_cbranch_execz .LBB6_8954
; %bb.8949:                             ;   in Loop: Header=BB6_6244 Depth=2
	v_cmp_ne_u16_sdwa s[78:79], v14, s50 src0_sel:BYTE_0 src1_sel:DWORD
	v_bfrev_b32_e32 v2, 1
	s_and_saveexec_b64 s[76:77], s[78:79]
	s_cbranch_execz .LBB6_8953
; %bb.8950:                             ;   in Loop: Header=BB6_6244 Depth=2
	v_bfe_u32 v7, v50, 16, 7
	v_cmp_ne_u32_e32 vcc, s39, v7
	v_mov_b32_e32 v2, 0x7f800001
	s_and_saveexec_b64 s[78:79], vcc
	s_cbranch_execz .LBB6_8952
; %bb.8951:                             ;   in Loop: Header=BB6_6244 Depth=2
	v_and_b32_e32 v2, 7, v14
	v_lshrrev_b32_e32 v15, 3, v7
	v_cmp_gt_u32_e32 vcc, 8, v7
	v_ffbh_u32_e32 v7, v2
	v_min_u32_e32 v18, 32, v7
	v_subrev_u32_e32 v7, 28, v18
	v_lshlrev_b64 v[7:8], v7, v[14:15]
	v_sub_u32_e32 v8, 29, v18
	v_and_b32_e32 v7, 7, v7
	v_cndmask_b32_e32 v8, v15, v8, vcc
	v_cndmask_b32_e32 v2, v2, v7, vcc
	v_lshlrev_b32_e32 v7, 24, v14
	v_lshlrev_b32_e32 v2, 20, v2
	v_and_b32_e32 v7, 0x80000000, v7
	v_lshl_add_u32 v8, v8, 23, v62
	v_or3_b32 v2, v7, v8, v2
.LBB6_8952:                             ;   in Loop: Header=BB6_6244 Depth=2
	s_or_b64 exec, exec, s[78:79]
.LBB6_8953:                             ;   in Loop: Header=BB6_6244 Depth=2
	s_or_b64 exec, exec, s[76:77]
.LBB6_8954:                             ;   in Loop: Header=BB6_6244 Depth=2
	s_or_b64 exec, exec, s[18:19]
	v_lshrrev_b32_e32 v14, 16, v17
	v_cmp_ne_u16_sdwa s[76:77], v14, v51 src0_sel:BYTE_0 src1_sel:DWORD
	s_and_saveexec_b64 s[18:19], s[76:77]
	s_cbranch_execz .LBB6_8960
; %bb.8955:                             ;   in Loop: Header=BB6_6244 Depth=2
	v_cmp_ne_u16_sdwa s[78:79], v14, s50 src0_sel:BYTE_0 src1_sel:DWORD
	v_bfrev_b32_e32 v0, 1
	s_and_saveexec_b64 s[76:77], s[78:79]
	s_cbranch_execz .LBB6_8959
; %bb.8956:                             ;   in Loop: Header=BB6_6244 Depth=2
	v_bfe_u32 v7, v17, 16, 7
	v_cmp_ne_u32_e32 vcc, s39, v7
	v_mov_b32_e32 v0, 0x7f800001
	s_and_saveexec_b64 s[78:79], vcc
	s_cbranch_execz .LBB6_8958
; %bb.8957:                             ;   in Loop: Header=BB6_6244 Depth=2
	v_and_b32_e32 v0, 7, v14
	v_lshrrev_b32_e32 v15, 3, v7
	v_cmp_gt_u32_e32 vcc, 8, v7
	v_ffbh_u32_e32 v7, v0
	v_min_u32_e32 v18, 32, v7
	v_subrev_u32_e32 v7, 28, v18
	v_lshlrev_b64 v[7:8], v7, v[14:15]
	v_sub_u32_e32 v8, 29, v18
	v_and_b32_e32 v7, 7, v7
	v_cndmask_b32_e32 v8, v15, v8, vcc
	v_cndmask_b32_e32 v0, v0, v7, vcc
	v_lshlrev_b32_e32 v7, 8, v17
	v_lshlrev_b32_e32 v0, 20, v0
	v_and_b32_e32 v7, 0x80000000, v7
	v_lshl_add_u32 v8, v8, 23, v62
	v_or3_b32 v0, v7, v8, v0
.LBB6_8958:                             ;   in Loop: Header=BB6_6244 Depth=2
	s_or_b64 exec, exec, s[78:79]
.LBB6_8959:                             ;   in Loop: Header=BB6_6244 Depth=2
	s_or_b64 exec, exec, s[76:77]
.LBB6_8960:                             ;   in Loop: Header=BB6_6244 Depth=2
	s_or_b64 exec, exec, s[18:19]
	v_add_f32_e32 v2, v2, v0
	v_and_b32_e32 v7, 0x7f800000, v2
	v_mov_b32_e32 v8, v51
	v_cmp_ne_u64_e32 vcc, s[46:47], v[7:8]
                                        ; implicit-def: $vgpr18
	s_and_saveexec_b64 s[18:19], vcc
	s_xor_b64 s[76:77], exec, s[18:19]
	s_cbranch_execz .LBB6_8974
; %bb.8961:                             ;   in Loop: Header=BB6_6244 Depth=2
	v_and_b32_e32 v7, 0x7fffffff, v2
	v_mov_b32_e32 v8, v51
	v_cmp_gt_u64_e32 vcc, s[56:57], v[7:8]
	v_and_b32_sdwa v0, v2, s50 dst_sel:DWORD dst_unused:UNUSED_PAD src0_sel:BYTE_3 src1_sel:DWORD
                                        ; implicit-def: $vgpr18
	s_and_saveexec_b64 s[18:19], vcc
	s_xor_b64 s[78:79], exec, s[18:19]
	s_cbranch_execz .LBB6_8971
; %bb.8962:                             ;   in Loop: Header=BB6_6244 Depth=2
	v_mov_b32_e32 v18, 0
	v_cmp_ne_u32_e32 vcc, 0, v2
	s_and_saveexec_b64 s[88:89], vcc
	s_cbranch_execz .LBB6_8970
; %bb.8963:                             ;   in Loop: Header=BB6_6244 Depth=2
	v_and_b32_e32 v8, 0x7fffff, v2
	v_bfe_u32 v2, v2, 23, 8
	v_cmp_gt_u32_e64 s[18:19], s51, v2
	v_sub_u32_e32 v7, 0x79, v2
	v_cmp_eq_u32_e32 vcc, 0, v2
	v_cndmask_b32_e64 v7, 0, v7, s[18:19]
	v_mov_b32_e32 v15, 0x78
	v_or_b32_e32 v14, 0x800000, v8
	v_cndmask_b32_e32 v7, v7, v15, vcc
	v_cndmask_b32_e32 v14, v14, v8, vcc
	v_add_u32_e32 v8, 20, v7
	v_lshlrev_b64 v[18:19], v8, -1
	v_mov_b32_e32 v15, v51
	v_add_u32_e32 v8, 19, v7
	v_bfi_b32 v18, v18, 0, v14
	v_lshlrev_b64 v[28:29], v8, 1
	v_lshrrev_b64 v[14:15], v7, v[14:15]
	v_bfi_b32 v19, v19, 0, 0
	v_cmp_eq_u64_e64 s[18:19], v[18:19], v[28:29]
	v_mov_b32_e32 v19, v15
	v_mov_b32_e32 v18, v14
	s_and_saveexec_b64 s[90:91], s[18:19]
; %bb.8964:                             ;   in Loop: Header=BB6_6244 Depth=2
	v_bfe_u32 v8, v14, 20, 1
	v_add_co_u32_e64 v8, s[18:19], v14, v8
	v_add_co_u32_e64 v18, s[18:19], -1, v8
; %bb.8965:                             ;   in Loop: Header=BB6_6244 Depth=2
	s_or_b64 exec, exec, s[90:91]
	v_add_u32_e32 v2, 0xffffff81, v2
	v_mov_b32_e32 v8, 0xffffff82
	v_cndmask_b32_e32 v2, v2, v8, vcc
	v_lshrrev_b32_e32 v8, 23, v14
	v_add3_u32 v8, v7, v2, v8
	v_add_u32_e32 v7, 6, v8
	v_and_b32_e32 v2, 0xfffff, v18
	v_add_u32_e32 v14, v2, v14
	v_mov_b32_e32 v15, v51
	v_cmp_ne_u32_e32 vcc, 0, v7
                                        ; implicit-def: $vgpr2
	s_and_saveexec_b64 s[18:19], vcc
	s_xor_b64 s[18:19], exec, s[18:19]
; %bb.8966:                             ;   in Loop: Header=BB6_6244 Depth=2
	v_cmp_lt_u64_e32 vcc, s[58:59], v[14:15]
	v_add_u32_e32 v2, 7, v8
	v_cndmask_b32_e32 v2, v7, v2, vcc
	v_cndmask_b32_e64 v7, 0, 1, vcc
	v_lshrrev_b64 v[14:15], v7, v[14:15]
; %bb.8967:                             ;   in Loop: Header=BB6_6244 Depth=2
	s_andn2_saveexec_b64 s[18:19], s[18:19]
; %bb.8968:                             ;   in Loop: Header=BB6_6244 Depth=2
	v_bfe_u32 v2, v14, 23, 1
; %bb.8969:                             ;   in Loop: Header=BB6_6244 Depth=2
	s_or_b64 exec, exec, s[18:19]
	v_lshrrev_b64 v[7:8], 20, v[14:15]
	v_cmp_gt_i32_e32 vcc, 16, v2
	v_cndmask_b32_e32 v8, 0, v8, vcc
	v_cndmask_b32_e32 v7, 7, v7, vcc
	v_cmp_eq_u32_e32 vcc, 0, v2
	v_min_i32_e32 v2, 15, v2
	v_cmp_eq_u64_e64 s[18:19], 0, v[7:8]
	v_lshlrev_b32_e32 v2, 3, v2
	v_and_b32_e32 v2, 0xf8, v2
	v_and_or_b32 v2, v7, 7, v2
	s_and_b64 s[18:19], vcc, s[18:19]
	v_cndmask_b32_e64 v2, v2, 0, s[18:19]
	v_or_b32_e32 v18, v2, v0
.LBB6_8970:                             ;   in Loop: Header=BB6_6244 Depth=2
	s_or_b64 exec, exec, s[88:89]
                                        ; implicit-def: $vgpr0
.LBB6_8971:                             ;   in Loop: Header=BB6_6244 Depth=2
	s_andn2_saveexec_b64 s[18:19], s[78:79]
; %bb.8972:                             ;   in Loop: Header=BB6_6244 Depth=2
	v_or_b32_e32 v18, 0x7e, v0
; %bb.8973:                             ;   in Loop: Header=BB6_6244 Depth=2
	s_or_b64 exec, exec, s[18:19]
                                        ; implicit-def: $vgpr2
.LBB6_8974:                             ;   in Loop: Header=BB6_6244 Depth=2
	s_andn2_saveexec_b64 s[18:19], s[76:77]
; %bb.8975:                             ;   in Loop: Header=BB6_6244 Depth=2
	v_or_b32_sdwa v18, v2, s39 dst_sel:DWORD dst_unused:UNUSED_PAD src0_sel:BYTE_3 src1_sel:DWORD
; %bb.8976:                             ;   in Loop: Header=BB6_6244 Depth=2
	s_or_b64 exec, exec, s[18:19]
	v_cmp_lt_u32_e32 vcc, s61, v50
	v_mov_b32_e32 v0, 0
	v_mov_b32_e32 v2, 0
	s_and_saveexec_b64 s[18:19], vcc
	s_cbranch_execz .LBB6_8982
; %bb.8977:                             ;   in Loop: Header=BB6_6244 Depth=2
	v_lshrrev_b32_e32 v14, 24, v50
	v_cmp_ne_u32_sdwa s[78:79], v50, s50 src0_sel:BYTE_3 src1_sel:DWORD
	v_bfrev_b32_e32 v2, 1
	s_and_saveexec_b64 s[76:77], s[78:79]
	s_cbranch_execz .LBB6_8981
; %bb.8978:                             ;   in Loop: Header=BB6_6244 Depth=2
	v_bfe_u32 v7, v50, 24, 7
	v_cmp_ne_u32_e32 vcc, s39, v7
	v_mov_b32_e32 v2, 0x7f800001
	s_and_saveexec_b64 s[78:79], vcc
	s_cbranch_execz .LBB6_8980
; %bb.8979:                             ;   in Loop: Header=BB6_6244 Depth=2
	v_and_b32_e32 v2, 7, v14
	v_lshrrev_b32_e32 v15, 3, v7
	v_cmp_gt_u32_e32 vcc, 8, v7
	v_ffbh_u32_e32 v7, v2
	v_min_u32_e32 v19, 32, v7
	v_subrev_u32_e32 v7, 28, v19
	v_lshlrev_b64 v[7:8], v7, v[14:15]
	v_sub_u32_e32 v8, 29, v19
	v_and_b32_e32 v7, 7, v7
	v_cndmask_b32_e32 v2, v2, v7, vcc
	v_mov_b32_e32 v7, 24
	v_cndmask_b32_e32 v8, v15, v8, vcc
	v_lshlrev_b32_sdwa v7, v7, v50 dst_sel:DWORD dst_unused:UNUSED_PAD src0_sel:DWORD src1_sel:BYTE_3
	v_lshlrev_b32_e32 v2, 20, v2
	v_and_b32_e32 v7, 0x80000000, v7
	v_lshl_add_u32 v8, v8, 23, v62
	v_or3_b32 v2, v7, v8, v2
.LBB6_8980:                             ;   in Loop: Header=BB6_6244 Depth=2
	s_or_b64 exec, exec, s[78:79]
.LBB6_8981:                             ;   in Loop: Header=BB6_6244 Depth=2
	s_or_b64 exec, exec, s[76:77]
.LBB6_8982:                             ;   in Loop: Header=BB6_6244 Depth=2
	s_or_b64 exec, exec, s[18:19]
	v_cmp_lt_u64_e32 vcc, s[60:61], v[16:17]
	s_and_saveexec_b64 s[18:19], vcc
	s_cbranch_execz .LBB6_8988
; %bb.8983:                             ;   in Loop: Header=BB6_6244 Depth=2
	v_lshrrev_b32_e32 v14, 24, v17
	v_cmp_ne_u32_e32 vcc, s50, v14
	v_bfrev_b32_e32 v0, 1
	s_and_saveexec_b64 s[76:77], vcc
	s_cbranch_execz .LBB6_8987
; %bb.8984:                             ;   in Loop: Header=BB6_6244 Depth=2
	v_bfe_u32 v7, v17, 24, 7
	v_cmp_ne_u32_e32 vcc, s39, v7
	v_mov_b32_e32 v0, 0x7f800001
	s_and_saveexec_b64 s[78:79], vcc
	s_cbranch_execz .LBB6_8986
; %bb.8985:                             ;   in Loop: Header=BB6_6244 Depth=2
	v_and_b32_e32 v0, 7, v14
	v_lshrrev_b32_e32 v15, 3, v7
	v_cmp_gt_u32_e32 vcc, 8, v7
	v_ffbh_u32_e32 v7, v0
	v_min_u32_e32 v16, 32, v7
	v_subrev_u32_e32 v7, 28, v16
	v_lshlrev_b64 v[7:8], v7, v[14:15]
	v_sub_u32_e32 v8, 29, v16
	v_and_b32_e32 v7, 7, v7
	v_cndmask_b32_e32 v8, v15, v8, vcc
	v_cndmask_b32_e32 v0, v0, v7, vcc
	v_lshlrev_b32_e32 v7, 24, v14
	v_lshlrev_b32_e32 v0, 20, v0
	v_and_b32_e32 v7, 0x80000000, v7
	v_lshl_add_u32 v8, v8, 23, v62
	v_or3_b32 v0, v7, v8, v0
.LBB6_8986:                             ;   in Loop: Header=BB6_6244 Depth=2
	s_or_b64 exec, exec, s[78:79]
.LBB6_8987:                             ;   in Loop: Header=BB6_6244 Depth=2
	s_or_b64 exec, exec, s[76:77]
.LBB6_8988:                             ;   in Loop: Header=BB6_6244 Depth=2
	s_or_b64 exec, exec, s[18:19]
	v_add_f32_e32 v2, v2, v0
	v_and_b32_e32 v50, 0x7f800000, v2
	v_cmp_ne_u64_e32 vcc, s[46:47], v[50:51]
                                        ; implicit-def: $vgpr17
	s_and_saveexec_b64 s[18:19], vcc
	s_xor_b64 s[76:77], exec, s[18:19]
	s_cbranch_execz .LBB6_9002
; %bb.8989:                             ;   in Loop: Header=BB6_6244 Depth=2
	v_and_b32_e32 v50, 0x7fffffff, v2
	v_cmp_gt_u64_e32 vcc, s[56:57], v[50:51]
	v_and_b32_sdwa v0, v2, s50 dst_sel:DWORD dst_unused:UNUSED_PAD src0_sel:BYTE_3 src1_sel:DWORD
                                        ; implicit-def: $vgpr17
	s_and_saveexec_b64 s[18:19], vcc
	s_xor_b64 s[78:79], exec, s[18:19]
	s_cbranch_execz .LBB6_8999
; %bb.8990:                             ;   in Loop: Header=BB6_6244 Depth=2
	v_mov_b32_e32 v17, 0
	v_cmp_ne_u32_e32 vcc, 0, v2
	s_and_saveexec_b64 s[88:89], vcc
	s_cbranch_execz .LBB6_8998
; %bb.8991:                             ;   in Loop: Header=BB6_6244 Depth=2
	v_and_b32_e32 v8, 0x7fffff, v2
	v_bfe_u32 v2, v2, 23, 8
	v_cmp_gt_u32_e64 s[18:19], s51, v2
	v_sub_u32_e32 v7, 0x79, v2
	v_cmp_eq_u32_e32 vcc, 0, v2
	v_cndmask_b32_e64 v7, 0, v7, s[18:19]
	v_mov_b32_e32 v15, 0x78
	v_or_b32_e32 v14, 0x800000, v8
	v_cndmask_b32_e32 v7, v7, v15, vcc
	v_cndmask_b32_e32 v50, v14, v8, vcc
	v_add_u32_e32 v8, 20, v7
	v_lshlrev_b64 v[14:15], v8, -1
	v_add_u32_e32 v8, 19, v7
	v_lshlrev_b64 v[16:17], v8, 1
	v_bfi_b32 v15, v15, 0, 0
	v_bfi_b32 v14, v14, 0, v50
	v_cmp_eq_u64_e64 s[18:19], v[14:15], v[16:17]
	v_lshrrev_b64 v[14:15], v7, v[50:51]
	v_mov_b32_e32 v16, v15
	v_mov_b32_e32 v15, v14
	s_and_saveexec_b64 s[90:91], s[18:19]
; %bb.8992:                             ;   in Loop: Header=BB6_6244 Depth=2
	v_bfe_u32 v8, v14, 20, 1
	v_add_co_u32_e64 v8, s[18:19], v14, v8
	v_add_co_u32_e64 v15, s[18:19], -1, v8
; %bb.8993:                             ;   in Loop: Header=BB6_6244 Depth=2
	s_or_b64 exec, exec, s[90:91]
	v_add_u32_e32 v2, 0xffffff81, v2
	v_mov_b32_e32 v8, 0xffffff82
	v_cndmask_b32_e32 v2, v2, v8, vcc
	v_lshrrev_b32_e32 v8, 23, v14
	v_add3_u32 v8, v7, v2, v8
	v_add_u32_e32 v7, 6, v8
	v_and_b32_e32 v2, 0xfffff, v15
	v_add_u32_e32 v50, v2, v14
	v_cmp_ne_u32_e32 vcc, 0, v7
                                        ; implicit-def: $vgpr14_vgpr15
                                        ; implicit-def: $vgpr2
	s_and_saveexec_b64 s[18:19], vcc
	s_xor_b64 s[18:19], exec, s[18:19]
; %bb.8994:                             ;   in Loop: Header=BB6_6244 Depth=2
	v_cmp_lt_u64_e32 vcc, s[58:59], v[50:51]
	v_add_u32_e32 v2, 7, v8
	v_cndmask_b32_e32 v2, v7, v2, vcc
	v_cndmask_b32_e64 v7, 0, 1, vcc
	v_lshrrev_b64 v[14:15], v7, v[50:51]
; %bb.8995:                             ;   in Loop: Header=BB6_6244 Depth=2
	s_andn2_saveexec_b64 s[18:19], s[18:19]
; %bb.8996:                             ;   in Loop: Header=BB6_6244 Depth=2
	v_mov_b32_e32 v14, v50
	v_bfe_u32 v2, v50, 23, 1
	v_mov_b32_e32 v15, v51
; %bb.8997:                             ;   in Loop: Header=BB6_6244 Depth=2
	s_or_b64 exec, exec, s[18:19]
	v_lshrrev_b64 v[7:8], 20, v[14:15]
	v_cmp_gt_i32_e32 vcc, 16, v2
	v_cndmask_b32_e32 v8, 0, v8, vcc
	v_cndmask_b32_e32 v7, 7, v7, vcc
	v_cmp_eq_u32_e32 vcc, 0, v2
	v_min_i32_e32 v2, 15, v2
	v_cmp_eq_u64_e64 s[18:19], 0, v[7:8]
	v_lshlrev_b32_e32 v2, 3, v2
	v_and_b32_e32 v2, 0xf8, v2
	v_and_or_b32 v2, v7, 7, v2
	s_and_b64 s[18:19], vcc, s[18:19]
	v_cndmask_b32_e64 v2, v2, 0, s[18:19]
	v_or_b32_e32 v17, v2, v0
.LBB6_8998:                             ;   in Loop: Header=BB6_6244 Depth=2
	s_or_b64 exec, exec, s[88:89]
                                        ; implicit-def: $vgpr0
.LBB6_8999:                             ;   in Loop: Header=BB6_6244 Depth=2
	s_andn2_saveexec_b64 s[18:19], s[78:79]
; %bb.9000:                             ;   in Loop: Header=BB6_6244 Depth=2
	v_or_b32_e32 v17, 0x7e, v0
; %bb.9001:                             ;   in Loop: Header=BB6_6244 Depth=2
	s_or_b64 exec, exec, s[18:19]
                                        ; implicit-def: $vgpr2
.LBB6_9002:                             ;   in Loop: Header=BB6_6244 Depth=2
	s_andn2_saveexec_b64 s[18:19], s[76:77]
; %bb.9003:                             ;   in Loop: Header=BB6_6244 Depth=2
	v_or_b32_sdwa v17, v2, s39 dst_sel:DWORD dst_unused:UNUSED_PAD src0_sel:BYTE_3 src1_sel:DWORD
; %bb.9004:                             ;   in Loop: Header=BB6_6244 Depth=2
	s_or_b64 exec, exec, s[18:19]
	buffer_load_dword v0, off, s[0:3], s33 offset:136 ; 4-byte Folded Reload
	buffer_load_dword v2, off, s[0:3], s33 offset:156 ; 4-byte Folded Reload
	;; [unrolled: 1-line block ×3, first 2 shown]
	v_cmp_ne_u32_e32 vcc, 0, v36
	s_waitcnt vmcnt(2)
	v_lshl_or_b32 v0, v0, 8, v36
	s_waitcnt vmcnt(1)
	v_lshlrev_b32_e32 v2, 16, v2
	s_waitcnt vmcnt(0)
	v_lshlrev_b32_e32 v7, 24, v7
	v_or3_b32 v50, v2, v7, v0
	v_mov_b32_e32 v2, 0
	v_mov_b32_e32 v7, 0
	s_and_saveexec_b64 s[18:19], vcc
	s_cbranch_execz .LBB6_9010
; %bb.9005:                             ;   in Loop: Header=BB6_6244 Depth=2
	v_cmp_ne_u32_e32 vcc, s50, v36
	v_bfrev_b32_e32 v7, 1
	s_and_saveexec_b64 s[76:77], vcc
	s_cbranch_execz .LBB6_9009
; %bb.9006:                             ;   in Loop: Header=BB6_6244 Depth=2
	v_and_b32_e32 v8, 0x7f, v36
	v_cmp_ne_u32_e32 vcc, s39, v8
	v_mov_b32_e32 v7, 0x7f800001
	s_and_saveexec_b64 s[78:79], vcc
	s_cbranch_execz .LBB6_9008
; %bb.9007:                             ;   in Loop: Header=BB6_6244 Depth=2
	v_and_b32_e32 v7, 7, v36
	v_ffbh_u32_e32 v7, v7
	v_min_u32_e32 v7, 32, v7
	v_lshrrev_b32_e32 v14, 3, v8
	v_cmp_gt_u32_e32 vcc, 8, v8
	v_subrev_u32_e32 v8, 28, v7
	v_sub_u32_e32 v7, 29, v7
	v_cndmask_b32_e32 v14, v14, v7, vcc
	v_cndmask_b32_e32 v7, 0, v8, vcc
	v_lshlrev_b64 v[7:8], v7, v[50:51]
	v_lshlrev_b32_e32 v8, 24, v50
	v_lshlrev_b32_e32 v7, 20, v7
	v_and_b32_e32 v7, 0x700000, v7
	v_and_b32_e32 v8, 0x80000000, v8
	v_lshl_add_u32 v14, v14, 23, v62
	v_or3_b32 v7, v8, v14, v7
.LBB6_9008:                             ;   in Loop: Header=BB6_6244 Depth=2
	s_or_b64 exec, exec, s[78:79]
.LBB6_9009:                             ;   in Loop: Header=BB6_6244 Depth=2
	s_or_b64 exec, exec, s[76:77]
.LBB6_9010:                             ;   in Loop: Header=BB6_6244 Depth=2
	s_or_b64 exec, exec, s[18:19]
	v_cmp_ne_u16_sdwa s[76:77], v10, v51 src0_sel:BYTE_0 src1_sel:DWORD
	s_and_saveexec_b64 s[18:19], s[76:77]
	s_cbranch_execz .LBB6_9016
; %bb.9011:                             ;   in Loop: Header=BB6_6244 Depth=2
	v_cmp_ne_u16_sdwa s[78:79], v10, s50 src0_sel:BYTE_0 src1_sel:DWORD
	v_bfrev_b32_e32 v2, 1
	s_and_saveexec_b64 s[76:77], s[78:79]
	s_cbranch_execz .LBB6_9015
; %bb.9012:                             ;   in Loop: Header=BB6_6244 Depth=2
	v_and_b32_e32 v8, 0x7f, v10
	v_cmp_ne_u32_e32 vcc, s39, v8
	v_mov_b32_e32 v2, 0x7f800001
	s_and_saveexec_b64 s[78:79], vcc
	s_cbranch_execz .LBB6_9014
; %bb.9013:                             ;   in Loop: Header=BB6_6244 Depth=2
	v_and_b32_e32 v2, 7, v10
	v_ffbh_u32_e32 v2, v2
	v_min_u32_e32 v2, 32, v2
	v_lshrrev_b32_e32 v14, 3, v8
	v_cmp_gt_u32_e32 vcc, 8, v8
	v_subrev_u32_e32 v8, 28, v2
	v_sub_u32_e32 v2, 29, v2
	v_cndmask_b32_e32 v8, 0, v8, vcc
	v_cndmask_b32_e32 v2, v14, v2, vcc
	v_lshlrev_b64 v[14:15], v8, v[10:11]
	v_lshl_add_u32 v2, v2, 23, v62
	v_lshlrev_b32_e32 v8, 20, v14
	v_lshlrev_b32_e32 v14, 24, v10
	v_and_b32_e32 v8, 0x700000, v8
	v_and_b32_e32 v14, 0x80000000, v14
	v_or3_b32 v2, v14, v2, v8
.LBB6_9014:                             ;   in Loop: Header=BB6_6244 Depth=2
	s_or_b64 exec, exec, s[78:79]
.LBB6_9015:                             ;   in Loop: Header=BB6_6244 Depth=2
	s_or_b64 exec, exec, s[76:77]
.LBB6_9016:                             ;   in Loop: Header=BB6_6244 Depth=2
	s_or_b64 exec, exec, s[18:19]
	v_add_f32_e32 v7, v7, v2
	v_and_b32_e32 v14, 0x7f800000, v7
	v_mov_b32_e32 v15, v51
	v_cmp_ne_u64_e32 vcc, s[46:47], v[14:15]
                                        ; implicit-def: $vgpr19
	s_and_saveexec_b64 s[18:19], vcc
	s_xor_b64 s[76:77], exec, s[18:19]
	s_cbranch_execz .LBB6_9030
; %bb.9017:                             ;   in Loop: Header=BB6_6244 Depth=2
	v_and_b32_e32 v14, 0x7fffffff, v7
	v_mov_b32_e32 v15, v51
	v_cmp_gt_u64_e32 vcc, s[56:57], v[14:15]
	v_and_b32_sdwa v2, v7, s50 dst_sel:DWORD dst_unused:UNUSED_PAD src0_sel:BYTE_3 src1_sel:DWORD
                                        ; implicit-def: $vgpr19
	s_and_saveexec_b64 s[18:19], vcc
	s_xor_b64 s[78:79], exec, s[18:19]
	s_cbranch_execz .LBB6_9027
; %bb.9018:                             ;   in Loop: Header=BB6_6244 Depth=2
	v_mov_b32_e32 v19, 0
	v_cmp_ne_u32_e32 vcc, 0, v7
	s_and_saveexec_b64 s[88:89], vcc
	s_cbranch_execz .LBB6_9026
; %bb.9019:                             ;   in Loop: Header=BB6_6244 Depth=2
	v_and_b32_e32 v14, 0x7fffff, v7
	v_bfe_u32 v7, v7, 23, 8
	v_cmp_gt_u32_e64 s[18:19], s51, v7
	v_sub_u32_e32 v8, 0x79, v7
	v_cmp_eq_u32_e32 vcc, 0, v7
	v_cndmask_b32_e64 v8, 0, v8, s[18:19]
	v_mov_b32_e32 v16, 0x78
	v_cndmask_b32_e32 v8, v8, v16, vcc
	v_add_u32_e32 v16, 20, v8
	v_or_b32_e32 v15, 0x800000, v14
	v_lshlrev_b64 v[28:29], v16, -1
	v_cndmask_b32_e32 v14, v15, v14, vcc
	v_mov_b32_e32 v15, v51
	v_add_u32_e32 v16, 19, v8
	v_bfi_b32 v28, v28, 0, v14
	v_lshlrev_b64 v[36:37], v16, 1
	v_lshrrev_b64 v[14:15], v8, v[14:15]
	v_bfi_b32 v29, v29, 0, 0
	v_cmp_eq_u64_e64 s[18:19], v[28:29], v[36:37]
	v_mov_b32_e32 v16, v15
	v_mov_b32_e32 v15, v14
	s_and_saveexec_b64 s[90:91], s[18:19]
; %bb.9020:                             ;   in Loop: Header=BB6_6244 Depth=2
	v_bfe_u32 v15, v14, 20, 1
	v_add_co_u32_e64 v15, s[18:19], v14, v15
	v_add_co_u32_e64 v15, s[18:19], -1, v15
; %bb.9021:                             ;   in Loop: Header=BB6_6244 Depth=2
	s_or_b64 exec, exec, s[90:91]
	v_add_u32_e32 v7, 0xffffff81, v7
	v_mov_b32_e32 v16, 0xffffff82
	v_cndmask_b32_e32 v7, v7, v16, vcc
	v_lshrrev_b32_e32 v16, 23, v14
	v_add3_u32 v16, v8, v7, v16
	v_add_u32_e32 v8, 6, v16
	v_and_b32_e32 v7, 0xfffff, v15
	v_add_u32_e32 v14, v7, v14
	v_mov_b32_e32 v15, v51
	v_cmp_ne_u32_e32 vcc, 0, v8
                                        ; implicit-def: $vgpr7
	s_and_saveexec_b64 s[18:19], vcc
	s_xor_b64 s[18:19], exec, s[18:19]
; %bb.9022:                             ;   in Loop: Header=BB6_6244 Depth=2
	v_cmp_lt_u64_e32 vcc, s[58:59], v[14:15]
	v_add_u32_e32 v7, 7, v16
	v_cndmask_b32_e32 v7, v8, v7, vcc
	v_cndmask_b32_e64 v8, 0, 1, vcc
	v_lshrrev_b64 v[14:15], v8, v[14:15]
; %bb.9023:                             ;   in Loop: Header=BB6_6244 Depth=2
	s_andn2_saveexec_b64 s[18:19], s[18:19]
; %bb.9024:                             ;   in Loop: Header=BB6_6244 Depth=2
	v_bfe_u32 v7, v14, 23, 1
; %bb.9025:                             ;   in Loop: Header=BB6_6244 Depth=2
	s_or_b64 exec, exec, s[18:19]
	v_lshrrev_b64 v[14:15], 20, v[14:15]
	v_cmp_gt_i32_e32 vcc, 16, v7
	v_cndmask_b32_e32 v15, 0, v15, vcc
	v_cndmask_b32_e32 v14, 7, v14, vcc
	v_cmp_eq_u32_e32 vcc, 0, v7
	v_min_i32_e32 v7, 15, v7
	v_cmp_eq_u64_e64 s[18:19], 0, v[14:15]
	v_lshlrev_b32_e32 v7, 3, v7
	v_and_b32_e32 v7, 0xf8, v7
	v_and_or_b32 v7, v14, 7, v7
	s_and_b64 s[18:19], vcc, s[18:19]
	v_cndmask_b32_e64 v7, v7, 0, s[18:19]
	v_or_b32_e32 v19, v7, v2
.LBB6_9026:                             ;   in Loop: Header=BB6_6244 Depth=2
	s_or_b64 exec, exec, s[88:89]
                                        ; implicit-def: $vgpr2
.LBB6_9027:                             ;   in Loop: Header=BB6_6244 Depth=2
	s_andn2_saveexec_b64 s[18:19], s[78:79]
; %bb.9028:                             ;   in Loop: Header=BB6_6244 Depth=2
	v_or_b32_e32 v19, 0x7e, v2
; %bb.9029:                             ;   in Loop: Header=BB6_6244 Depth=2
	s_or_b64 exec, exec, s[18:19]
                                        ; implicit-def: $vgpr7
.LBB6_9030:                             ;   in Loop: Header=BB6_6244 Depth=2
	s_andn2_saveexec_b64 s[18:19], s[76:77]
; %bb.9031:                             ;   in Loop: Header=BB6_6244 Depth=2
	v_or_b32_sdwa v19, v7, s39 dst_sel:DWORD dst_unused:UNUSED_PAD src0_sel:BYTE_3 src1_sel:DWORD
; %bb.9032:                             ;   in Loop: Header=BB6_6244 Depth=2
	s_or_b64 exec, exec, s[18:19]
	v_lshrrev_b16_e32 v14, 8, v0
	v_cmp_ne_u16_e32 vcc, 0, v14
	v_mov_b32_e32 v2, 0
	v_mov_b32_e32 v7, 0
	s_and_saveexec_b64 s[18:19], vcc
	s_cbranch_execz .LBB6_9038
; %bb.9033:                             ;   in Loop: Header=BB6_6244 Depth=2
	v_cmp_ne_u16_e32 vcc, s50, v14
	v_bfrev_b32_e32 v7, 1
	s_and_saveexec_b64 s[76:77], vcc
	s_cbranch_execz .LBB6_9037
; %bb.9034:                             ;   in Loop: Header=BB6_6244 Depth=2
	v_and_b32_e32 v8, 0x7f, v14
	v_cmp_ne_u32_e32 vcc, s39, v8
	v_mov_b32_e32 v7, 0x7f800001
	s_and_saveexec_b64 s[78:79], vcc
	s_cbranch_execz .LBB6_9036
; %bb.9035:                             ;   in Loop: Header=BB6_6244 Depth=2
	v_and_b32_e32 v15, 7, v14
	v_ffbh_u32_e32 v7, v15
	v_min_u32_e32 v24, 32, v7
	v_subrev_u32_e32 v7, 28, v24
	v_lshrrev_b32_e32 v16, 3, v8
	v_cmp_gt_u32_e32 vcc, 8, v8
	v_lshlrev_b64 v[7:8], v7, v[14:15]
	v_sub_u32_e32 v8, 29, v24
	v_and_b32_e32 v7, 7, v7
	v_cndmask_b32_e32 v8, v16, v8, vcc
	v_cndmask_b32_e32 v7, v15, v7, vcc
	v_lshlrev_b32_e32 v0, 16, v0
	v_lshlrev_b32_e32 v7, 20, v7
	v_and_b32_e32 v0, 0x80000000, v0
	v_lshl_add_u32 v8, v8, 23, v62
	v_or3_b32 v7, v0, v8, v7
.LBB6_9036:                             ;   in Loop: Header=BB6_6244 Depth=2
	s_or_b64 exec, exec, s[78:79]
.LBB6_9037:                             ;   in Loop: Header=BB6_6244 Depth=2
	s_or_b64 exec, exec, s[76:77]
.LBB6_9038:                             ;   in Loop: Header=BB6_6244 Depth=2
	s_or_b64 exec, exec, s[18:19]
	v_lshrrev_b16_e32 v14, 8, v10
	v_cmp_ne_u16_e32 vcc, 0, v14
	s_and_saveexec_b64 s[18:19], vcc
	s_cbranch_execz .LBB6_9044
; %bb.9039:                             ;   in Loop: Header=BB6_6244 Depth=2
	v_cmp_ne_u16_e32 vcc, s50, v14
	v_bfrev_b32_e32 v2, 1
	s_and_saveexec_b64 s[76:77], vcc
	s_cbranch_execz .LBB6_9043
; %bb.9040:                             ;   in Loop: Header=BB6_6244 Depth=2
	v_and_b32_e32 v0, 0x7f, v14
	v_cmp_ne_u32_e32 vcc, s39, v0
	v_mov_b32_e32 v2, 0x7f800001
	s_and_saveexec_b64 s[78:79], vcc
	s_cbranch_execz .LBB6_9042
; %bb.9041:                             ;   in Loop: Header=BB6_6244 Depth=2
	v_and_b32_e32 v2, 7, v14
	v_lshrrev_b32_e32 v8, 3, v0
	v_cmp_gt_u32_e32 vcc, 8, v0
	v_ffbh_u32_e32 v0, v2
	v_min_u32_e32 v0, 32, v0
	v_subrev_u32_e32 v15, 28, v0
	v_lshlrev_b64 v[14:15], v15, v[14:15]
	v_sub_u32_e32 v0, 29, v0
	v_and_b32_e32 v14, 7, v14
	v_cndmask_b32_e32 v0, v8, v0, vcc
	v_cndmask_b32_e32 v2, v2, v14, vcc
	v_lshlrev_b32_e32 v8, 16, v10
	v_lshlrev_b32_e32 v2, 20, v2
	v_and_b32_e32 v8, 0x80000000, v8
	v_lshl_add_u32 v0, v0, 23, v62
	v_or3_b32 v2, v8, v0, v2
.LBB6_9042:                             ;   in Loop: Header=BB6_6244 Depth=2
	s_or_b64 exec, exec, s[78:79]
.LBB6_9043:                             ;   in Loop: Header=BB6_6244 Depth=2
	s_or_b64 exec, exec, s[76:77]
.LBB6_9044:                             ;   in Loop: Header=BB6_6244 Depth=2
	s_or_b64 exec, exec, s[18:19]
	v_add_f32_e32 v7, v7, v2
	v_and_b32_e32 v14, 0x7f800000, v7
	v_mov_b32_e32 v15, v51
	v_cmp_ne_u64_e32 vcc, s[46:47], v[14:15]
                                        ; implicit-def: $vgpr2
	s_and_saveexec_b64 s[18:19], vcc
	s_xor_b64 s[76:77], exec, s[18:19]
	s_cbranch_execz .LBB6_9058
; %bb.9045:                             ;   in Loop: Header=BB6_6244 Depth=2
	v_and_b32_e32 v14, 0x7fffffff, v7
	v_mov_b32_e32 v15, v51
	v_cmp_gt_u64_e32 vcc, s[56:57], v[14:15]
	v_and_b32_sdwa v0, v7, s50 dst_sel:DWORD dst_unused:UNUSED_PAD src0_sel:BYTE_3 src1_sel:DWORD
                                        ; implicit-def: $vgpr2
	s_and_saveexec_b64 s[18:19], vcc
	s_xor_b64 s[78:79], exec, s[18:19]
	s_cbranch_execz .LBB6_9055
; %bb.9046:                             ;   in Loop: Header=BB6_6244 Depth=2
	v_mov_b32_e32 v2, 0
	v_cmp_ne_u32_e32 vcc, 0, v7
	s_and_saveexec_b64 s[88:89], vcc
	s_cbranch_execz .LBB6_9054
; %bb.9047:                             ;   in Loop: Header=BB6_6244 Depth=2
	v_bfe_u32 v2, v7, 23, 8
	v_and_b32_e32 v8, 0x7fffff, v7
	v_cmp_gt_u32_e64 s[18:19], s51, v2
	v_sub_u32_e32 v7, 0x79, v2
	v_cmp_eq_u32_e32 vcc, 0, v2
	v_cndmask_b32_e64 v7, 0, v7, s[18:19]
	v_mov_b32_e32 v15, 0x78
	v_or_b32_e32 v14, 0x800000, v8
	v_cndmask_b32_e32 v7, v7, v15, vcc
	v_cndmask_b32_e32 v14, v14, v8, vcc
	v_add_u32_e32 v8, 20, v7
	v_lshlrev_b64 v[28:29], v8, -1
	v_mov_b32_e32 v15, v51
	v_add_u32_e32 v8, 19, v7
	v_bfi_b32 v28, v28, 0, v14
	v_lshlrev_b64 v[36:37], v8, 1
	v_lshrrev_b64 v[14:15], v7, v[14:15]
	v_bfi_b32 v29, v29, 0, 0
	v_cmp_eq_u64_e64 s[18:19], v[28:29], v[36:37]
	v_mov_b32_e32 v16, v15
	v_mov_b32_e32 v15, v14
	s_and_saveexec_b64 s[90:91], s[18:19]
; %bb.9048:                             ;   in Loop: Header=BB6_6244 Depth=2
	v_bfe_u32 v8, v14, 20, 1
	v_add_co_u32_e64 v8, s[18:19], v14, v8
	v_add_co_u32_e64 v15, s[18:19], -1, v8
; %bb.9049:                             ;   in Loop: Header=BB6_6244 Depth=2
	s_or_b64 exec, exec, s[90:91]
	v_add_u32_e32 v2, 0xffffff81, v2
	v_mov_b32_e32 v8, 0xffffff82
	v_cndmask_b32_e32 v2, v2, v8, vcc
	v_lshrrev_b32_e32 v8, 23, v14
	v_add3_u32 v8, v7, v2, v8
	v_add_u32_e32 v7, 6, v8
	v_and_b32_e32 v2, 0xfffff, v15
	v_add_u32_e32 v14, v2, v14
	v_mov_b32_e32 v15, v51
	v_cmp_ne_u32_e32 vcc, 0, v7
                                        ; implicit-def: $vgpr2
	s_and_saveexec_b64 s[18:19], vcc
	s_xor_b64 s[18:19], exec, s[18:19]
; %bb.9050:                             ;   in Loop: Header=BB6_6244 Depth=2
	v_cmp_lt_u64_e32 vcc, s[58:59], v[14:15]
	v_add_u32_e32 v2, 7, v8
	v_cndmask_b32_e32 v2, v7, v2, vcc
	v_cndmask_b32_e64 v7, 0, 1, vcc
	v_lshrrev_b64 v[14:15], v7, v[14:15]
; %bb.9051:                             ;   in Loop: Header=BB6_6244 Depth=2
	s_andn2_saveexec_b64 s[18:19], s[18:19]
; %bb.9052:                             ;   in Loop: Header=BB6_6244 Depth=2
	v_bfe_u32 v2, v14, 23, 1
; %bb.9053:                             ;   in Loop: Header=BB6_6244 Depth=2
	s_or_b64 exec, exec, s[18:19]
	v_lshrrev_b64 v[7:8], 20, v[14:15]
	v_cmp_gt_i32_e32 vcc, 16, v2
	v_cndmask_b32_e32 v8, 0, v8, vcc
	v_cndmask_b32_e32 v7, 7, v7, vcc
	v_cmp_eq_u32_e32 vcc, 0, v2
	v_min_i32_e32 v2, 15, v2
	v_cmp_eq_u64_e64 s[18:19], 0, v[7:8]
	v_lshlrev_b32_e32 v2, 3, v2
	v_and_b32_e32 v2, 0xf8, v2
	v_and_or_b32 v2, v7, 7, v2
	s_and_b64 s[18:19], vcc, s[18:19]
	v_cndmask_b32_e64 v2, v2, 0, s[18:19]
	v_or_b32_e32 v2, v2, v0
.LBB6_9054:                             ;   in Loop: Header=BB6_6244 Depth=2
	s_or_b64 exec, exec, s[88:89]
                                        ; implicit-def: $vgpr0
.LBB6_9055:                             ;   in Loop: Header=BB6_6244 Depth=2
	s_andn2_saveexec_b64 s[18:19], s[78:79]
; %bb.9056:                             ;   in Loop: Header=BB6_6244 Depth=2
	v_or_b32_e32 v2, 0x7e, v0
; %bb.9057:                             ;   in Loop: Header=BB6_6244 Depth=2
	s_or_b64 exec, exec, s[18:19]
                                        ; implicit-def: $vgpr7
.LBB6_9058:                             ;   in Loop: Header=BB6_6244 Depth=2
	s_andn2_saveexec_b64 s[18:19], s[76:77]
; %bb.9059:                             ;   in Loop: Header=BB6_6244 Depth=2
	v_or_b32_sdwa v2, v7, s39 dst_sel:DWORD dst_unused:UNUSED_PAD src0_sel:BYTE_3 src1_sel:DWORD
; %bb.9060:                             ;   in Loop: Header=BB6_6244 Depth=2
	s_or_b64 exec, exec, s[18:19]
	v_lshrrev_b32_e32 v14, 16, v50
	v_cmp_ne_u16_sdwa s[76:77], v14, v51 src0_sel:BYTE_0 src1_sel:DWORD
	v_mov_b32_e32 v0, 0
	v_mov_b32_e32 v7, 0
	s_and_saveexec_b64 s[18:19], s[76:77]
	s_cbranch_execz .LBB6_9066
; %bb.9061:                             ;   in Loop: Header=BB6_6244 Depth=2
	v_cmp_ne_u16_sdwa s[78:79], v14, s50 src0_sel:BYTE_0 src1_sel:DWORD
	v_bfrev_b32_e32 v7, 1
	s_and_saveexec_b64 s[76:77], s[78:79]
	s_cbranch_execz .LBB6_9065
; %bb.9062:                             ;   in Loop: Header=BB6_6244 Depth=2
	v_bfe_u32 v8, v50, 16, 7
	v_cmp_ne_u32_e32 vcc, s39, v8
	v_mov_b32_e32 v7, 0x7f800001
	s_and_saveexec_b64 s[78:79], vcc
	s_cbranch_execz .LBB6_9064
; %bb.9063:                             ;   in Loop: Header=BB6_6244 Depth=2
	v_and_b32_e32 v15, 7, v14
	v_ffbh_u32_e32 v7, v15
	v_min_u32_e32 v24, 32, v7
	v_subrev_u32_e32 v7, 28, v24
	v_lshrrev_b32_e32 v16, 3, v8
	v_cmp_gt_u32_e32 vcc, 8, v8
	v_lshlrev_b64 v[7:8], v7, v[14:15]
	v_sub_u32_e32 v8, 29, v24
	v_and_b32_e32 v7, 7, v7
	v_cndmask_b32_e32 v8, v16, v8, vcc
	v_cndmask_b32_e32 v7, v15, v7, vcc
	v_lshlrev_b32_e32 v14, 24, v14
	v_lshlrev_b32_e32 v7, 20, v7
	v_and_b32_e32 v14, 0x80000000, v14
	v_lshl_add_u32 v8, v8, 23, v62
	v_or3_b32 v7, v14, v8, v7
.LBB6_9064:                             ;   in Loop: Header=BB6_6244 Depth=2
	s_or_b64 exec, exec, s[78:79]
.LBB6_9065:                             ;   in Loop: Header=BB6_6244 Depth=2
	s_or_b64 exec, exec, s[76:77]
.LBB6_9066:                             ;   in Loop: Header=BB6_6244 Depth=2
	s_or_b64 exec, exec, s[18:19]
	v_lshrrev_b32_e32 v14, 16, v10
	v_cmp_ne_u16_sdwa s[76:77], v14, v51 src0_sel:BYTE_0 src1_sel:DWORD
	s_and_saveexec_b64 s[18:19], s[76:77]
	s_cbranch_execz .LBB6_9072
; %bb.9067:                             ;   in Loop: Header=BB6_6244 Depth=2
	v_cmp_ne_u16_sdwa s[78:79], v14, s50 src0_sel:BYTE_0 src1_sel:DWORD
	v_bfrev_b32_e32 v0, 1
	s_and_saveexec_b64 s[76:77], s[78:79]
	s_cbranch_execz .LBB6_9071
; %bb.9068:                             ;   in Loop: Header=BB6_6244 Depth=2
	v_bfe_u32 v8, v10, 16, 7
	v_cmp_ne_u32_e32 vcc, s39, v8
	v_mov_b32_e32 v0, 0x7f800001
	s_and_saveexec_b64 s[78:79], vcc
	s_cbranch_execz .LBB6_9070
; %bb.9069:                             ;   in Loop: Header=BB6_6244 Depth=2
	v_and_b32_e32 v0, 7, v14
	v_lshrrev_b32_e32 v16, 3, v8
	v_cmp_gt_u32_e32 vcc, 8, v8
	v_ffbh_u32_e32 v8, v0
	v_min_u32_e32 v8, 32, v8
	v_subrev_u32_e32 v15, 28, v8
	v_lshlrev_b64 v[14:15], v15, v[14:15]
	v_sub_u32_e32 v8, 29, v8
	v_and_b32_e32 v14, 7, v14
	v_cndmask_b32_e32 v8, v16, v8, vcc
	v_cndmask_b32_e32 v0, v0, v14, vcc
	v_lshlrev_b32_e32 v14, 8, v10
	v_lshlrev_b32_e32 v0, 20, v0
	v_and_b32_e32 v14, 0x80000000, v14
	v_lshl_add_u32 v8, v8, 23, v62
	v_or3_b32 v0, v14, v8, v0
.LBB6_9070:                             ;   in Loop: Header=BB6_6244 Depth=2
	s_or_b64 exec, exec, s[78:79]
.LBB6_9071:                             ;   in Loop: Header=BB6_6244 Depth=2
	s_or_b64 exec, exec, s[76:77]
.LBB6_9072:                             ;   in Loop: Header=BB6_6244 Depth=2
	s_or_b64 exec, exec, s[18:19]
	v_add_f32_e32 v7, v7, v0
	v_and_b32_e32 v14, 0x7f800000, v7
	v_mov_b32_e32 v15, v51
	v_cmp_ne_u64_e32 vcc, s[46:47], v[14:15]
                                        ; implicit-def: $vgpr36
	s_and_saveexec_b64 s[18:19], vcc
	s_xor_b64 s[76:77], exec, s[18:19]
	s_cbranch_execz .LBB6_9086
; %bb.9073:                             ;   in Loop: Header=BB6_6244 Depth=2
	v_and_b32_e32 v14, 0x7fffffff, v7
	v_mov_b32_e32 v15, v51
	v_cmp_gt_u64_e32 vcc, s[56:57], v[14:15]
	v_and_b32_sdwa v0, v7, s50 dst_sel:DWORD dst_unused:UNUSED_PAD src0_sel:BYTE_3 src1_sel:DWORD
                                        ; implicit-def: $vgpr36
	s_and_saveexec_b64 s[18:19], vcc
	s_xor_b64 s[78:79], exec, s[18:19]
	s_cbranch_execz .LBB6_9083
; %bb.9074:                             ;   in Loop: Header=BB6_6244 Depth=2
	v_mov_b32_e32 v36, 0
	v_cmp_ne_u32_e32 vcc, 0, v7
	s_and_saveexec_b64 s[88:89], vcc
	s_cbranch_execz .LBB6_9082
; %bb.9075:                             ;   in Loop: Header=BB6_6244 Depth=2
	v_and_b32_e32 v14, 0x7fffff, v7
	v_bfe_u32 v7, v7, 23, 8
	v_cmp_gt_u32_e64 s[18:19], s51, v7
	v_sub_u32_e32 v8, 0x79, v7
	v_cmp_eq_u32_e32 vcc, 0, v7
	v_cndmask_b32_e64 v8, 0, v8, s[18:19]
	v_mov_b32_e32 v16, 0x78
	v_cndmask_b32_e32 v8, v8, v16, vcc
	v_add_u32_e32 v16, 20, v8
	v_or_b32_e32 v15, 0x800000, v14
	v_lshlrev_b64 v[28:29], v16, -1
	v_cndmask_b32_e32 v14, v15, v14, vcc
	v_mov_b32_e32 v15, v51
	v_add_u32_e32 v16, 19, v8
	v_bfi_b32 v28, v28, 0, v14
	v_lshlrev_b64 v[36:37], v16, 1
	v_lshrrev_b64 v[14:15], v8, v[14:15]
	v_bfi_b32 v29, v29, 0, 0
	v_cmp_eq_u64_e64 s[18:19], v[28:29], v[36:37]
	v_mov_b32_e32 v16, v15
	v_mov_b32_e32 v15, v14
	s_and_saveexec_b64 s[90:91], s[18:19]
; %bb.9076:                             ;   in Loop: Header=BB6_6244 Depth=2
	v_bfe_u32 v15, v14, 20, 1
	v_add_co_u32_e64 v15, s[18:19], v14, v15
	v_add_co_u32_e64 v15, s[18:19], -1, v15
; %bb.9077:                             ;   in Loop: Header=BB6_6244 Depth=2
	s_or_b64 exec, exec, s[90:91]
	v_add_u32_e32 v7, 0xffffff81, v7
	v_mov_b32_e32 v16, 0xffffff82
	v_cndmask_b32_e32 v7, v7, v16, vcc
	v_lshrrev_b32_e32 v16, 23, v14
	v_add3_u32 v16, v8, v7, v16
	v_add_u32_e32 v8, 6, v16
	v_and_b32_e32 v7, 0xfffff, v15
	v_add_u32_e32 v14, v7, v14
	v_mov_b32_e32 v15, v51
	v_cmp_ne_u32_e32 vcc, 0, v8
                                        ; implicit-def: $vgpr7
	s_and_saveexec_b64 s[18:19], vcc
	s_xor_b64 s[18:19], exec, s[18:19]
; %bb.9078:                             ;   in Loop: Header=BB6_6244 Depth=2
	v_cmp_lt_u64_e32 vcc, s[58:59], v[14:15]
	v_add_u32_e32 v7, 7, v16
	v_cndmask_b32_e32 v7, v8, v7, vcc
	v_cndmask_b32_e64 v8, 0, 1, vcc
	v_lshrrev_b64 v[14:15], v8, v[14:15]
; %bb.9079:                             ;   in Loop: Header=BB6_6244 Depth=2
	s_andn2_saveexec_b64 s[18:19], s[18:19]
; %bb.9080:                             ;   in Loop: Header=BB6_6244 Depth=2
	v_bfe_u32 v7, v14, 23, 1
; %bb.9081:                             ;   in Loop: Header=BB6_6244 Depth=2
	s_or_b64 exec, exec, s[18:19]
	v_lshrrev_b64 v[14:15], 20, v[14:15]
	v_cmp_gt_i32_e32 vcc, 16, v7
	v_cndmask_b32_e32 v15, 0, v15, vcc
	v_cndmask_b32_e32 v14, 7, v14, vcc
	v_cmp_eq_u32_e32 vcc, 0, v7
	v_min_i32_e32 v7, 15, v7
	v_cmp_eq_u64_e64 s[18:19], 0, v[14:15]
	v_lshlrev_b32_e32 v7, 3, v7
	v_and_b32_e32 v7, 0xf8, v7
	v_and_or_b32 v7, v14, 7, v7
	s_and_b64 s[18:19], vcc, s[18:19]
	v_cndmask_b32_e64 v7, v7, 0, s[18:19]
	v_or_b32_e32 v36, v7, v0
.LBB6_9082:                             ;   in Loop: Header=BB6_6244 Depth=2
	s_or_b64 exec, exec, s[88:89]
                                        ; implicit-def: $vgpr0
.LBB6_9083:                             ;   in Loop: Header=BB6_6244 Depth=2
	s_andn2_saveexec_b64 s[18:19], s[78:79]
; %bb.9084:                             ;   in Loop: Header=BB6_6244 Depth=2
	v_or_b32_e32 v36, 0x7e, v0
; %bb.9085:                             ;   in Loop: Header=BB6_6244 Depth=2
	s_or_b64 exec, exec, s[18:19]
                                        ; implicit-def: $vgpr7
.LBB6_9086:                             ;   in Loop: Header=BB6_6244 Depth=2
	s_andn2_saveexec_b64 s[18:19], s[76:77]
; %bb.9087:                             ;   in Loop: Header=BB6_6244 Depth=2
	v_or_b32_sdwa v36, v7, s39 dst_sel:DWORD dst_unused:UNUSED_PAD src0_sel:BYTE_3 src1_sel:DWORD
; %bb.9088:                             ;   in Loop: Header=BB6_6244 Depth=2
	s_or_b64 exec, exec, s[18:19]
	v_cmp_lt_u32_e32 vcc, s61, v50
	v_mov_b32_e32 v0, 0
	v_mov_b32_e32 v7, 0
	s_and_saveexec_b64 s[18:19], vcc
	s_cbranch_execz .LBB6_9094
; %bb.9089:                             ;   in Loop: Header=BB6_6244 Depth=2
	v_lshrrev_b32_e32 v14, 24, v50
	v_cmp_ne_u32_sdwa s[78:79], v50, s50 src0_sel:BYTE_3 src1_sel:DWORD
	v_bfrev_b32_e32 v7, 1
	s_and_saveexec_b64 s[76:77], s[78:79]
	s_cbranch_execz .LBB6_9093
; %bb.9090:                             ;   in Loop: Header=BB6_6244 Depth=2
	v_bfe_u32 v8, v50, 24, 7
	v_cmp_ne_u32_e32 vcc, s39, v8
	v_mov_b32_e32 v7, 0x7f800001
	s_and_saveexec_b64 s[78:79], vcc
	s_cbranch_execz .LBB6_9092
; %bb.9091:                             ;   in Loop: Header=BB6_6244 Depth=2
	v_and_b32_e32 v15, 7, v14
	v_ffbh_u32_e32 v7, v15
	v_min_u32_e32 v24, 32, v7
	v_subrev_u32_e32 v7, 28, v24
	v_lshrrev_b32_e32 v16, 3, v8
	v_cmp_gt_u32_e32 vcc, 8, v8
	v_lshlrev_b64 v[7:8], v7, v[14:15]
	v_sub_u32_e32 v8, 29, v24
	v_and_b32_e32 v7, 7, v7
	v_mov_b32_e32 v14, 24
	v_cndmask_b32_e32 v8, v16, v8, vcc
	v_cndmask_b32_e32 v7, v15, v7, vcc
	v_lshlrev_b32_sdwa v14, v14, v50 dst_sel:DWORD dst_unused:UNUSED_PAD src0_sel:DWORD src1_sel:BYTE_3
	v_lshlrev_b32_e32 v7, 20, v7
	v_and_b32_e32 v14, 0x80000000, v14
	v_lshl_add_u32 v8, v8, 23, v62
	v_or3_b32 v7, v14, v8, v7
.LBB6_9092:                             ;   in Loop: Header=BB6_6244 Depth=2
	s_or_b64 exec, exec, s[78:79]
.LBB6_9093:                             ;   in Loop: Header=BB6_6244 Depth=2
	s_or_b64 exec, exec, s[76:77]
.LBB6_9094:                             ;   in Loop: Header=BB6_6244 Depth=2
	s_or_b64 exec, exec, s[18:19]
	v_cmp_lt_u32_e32 vcc, s61, v10
	s_and_saveexec_b64 s[18:19], vcc
	s_cbranch_execz .LBB6_9100
; %bb.9095:                             ;   in Loop: Header=BB6_6244 Depth=2
	v_lshrrev_b32_e32 v14, 24, v10
	v_cmp_ne_u32_e32 vcc, s50, v14
	v_bfrev_b32_e32 v0, 1
	s_and_saveexec_b64 s[76:77], vcc
	s_cbranch_execz .LBB6_9099
; %bb.9096:                             ;   in Loop: Header=BB6_6244 Depth=2
	v_bfe_u32 v8, v10, 24, 7
	v_cmp_ne_u32_e32 vcc, s39, v8
	v_mov_b32_e32 v0, 0x7f800001
	s_and_saveexec_b64 s[78:79], vcc
	s_cbranch_execz .LBB6_9098
; %bb.9097:                             ;   in Loop: Header=BB6_6244 Depth=2
	v_and_b32_e32 v0, 7, v14
	v_lshrrev_b32_e32 v24, 3, v8
	v_cmp_gt_u32_e32 vcc, 8, v8
	v_ffbh_u32_e32 v8, v0
	v_min_u32_e32 v8, 32, v8
	v_subrev_u32_e32 v15, 28, v8
	v_lshlrev_b64 v[15:16], v15, v[14:15]
	v_sub_u32_e32 v8, 29, v8
	v_and_b32_e32 v15, 7, v15
	v_cndmask_b32_e32 v8, v24, v8, vcc
	v_cndmask_b32_e32 v0, v0, v15, vcc
	v_lshlrev_b32_e32 v14, 24, v14
	v_lshlrev_b32_e32 v0, 20, v0
	v_and_b32_e32 v14, 0x80000000, v14
	v_lshl_add_u32 v8, v8, 23, v62
	v_or3_b32 v0, v14, v8, v0
.LBB6_9098:                             ;   in Loop: Header=BB6_6244 Depth=2
	s_or_b64 exec, exec, s[78:79]
.LBB6_9099:                             ;   in Loop: Header=BB6_6244 Depth=2
	s_or_b64 exec, exec, s[76:77]
.LBB6_9100:                             ;   in Loop: Header=BB6_6244 Depth=2
	s_or_b64 exec, exec, s[18:19]
	v_add_f32_e32 v7, v7, v0
	v_and_b32_e32 v50, 0x7f800000, v7
	v_cmp_ne_u64_e32 vcc, s[46:47], v[50:51]
                                        ; implicit-def: $vgpr53
	s_and_saveexec_b64 s[18:19], vcc
	s_xor_b64 s[76:77], exec, s[18:19]
	s_cbranch_execz .LBB6_9114
; %bb.9101:                             ;   in Loop: Header=BB6_6244 Depth=2
	v_and_b32_e32 v50, 0x7fffffff, v7
	v_cmp_gt_u64_e32 vcc, s[56:57], v[50:51]
	v_and_b32_sdwa v0, v7, s50 dst_sel:DWORD dst_unused:UNUSED_PAD src0_sel:BYTE_3 src1_sel:DWORD
                                        ; implicit-def: $vgpr53
	s_and_saveexec_b64 s[18:19], vcc
	s_xor_b64 s[78:79], exec, s[18:19]
	s_cbranch_execz .LBB6_9111
; %bb.9102:                             ;   in Loop: Header=BB6_6244 Depth=2
	v_mov_b32_e32 v53, 0
	v_cmp_ne_u32_e32 vcc, 0, v7
	s_and_saveexec_b64 s[88:89], vcc
	s_cbranch_execz .LBB6_9110
; %bb.9103:                             ;   in Loop: Header=BB6_6244 Depth=2
	v_and_b32_e32 v14, 0x7fffff, v7
	v_bfe_u32 v7, v7, 23, 8
	v_cmp_gt_u32_e64 s[18:19], s51, v7
	v_sub_u32_e32 v8, 0x79, v7
	v_cmp_eq_u32_e32 vcc, 0, v7
	v_cndmask_b32_e64 v8, 0, v8, s[18:19]
	v_mov_b32_e32 v16, 0x78
	v_or_b32_e32 v15, 0x800000, v14
	v_cndmask_b32_e32 v8, v8, v16, vcc
	v_cndmask_b32_e32 v50, v15, v14, vcc
	v_add_u32_e32 v14, 20, v8
	v_lshlrev_b64 v[14:15], v14, -1
	v_add_u32_e32 v16, 19, v8
	v_lshlrev_b64 v[28:29], v16, 1
	v_bfi_b32 v15, v15, 0, 0
	v_bfi_b32 v14, v14, 0, v50
	v_cmp_eq_u64_e64 s[18:19], v[14:15], v[28:29]
	v_lshrrev_b64 v[14:15], v8, v[50:51]
	v_mov_b32_e32 v16, v15
	v_mov_b32_e32 v15, v14
	s_and_saveexec_b64 s[90:91], s[18:19]
; %bb.9104:                             ;   in Loop: Header=BB6_6244 Depth=2
	v_bfe_u32 v15, v14, 20, 1
	v_add_co_u32_e64 v15, s[18:19], v14, v15
	v_add_co_u32_e64 v15, s[18:19], -1, v15
; %bb.9105:                             ;   in Loop: Header=BB6_6244 Depth=2
	s_or_b64 exec, exec, s[90:91]
	v_add_u32_e32 v7, 0xffffff81, v7
	v_mov_b32_e32 v16, 0xffffff82
	v_cndmask_b32_e32 v7, v7, v16, vcc
	v_lshrrev_b32_e32 v16, 23, v14
	v_add3_u32 v16, v8, v7, v16
	v_add_u32_e32 v8, 6, v16
	v_and_b32_e32 v7, 0xfffff, v15
	v_add_u32_e32 v50, v7, v14
	v_cmp_ne_u32_e32 vcc, 0, v8
                                        ; implicit-def: $vgpr14_vgpr15
                                        ; implicit-def: $vgpr7
	s_and_saveexec_b64 s[18:19], vcc
	s_xor_b64 s[18:19], exec, s[18:19]
; %bb.9106:                             ;   in Loop: Header=BB6_6244 Depth=2
	v_cmp_lt_u64_e32 vcc, s[58:59], v[50:51]
	v_add_u32_e32 v7, 7, v16
	v_cndmask_b32_e32 v7, v8, v7, vcc
	v_cndmask_b32_e64 v8, 0, 1, vcc
	v_lshrrev_b64 v[14:15], v8, v[50:51]
; %bb.9107:                             ;   in Loop: Header=BB6_6244 Depth=2
	s_andn2_saveexec_b64 s[18:19], s[18:19]
; %bb.9108:                             ;   in Loop: Header=BB6_6244 Depth=2
	v_mov_b32_e32 v14, v50
	v_bfe_u32 v7, v50, 23, 1
	v_mov_b32_e32 v15, v51
; %bb.9109:                             ;   in Loop: Header=BB6_6244 Depth=2
	s_or_b64 exec, exec, s[18:19]
	v_lshrrev_b64 v[14:15], 20, v[14:15]
	v_cmp_gt_i32_e32 vcc, 16, v7
	v_cndmask_b32_e32 v15, 0, v15, vcc
	v_cndmask_b32_e32 v14, 7, v14, vcc
	v_cmp_eq_u32_e32 vcc, 0, v7
	v_min_i32_e32 v7, 15, v7
	v_cmp_eq_u64_e64 s[18:19], 0, v[14:15]
	v_lshlrev_b32_e32 v7, 3, v7
	v_and_b32_e32 v7, 0xf8, v7
	v_and_or_b32 v7, v14, 7, v7
	s_and_b64 s[18:19], vcc, s[18:19]
	v_cndmask_b32_e64 v7, v7, 0, s[18:19]
	v_or_b32_e32 v53, v7, v0
.LBB6_9110:                             ;   in Loop: Header=BB6_6244 Depth=2
	s_or_b64 exec, exec, s[88:89]
                                        ; implicit-def: $vgpr0
.LBB6_9111:                             ;   in Loop: Header=BB6_6244 Depth=2
	s_andn2_saveexec_b64 s[18:19], s[78:79]
; %bb.9112:                             ;   in Loop: Header=BB6_6244 Depth=2
	v_or_b32_e32 v53, 0x7e, v0
; %bb.9113:                             ;   in Loop: Header=BB6_6244 Depth=2
	s_or_b64 exec, exec, s[18:19]
                                        ; implicit-def: $vgpr7
.LBB6_9114:                             ;   in Loop: Header=BB6_6244 Depth=2
	s_andn2_saveexec_b64 s[18:19], s[76:77]
; %bb.9115:                             ;   in Loop: Header=BB6_6244 Depth=2
	v_or_b32_sdwa v53, v7, s39 dst_sel:DWORD dst_unused:UNUSED_PAD src0_sel:BYTE_3 src1_sel:DWORD
; %bb.9116:                             ;   in Loop: Header=BB6_6244 Depth=2
	s_or_b64 exec, exec, s[18:19]
	buffer_load_dword v7, off, s[0:3], s33 offset:140 ; 4-byte Folded Reload
	buffer_load_dword v8, off, s[0:3], s33 offset:164 ; 4-byte Folded Reload
	v_lshl_or_b32 v0, v40, 8, v9
	v_cmp_ne_u32_e32 vcc, 0, v9
	s_waitcnt vmcnt(1)
	v_lshlrev_b32_e32 v7, 16, v7
	s_waitcnt vmcnt(0)
	v_lshlrev_b32_e32 v8, 24, v8
	v_or3_b32 v50, v7, v8, v0
	v_mov_b32_e32 v8, 0
	v_mov_b32_e32 v7, 0
	s_and_saveexec_b64 s[18:19], vcc
	s_cbranch_execz .LBB6_9122
; %bb.9117:                             ;   in Loop: Header=BB6_6244 Depth=2
	v_cmp_ne_u32_e32 vcc, s50, v9
	v_bfrev_b32_e32 v7, 1
	s_and_saveexec_b64 s[76:77], vcc
	s_cbranch_execz .LBB6_9121
; %bb.9118:                             ;   in Loop: Header=BB6_6244 Depth=2
	v_and_b32_e32 v14, 0x7f, v9
	v_cmp_ne_u32_e32 vcc, s39, v14
	v_mov_b32_e32 v7, 0x7f800001
	s_and_saveexec_b64 s[78:79], vcc
	s_cbranch_execz .LBB6_9120
; %bb.9119:                             ;   in Loop: Header=BB6_6244 Depth=2
	v_and_b32_e32 v7, 7, v9
	v_ffbh_u32_e32 v7, v7
	v_min_u32_e32 v7, 32, v7
	v_lshrrev_b32_e32 v9, 3, v14
	v_cmp_gt_u32_e32 vcc, 8, v14
	v_subrev_u32_e32 v14, 28, v7
	v_sub_u32_e32 v7, 29, v7
	v_cndmask_b32_e32 v7, v9, v7, vcc
	v_cndmask_b32_e32 v9, 0, v14, vcc
	v_lshlrev_b64 v[14:15], v9, v[50:51]
	v_lshl_add_u32 v7, v7, 23, v62
	v_lshlrev_b32_e32 v9, 20, v14
	v_lshlrev_b32_e32 v14, 24, v50
	v_and_b32_e32 v9, 0x700000, v9
	v_and_b32_e32 v14, 0x80000000, v14
	v_or3_b32 v7, v14, v7, v9
.LBB6_9120:                             ;   in Loop: Header=BB6_6244 Depth=2
	s_or_b64 exec, exec, s[78:79]
.LBB6_9121:                             ;   in Loop: Header=BB6_6244 Depth=2
	s_or_b64 exec, exec, s[76:77]
.LBB6_9122:                             ;   in Loop: Header=BB6_6244 Depth=2
	s_or_b64 exec, exec, s[18:19]
	v_cmp_ne_u16_sdwa s[76:77], v11, v51 src0_sel:BYTE_0 src1_sel:DWORD
	s_and_saveexec_b64 s[18:19], s[76:77]
	s_cbranch_execz .LBB6_9128
; %bb.9123:                             ;   in Loop: Header=BB6_6244 Depth=2
	v_cmp_ne_u16_sdwa s[78:79], v11, s50 src0_sel:BYTE_0 src1_sel:DWORD
	v_bfrev_b32_e32 v8, 1
	s_and_saveexec_b64 s[76:77], s[78:79]
	s_cbranch_execz .LBB6_9127
; %bb.9124:                             ;   in Loop: Header=BB6_6244 Depth=2
	v_and_b32_e32 v9, 0x7f, v11
	v_cmp_ne_u32_e32 vcc, s39, v9
	v_mov_b32_e32 v8, 0x7f800001
	s_and_saveexec_b64 s[78:79], vcc
	s_cbranch_execz .LBB6_9126
; %bb.9125:                             ;   in Loop: Header=BB6_6244 Depth=2
	v_and_b32_e32 v8, 7, v11
	v_ffbh_u32_e32 v8, v8
	v_min_u32_e32 v8, 32, v8
	v_lshrrev_b32_e32 v16, 3, v9
	v_cmp_gt_u32_e32 vcc, 8, v9
	v_subrev_u32_e32 v9, 28, v8
	v_sub_u32_e32 v8, 29, v8
	v_mov_b32_e32 v14, v11
	v_mov_b32_e32 v15, v51
	v_cndmask_b32_e32 v16, v16, v8, vcc
	v_cndmask_b32_e32 v8, 0, v9, vcc
	v_lshlrev_b64 v[8:9], v8, v[14:15]
	v_lshlrev_b32_e32 v9, 24, v14
	v_lshlrev_b32_e32 v8, 20, v8
	v_and_b32_e32 v8, 0x700000, v8
	v_and_b32_e32 v9, 0x80000000, v9
	v_lshl_add_u32 v14, v16, 23, v62
	v_or3_b32 v8, v9, v14, v8
.LBB6_9126:                             ;   in Loop: Header=BB6_6244 Depth=2
	s_or_b64 exec, exec, s[78:79]
.LBB6_9127:                             ;   in Loop: Header=BB6_6244 Depth=2
	s_or_b64 exec, exec, s[76:77]
.LBB6_9128:                             ;   in Loop: Header=BB6_6244 Depth=2
	s_or_b64 exec, exec, s[18:19]
	v_add_f32_e32 v8, v7, v8
	v_and_b32_e32 v14, 0x7f800000, v8
	v_mov_b32_e32 v15, v51
	v_cmp_ne_u64_e32 vcc, s[46:47], v[14:15]
                                        ; implicit-def: $vgpr9
	s_and_saveexec_b64 s[18:19], vcc
	s_xor_b64 s[76:77], exec, s[18:19]
	s_cbranch_execz .LBB6_9142
; %bb.9129:                             ;   in Loop: Header=BB6_6244 Depth=2
	v_and_b32_e32 v14, 0x7fffffff, v8
	v_mov_b32_e32 v15, v51
	v_cmp_gt_u64_e32 vcc, s[56:57], v[14:15]
	v_and_b32_sdwa v7, v8, s50 dst_sel:DWORD dst_unused:UNUSED_PAD src0_sel:BYTE_3 src1_sel:DWORD
                                        ; implicit-def: $vgpr9
	s_and_saveexec_b64 s[18:19], vcc
	s_xor_b64 s[78:79], exec, s[18:19]
	s_cbranch_execz .LBB6_9139
; %bb.9130:                             ;   in Loop: Header=BB6_6244 Depth=2
	v_mov_b32_e32 v9, 0
	v_cmp_ne_u32_e32 vcc, 0, v8
	s_and_saveexec_b64 s[88:89], vcc
	s_cbranch_execz .LBB6_9138
; %bb.9131:                             ;   in Loop: Header=BB6_6244 Depth=2
	v_and_b32_e32 v14, 0x7fffff, v8
	v_bfe_u32 v8, v8, 23, 8
	v_cmp_gt_u32_e64 s[18:19], s51, v8
	v_sub_u32_e32 v9, 0x79, v8
	v_cmp_eq_u32_e32 vcc, 0, v8
	v_cndmask_b32_e64 v9, 0, v9, s[18:19]
	v_mov_b32_e32 v16, 0x78
	v_cndmask_b32_e32 v9, v9, v16, vcc
	v_add_u32_e32 v16, 20, v9
	v_or_b32_e32 v15, 0x800000, v14
	v_lshlrev_b64 v[28:29], v16, -1
	v_cndmask_b32_e32 v14, v15, v14, vcc
	v_mov_b32_e32 v15, v51
	v_add_u32_e32 v16, 19, v9
	v_bfi_b32 v28, v28, 0, v14
	v_lshlrev_b64 v[59:60], v16, 1
	v_lshrrev_b64 v[14:15], v9, v[14:15]
	v_bfi_b32 v29, v29, 0, 0
	v_cmp_eq_u64_e64 s[18:19], v[28:29], v[59:60]
	v_mov_b32_e32 v16, v15
	v_mov_b32_e32 v15, v14
	s_and_saveexec_b64 s[90:91], s[18:19]
; %bb.9132:                             ;   in Loop: Header=BB6_6244 Depth=2
	v_bfe_u32 v15, v14, 20, 1
	v_add_co_u32_e64 v15, s[18:19], v14, v15
	v_add_co_u32_e64 v15, s[18:19], -1, v15
; %bb.9133:                             ;   in Loop: Header=BB6_6244 Depth=2
	s_or_b64 exec, exec, s[90:91]
	v_add_u32_e32 v8, 0xffffff81, v8
	v_mov_b32_e32 v16, 0xffffff82
	v_cndmask_b32_e32 v8, v8, v16, vcc
	v_lshrrev_b32_e32 v16, 23, v14
	v_add3_u32 v16, v9, v8, v16
	v_add_u32_e32 v9, 6, v16
	v_and_b32_e32 v8, 0xfffff, v15
	v_add_u32_e32 v14, v8, v14
	v_mov_b32_e32 v15, v51
	v_cmp_ne_u32_e32 vcc, 0, v9
                                        ; implicit-def: $vgpr8
	s_and_saveexec_b64 s[18:19], vcc
	s_xor_b64 s[18:19], exec, s[18:19]
; %bb.9134:                             ;   in Loop: Header=BB6_6244 Depth=2
	v_cmp_lt_u64_e32 vcc, s[58:59], v[14:15]
	v_add_u32_e32 v8, 7, v16
	v_cndmask_b32_e32 v8, v9, v8, vcc
	v_cndmask_b32_e64 v9, 0, 1, vcc
	v_lshrrev_b64 v[14:15], v9, v[14:15]
; %bb.9135:                             ;   in Loop: Header=BB6_6244 Depth=2
	s_andn2_saveexec_b64 s[18:19], s[18:19]
; %bb.9136:                             ;   in Loop: Header=BB6_6244 Depth=2
	v_bfe_u32 v8, v14, 23, 1
; %bb.9137:                             ;   in Loop: Header=BB6_6244 Depth=2
	s_or_b64 exec, exec, s[18:19]
	v_lshrrev_b64 v[14:15], 20, v[14:15]
	v_cmp_gt_i32_e32 vcc, 16, v8
	v_cndmask_b32_e32 v15, 0, v15, vcc
	v_cndmask_b32_e32 v14, 7, v14, vcc
	v_cmp_eq_u32_e32 vcc, 0, v8
	v_min_i32_e32 v8, 15, v8
	v_cmp_eq_u64_e64 s[18:19], 0, v[14:15]
	v_lshlrev_b32_e32 v8, 3, v8
	v_and_b32_e32 v8, 0xf8, v8
	v_and_or_b32 v8, v14, 7, v8
	s_and_b64 s[18:19], vcc, s[18:19]
	v_cndmask_b32_e64 v8, v8, 0, s[18:19]
	v_or_b32_e32 v9, v8, v7
.LBB6_9138:                             ;   in Loop: Header=BB6_6244 Depth=2
	s_or_b64 exec, exec, s[88:89]
                                        ; implicit-def: $vgpr7
.LBB6_9139:                             ;   in Loop: Header=BB6_6244 Depth=2
	s_andn2_saveexec_b64 s[18:19], s[78:79]
; %bb.9140:                             ;   in Loop: Header=BB6_6244 Depth=2
	v_or_b32_e32 v9, 0x7e, v7
; %bb.9141:                             ;   in Loop: Header=BB6_6244 Depth=2
	s_or_b64 exec, exec, s[18:19]
                                        ; implicit-def: $vgpr8
.LBB6_9142:                             ;   in Loop: Header=BB6_6244 Depth=2
	s_andn2_saveexec_b64 s[18:19], s[76:77]
; %bb.9143:                             ;   in Loop: Header=BB6_6244 Depth=2
	v_or_b32_sdwa v9, v8, s39 dst_sel:DWORD dst_unused:UNUSED_PAD src0_sel:BYTE_3 src1_sel:DWORD
; %bb.9144:                             ;   in Loop: Header=BB6_6244 Depth=2
	s_or_b64 exec, exec, s[18:19]
	v_lshrrev_b16_e32 v14, 8, v0
	v_cmp_ne_u16_e32 vcc, 0, v14
	v_mov_b32_e32 v7, 0
	v_mov_b32_e32 v8, 0
	s_and_saveexec_b64 s[18:19], vcc
	s_cbranch_execz .LBB6_9150
; %bb.9145:                             ;   in Loop: Header=BB6_6244 Depth=2
	v_cmp_ne_u16_e32 vcc, s50, v14
	v_bfrev_b32_e32 v8, 1
	s_and_saveexec_b64 s[76:77], vcc
	s_cbranch_execz .LBB6_9149
; %bb.9146:                             ;   in Loop: Header=BB6_6244 Depth=2
	v_and_b32_e32 v15, 0x7f, v14
	v_cmp_ne_u32_e32 vcc, s39, v15
	v_mov_b32_e32 v8, 0x7f800001
	s_and_saveexec_b64 s[78:79], vcc
	s_cbranch_execz .LBB6_9148
; %bb.9147:                             ;   in Loop: Header=BB6_6244 Depth=2
	v_and_b32_e32 v8, 7, v14
	v_lshrrev_b32_e32 v16, 3, v15
	v_cmp_gt_u32_e32 vcc, 8, v15
	v_ffbh_u32_e32 v15, v8
	v_min_u32_e32 v24, 32, v15
	v_subrev_u32_e32 v15, 28, v24
	v_lshlrev_b64 v[14:15], v15, v[14:15]
	v_sub_u32_e32 v15, 29, v24
	v_and_b32_e32 v14, 7, v14
	v_cndmask_b32_e32 v15, v16, v15, vcc
	v_cndmask_b32_e32 v8, v8, v14, vcc
	v_lshlrev_b32_e32 v0, 16, v0
	v_lshlrev_b32_e32 v8, 20, v8
	v_and_b32_e32 v0, 0x80000000, v0
	v_lshl_add_u32 v14, v15, 23, v62
	v_or3_b32 v8, v0, v14, v8
.LBB6_9148:                             ;   in Loop: Header=BB6_6244 Depth=2
	s_or_b64 exec, exec, s[78:79]
.LBB6_9149:                             ;   in Loop: Header=BB6_6244 Depth=2
	s_or_b64 exec, exec, s[76:77]
.LBB6_9150:                             ;   in Loop: Header=BB6_6244 Depth=2
	s_or_b64 exec, exec, s[18:19]
	v_lshrrev_b16_e32 v14, 8, v11
	v_cmp_ne_u16_e32 vcc, 0, v14
	s_and_saveexec_b64 s[18:19], vcc
	s_cbranch_execz .LBB6_9156
; %bb.9151:                             ;   in Loop: Header=BB6_6244 Depth=2
	v_cmp_ne_u16_e32 vcc, s50, v14
	v_bfrev_b32_e32 v7, 1
	s_and_saveexec_b64 s[76:77], vcc
	s_cbranch_execz .LBB6_9155
; %bb.9152:                             ;   in Loop: Header=BB6_6244 Depth=2
	v_and_b32_e32 v0, 0x7f, v14
	v_cmp_ne_u32_e32 vcc, s39, v0
	v_mov_b32_e32 v7, 0x7f800001
	s_and_saveexec_b64 s[78:79], vcc
	s_cbranch_execz .LBB6_9154
; %bb.9153:                             ;   in Loop: Header=BB6_6244 Depth=2
	v_and_b32_e32 v7, 7, v14
	v_lshrrev_b32_e32 v16, 3, v0
	v_cmp_gt_u32_e32 vcc, 8, v0
	v_ffbh_u32_e32 v0, v7
	v_min_u32_e32 v0, 32, v0
	v_subrev_u32_e32 v15, 28, v0
	v_lshlrev_b64 v[14:15], v15, v[14:15]
	v_sub_u32_e32 v0, 29, v0
	v_and_b32_e32 v14, 7, v14
	v_cndmask_b32_e32 v0, v16, v0, vcc
	v_cndmask_b32_e32 v7, v7, v14, vcc
	v_lshlrev_b32_e32 v14, 16, v11
	v_lshlrev_b32_e32 v7, 20, v7
	v_and_b32_e32 v14, 0x80000000, v14
	v_lshl_add_u32 v0, v0, 23, v62
	v_or3_b32 v7, v14, v0, v7
.LBB6_9154:                             ;   in Loop: Header=BB6_6244 Depth=2
	s_or_b64 exec, exec, s[78:79]
.LBB6_9155:                             ;   in Loop: Header=BB6_6244 Depth=2
	s_or_b64 exec, exec, s[76:77]
.LBB6_9156:                             ;   in Loop: Header=BB6_6244 Depth=2
	s_or_b64 exec, exec, s[18:19]
	v_add_f32_e32 v7, v8, v7
	v_and_b32_e32 v14, 0x7f800000, v7
	v_mov_b32_e32 v15, v51
	v_cmp_ne_u64_e32 vcc, s[46:47], v[14:15]
                                        ; implicit-def: $vgpr60
	s_and_saveexec_b64 s[18:19], vcc
	s_xor_b64 s[76:77], exec, s[18:19]
	s_cbranch_execz .LBB6_9170
; %bb.9157:                             ;   in Loop: Header=BB6_6244 Depth=2
	v_and_b32_e32 v14, 0x7fffffff, v7
	v_mov_b32_e32 v15, v51
	v_cmp_gt_u64_e32 vcc, s[56:57], v[14:15]
	v_and_b32_sdwa v0, v7, s50 dst_sel:DWORD dst_unused:UNUSED_PAD src0_sel:BYTE_3 src1_sel:DWORD
                                        ; implicit-def: $vgpr60
	s_and_saveexec_b64 s[18:19], vcc
	s_xor_b64 s[78:79], exec, s[18:19]
	s_cbranch_execz .LBB6_9167
; %bb.9158:                             ;   in Loop: Header=BB6_6244 Depth=2
	v_mov_b32_e32 v60, 0
	v_cmp_ne_u32_e32 vcc, 0, v7
	s_and_saveexec_b64 s[88:89], vcc
	s_cbranch_execz .LBB6_9166
; %bb.9159:                             ;   in Loop: Header=BB6_6244 Depth=2
	v_and_b32_e32 v14, 0x7fffff, v7
	v_bfe_u32 v7, v7, 23, 8
	v_cmp_gt_u32_e64 s[18:19], s51, v7
	v_sub_u32_e32 v8, 0x79, v7
	v_cmp_eq_u32_e32 vcc, 0, v7
	v_cndmask_b32_e64 v8, 0, v8, s[18:19]
	v_mov_b32_e32 v16, 0x78
	v_cndmask_b32_e32 v8, v8, v16, vcc
	v_add_u32_e32 v16, 20, v8
	v_or_b32_e32 v15, 0x800000, v14
	v_lshlrev_b64 v[28:29], v16, -1
	v_cndmask_b32_e32 v14, v15, v14, vcc
	v_mov_b32_e32 v15, v51
	v_add_u32_e32 v16, 19, v8
	v_bfi_b32 v28, v28, 0, v14
	v_lshlrev_b64 v[59:60], v16, 1
	v_lshrrev_b64 v[14:15], v8, v[14:15]
	v_bfi_b32 v29, v29, 0, 0
	v_cmp_eq_u64_e64 s[18:19], v[28:29], v[59:60]
	v_mov_b32_e32 v16, v15
	v_mov_b32_e32 v15, v14
	s_and_saveexec_b64 s[90:91], s[18:19]
; %bb.9160:                             ;   in Loop: Header=BB6_6244 Depth=2
	v_bfe_u32 v15, v14, 20, 1
	v_add_co_u32_e64 v15, s[18:19], v14, v15
	v_add_co_u32_e64 v15, s[18:19], -1, v15
; %bb.9161:                             ;   in Loop: Header=BB6_6244 Depth=2
	s_or_b64 exec, exec, s[90:91]
	v_add_u32_e32 v7, 0xffffff81, v7
	v_mov_b32_e32 v16, 0xffffff82
	v_cndmask_b32_e32 v7, v7, v16, vcc
	v_lshrrev_b32_e32 v16, 23, v14
	v_add3_u32 v16, v8, v7, v16
	v_add_u32_e32 v8, 6, v16
	v_and_b32_e32 v7, 0xfffff, v15
	v_add_u32_e32 v14, v7, v14
	v_mov_b32_e32 v15, v51
	v_cmp_ne_u32_e32 vcc, 0, v8
                                        ; implicit-def: $vgpr7
	s_and_saveexec_b64 s[18:19], vcc
	s_xor_b64 s[18:19], exec, s[18:19]
; %bb.9162:                             ;   in Loop: Header=BB6_6244 Depth=2
	v_cmp_lt_u64_e32 vcc, s[58:59], v[14:15]
	v_add_u32_e32 v7, 7, v16
	v_cndmask_b32_e32 v7, v8, v7, vcc
	v_cndmask_b32_e64 v8, 0, 1, vcc
	v_lshrrev_b64 v[14:15], v8, v[14:15]
; %bb.9163:                             ;   in Loop: Header=BB6_6244 Depth=2
	s_andn2_saveexec_b64 s[18:19], s[18:19]
; %bb.9164:                             ;   in Loop: Header=BB6_6244 Depth=2
	v_bfe_u32 v7, v14, 23, 1
; %bb.9165:                             ;   in Loop: Header=BB6_6244 Depth=2
	s_or_b64 exec, exec, s[18:19]
	v_lshrrev_b64 v[14:15], 20, v[14:15]
	v_cmp_gt_i32_e32 vcc, 16, v7
	v_cndmask_b32_e32 v15, 0, v15, vcc
	v_cndmask_b32_e32 v14, 7, v14, vcc
	v_cmp_eq_u32_e32 vcc, 0, v7
	v_min_i32_e32 v7, 15, v7
	v_cmp_eq_u64_e64 s[18:19], 0, v[14:15]
	v_lshlrev_b32_e32 v7, 3, v7
	v_and_b32_e32 v7, 0xf8, v7
	v_and_or_b32 v7, v14, 7, v7
	s_and_b64 s[18:19], vcc, s[18:19]
	v_cndmask_b32_e64 v7, v7, 0, s[18:19]
	v_or_b32_e32 v60, v7, v0
.LBB6_9166:                             ;   in Loop: Header=BB6_6244 Depth=2
	s_or_b64 exec, exec, s[88:89]
                                        ; implicit-def: $vgpr0
.LBB6_9167:                             ;   in Loop: Header=BB6_6244 Depth=2
	s_andn2_saveexec_b64 s[18:19], s[78:79]
; %bb.9168:                             ;   in Loop: Header=BB6_6244 Depth=2
	v_or_b32_e32 v60, 0x7e, v0
; %bb.9169:                             ;   in Loop: Header=BB6_6244 Depth=2
	s_or_b64 exec, exec, s[18:19]
                                        ; implicit-def: $vgpr7
.LBB6_9170:                             ;   in Loop: Header=BB6_6244 Depth=2
	s_andn2_saveexec_b64 s[18:19], s[76:77]
; %bb.9171:                             ;   in Loop: Header=BB6_6244 Depth=2
	v_or_b32_sdwa v60, v7, s39 dst_sel:DWORD dst_unused:UNUSED_PAD src0_sel:BYTE_3 src1_sel:DWORD
; %bb.9172:                             ;   in Loop: Header=BB6_6244 Depth=2
	s_or_b64 exec, exec, s[18:19]
	v_lshrrev_b32_e32 v14, 16, v50
	v_cmp_ne_u16_sdwa s[76:77], v14, v51 src0_sel:BYTE_0 src1_sel:DWORD
	v_mov_b32_e32 v0, 0
	v_mov_b32_e32 v7, 0
	s_and_saveexec_b64 s[18:19], s[76:77]
	s_cbranch_execz .LBB6_9178
; %bb.9173:                             ;   in Loop: Header=BB6_6244 Depth=2
	v_cmp_ne_u16_sdwa s[78:79], v14, s50 src0_sel:BYTE_0 src1_sel:DWORD
	v_bfrev_b32_e32 v7, 1
	s_and_saveexec_b64 s[76:77], s[78:79]
	s_cbranch_execz .LBB6_9177
; %bb.9174:                             ;   in Loop: Header=BB6_6244 Depth=2
	v_bfe_u32 v8, v50, 16, 7
	v_cmp_ne_u32_e32 vcc, s39, v8
	v_mov_b32_e32 v7, 0x7f800001
	s_and_saveexec_b64 s[78:79], vcc
	s_cbranch_execz .LBB6_9176
; %bb.9175:                             ;   in Loop: Header=BB6_6244 Depth=2
	v_and_b32_e32 v15, 7, v14
	v_ffbh_u32_e32 v7, v15
	v_min_u32_e32 v24, 32, v7
	v_subrev_u32_e32 v7, 28, v24
	v_lshrrev_b32_e32 v16, 3, v8
	v_cmp_gt_u32_e32 vcc, 8, v8
	v_lshlrev_b64 v[7:8], v7, v[14:15]
	v_sub_u32_e32 v8, 29, v24
	v_and_b32_e32 v7, 7, v7
	v_cndmask_b32_e32 v8, v16, v8, vcc
	v_cndmask_b32_e32 v7, v15, v7, vcc
	v_lshlrev_b32_e32 v14, 24, v14
	v_lshlrev_b32_e32 v7, 20, v7
	v_and_b32_e32 v14, 0x80000000, v14
	v_lshl_add_u32 v8, v8, 23, v62
	v_or3_b32 v7, v14, v8, v7
.LBB6_9176:                             ;   in Loop: Header=BB6_6244 Depth=2
	s_or_b64 exec, exec, s[78:79]
.LBB6_9177:                             ;   in Loop: Header=BB6_6244 Depth=2
	s_or_b64 exec, exec, s[76:77]
.LBB6_9178:                             ;   in Loop: Header=BB6_6244 Depth=2
	s_or_b64 exec, exec, s[18:19]
	v_lshrrev_b32_e32 v14, 16, v11
	v_cmp_ne_u16_sdwa s[76:77], v14, v51 src0_sel:BYTE_0 src1_sel:DWORD
	s_and_saveexec_b64 s[18:19], s[76:77]
	s_cbranch_execz .LBB6_9184
; %bb.9179:                             ;   in Loop: Header=BB6_6244 Depth=2
	v_cmp_ne_u16_sdwa s[78:79], v14, s50 src0_sel:BYTE_0 src1_sel:DWORD
	v_bfrev_b32_e32 v0, 1
	s_and_saveexec_b64 s[76:77], s[78:79]
	s_cbranch_execz .LBB6_9183
; %bb.9180:                             ;   in Loop: Header=BB6_6244 Depth=2
	v_bfe_u32 v8, v11, 16, 7
	v_cmp_ne_u32_e32 vcc, s39, v8
	v_mov_b32_e32 v0, 0x7f800001
	s_and_saveexec_b64 s[78:79], vcc
	s_cbranch_execz .LBB6_9182
; %bb.9181:                             ;   in Loop: Header=BB6_6244 Depth=2
	v_and_b32_e32 v0, 7, v14
	v_lshrrev_b32_e32 v16, 3, v8
	v_cmp_gt_u32_e32 vcc, 8, v8
	v_ffbh_u32_e32 v8, v0
	v_min_u32_e32 v8, 32, v8
	v_subrev_u32_e32 v15, 28, v8
	v_lshlrev_b64 v[14:15], v15, v[14:15]
	v_sub_u32_e32 v8, 29, v8
	v_and_b32_e32 v14, 7, v14
	v_cndmask_b32_e32 v8, v16, v8, vcc
	v_cndmask_b32_e32 v0, v0, v14, vcc
	v_lshlrev_b32_e32 v14, 8, v11
	v_lshlrev_b32_e32 v0, 20, v0
	v_and_b32_e32 v14, 0x80000000, v14
	v_lshl_add_u32 v8, v8, 23, v62
	v_or3_b32 v0, v14, v8, v0
.LBB6_9182:                             ;   in Loop: Header=BB6_6244 Depth=2
	s_or_b64 exec, exec, s[78:79]
.LBB6_9183:                             ;   in Loop: Header=BB6_6244 Depth=2
	s_or_b64 exec, exec, s[76:77]
.LBB6_9184:                             ;   in Loop: Header=BB6_6244 Depth=2
	s_or_b64 exec, exec, s[18:19]
	v_add_f32_e32 v7, v7, v0
	v_and_b32_e32 v14, 0x7f800000, v7
	v_mov_b32_e32 v15, v51
	v_cmp_ne_u64_e32 vcc, s[46:47], v[14:15]
                                        ; implicit-def: $vgpr16
	s_and_saveexec_b64 s[18:19], vcc
	s_xor_b64 s[76:77], exec, s[18:19]
	s_cbranch_execz .LBB6_9198
; %bb.9185:                             ;   in Loop: Header=BB6_6244 Depth=2
	v_and_b32_e32 v14, 0x7fffffff, v7
	v_mov_b32_e32 v15, v51
	v_cmp_gt_u64_e32 vcc, s[56:57], v[14:15]
	v_and_b32_sdwa v0, v7, s50 dst_sel:DWORD dst_unused:UNUSED_PAD src0_sel:BYTE_3 src1_sel:DWORD
                                        ; implicit-def: $vgpr16
	s_and_saveexec_b64 s[18:19], vcc
	s_xor_b64 s[78:79], exec, s[18:19]
	s_cbranch_execz .LBB6_9195
; %bb.9186:                             ;   in Loop: Header=BB6_6244 Depth=2
	v_mov_b32_e32 v16, 0
	v_cmp_ne_u32_e32 vcc, 0, v7
	s_and_saveexec_b64 s[88:89], vcc
	s_cbranch_execz .LBB6_9194
; %bb.9187:                             ;   in Loop: Header=BB6_6244 Depth=2
	v_and_b32_e32 v14, 0x7fffff, v7
	v_bfe_u32 v7, v7, 23, 8
	v_cmp_gt_u32_e64 s[18:19], s51, v7
	v_sub_u32_e32 v8, 0x79, v7
	v_cmp_eq_u32_e32 vcc, 0, v7
	v_cndmask_b32_e64 v8, 0, v8, s[18:19]
	v_mov_b32_e32 v16, 0x78
	v_cndmask_b32_e32 v8, v8, v16, vcc
	v_add_u32_e32 v16, 20, v8
	v_or_b32_e32 v15, 0x800000, v14
	v_lshlrev_b64 v[28:29], v16, -1
	v_cndmask_b32_e32 v14, v15, v14, vcc
	v_mov_b32_e32 v15, v51
	v_add_u32_e32 v16, 19, v8
	v_bfi_b32 v28, v28, 0, v14
	v_lshlrev_b64 v[24:25], v16, 1
	v_lshrrev_b64 v[14:15], v8, v[14:15]
	v_bfi_b32 v29, v29, 0, 0
	v_cmp_eq_u64_e64 s[18:19], v[28:29], v[24:25]
	v_mov_b32_e32 v16, v15
	v_mov_b32_e32 v15, v14
	s_and_saveexec_b64 s[90:91], s[18:19]
; %bb.9188:                             ;   in Loop: Header=BB6_6244 Depth=2
	v_bfe_u32 v15, v14, 20, 1
	v_add_co_u32_e64 v15, s[18:19], v14, v15
	v_add_co_u32_e64 v15, s[18:19], -1, v15
; %bb.9189:                             ;   in Loop: Header=BB6_6244 Depth=2
	s_or_b64 exec, exec, s[90:91]
	v_add_u32_e32 v7, 0xffffff81, v7
	v_mov_b32_e32 v16, 0xffffff82
	v_cndmask_b32_e32 v7, v7, v16, vcc
	v_lshrrev_b32_e32 v16, 23, v14
	v_add3_u32 v16, v8, v7, v16
	v_add_u32_e32 v8, 6, v16
	v_and_b32_e32 v7, 0xfffff, v15
	v_add_u32_e32 v14, v7, v14
	v_mov_b32_e32 v15, v51
	v_cmp_ne_u32_e32 vcc, 0, v8
                                        ; implicit-def: $vgpr7
	s_and_saveexec_b64 s[18:19], vcc
	s_xor_b64 s[18:19], exec, s[18:19]
; %bb.9190:                             ;   in Loop: Header=BB6_6244 Depth=2
	v_cmp_lt_u64_e32 vcc, s[58:59], v[14:15]
	v_add_u32_e32 v7, 7, v16
	v_cndmask_b32_e32 v7, v8, v7, vcc
	v_cndmask_b32_e64 v8, 0, 1, vcc
	v_lshrrev_b64 v[14:15], v8, v[14:15]
; %bb.9191:                             ;   in Loop: Header=BB6_6244 Depth=2
	s_andn2_saveexec_b64 s[18:19], s[18:19]
; %bb.9192:                             ;   in Loop: Header=BB6_6244 Depth=2
	v_bfe_u32 v7, v14, 23, 1
; %bb.9193:                             ;   in Loop: Header=BB6_6244 Depth=2
	s_or_b64 exec, exec, s[18:19]
	v_lshrrev_b64 v[14:15], 20, v[14:15]
	v_cmp_gt_i32_e32 vcc, 16, v7
	v_cndmask_b32_e32 v15, 0, v15, vcc
	v_cndmask_b32_e32 v14, 7, v14, vcc
	v_cmp_eq_u32_e32 vcc, 0, v7
	v_min_i32_e32 v7, 15, v7
	v_cmp_eq_u64_e64 s[18:19], 0, v[14:15]
	v_lshlrev_b32_e32 v7, 3, v7
	v_and_b32_e32 v7, 0xf8, v7
	v_and_or_b32 v7, v14, 7, v7
	s_and_b64 s[18:19], vcc, s[18:19]
	v_cndmask_b32_e64 v7, v7, 0, s[18:19]
	v_or_b32_e32 v16, v7, v0
.LBB6_9194:                             ;   in Loop: Header=BB6_6244 Depth=2
	s_or_b64 exec, exec, s[88:89]
                                        ; implicit-def: $vgpr0
.LBB6_9195:                             ;   in Loop: Header=BB6_6244 Depth=2
	s_andn2_saveexec_b64 s[18:19], s[78:79]
; %bb.9196:                             ;   in Loop: Header=BB6_6244 Depth=2
	v_or_b32_e32 v16, 0x7e, v0
; %bb.9197:                             ;   in Loop: Header=BB6_6244 Depth=2
	s_or_b64 exec, exec, s[18:19]
                                        ; implicit-def: $vgpr7
.LBB6_9198:                             ;   in Loop: Header=BB6_6244 Depth=2
	s_andn2_saveexec_b64 s[18:19], s[76:77]
; %bb.9199:                             ;   in Loop: Header=BB6_6244 Depth=2
	v_or_b32_sdwa v16, v7, s39 dst_sel:DWORD dst_unused:UNUSED_PAD src0_sel:BYTE_3 src1_sel:DWORD
; %bb.9200:                             ;   in Loop: Header=BB6_6244 Depth=2
	s_or_b64 exec, exec, s[18:19]
	v_cmp_lt_u32_e32 vcc, s61, v50
	v_mov_b32_e32 v0, 0
	v_mov_b32_e32 v7, 0
	s_and_saveexec_b64 s[18:19], vcc
	s_cbranch_execz .LBB6_9206
; %bb.9201:                             ;   in Loop: Header=BB6_6244 Depth=2
	v_lshrrev_b32_e32 v14, 24, v50
	v_cmp_ne_u32_sdwa s[78:79], v50, s50 src0_sel:BYTE_3 src1_sel:DWORD
	v_bfrev_b32_e32 v7, 1
	s_and_saveexec_b64 s[76:77], s[78:79]
	s_cbranch_execz .LBB6_9205
; %bb.9202:                             ;   in Loop: Header=BB6_6244 Depth=2
	v_bfe_u32 v8, v50, 24, 7
	v_cmp_ne_u32_e32 vcc, s39, v8
	v_mov_b32_e32 v7, 0x7f800001
	s_and_saveexec_b64 s[78:79], vcc
	s_cbranch_execz .LBB6_9204
; %bb.9203:                             ;   in Loop: Header=BB6_6244 Depth=2
	v_and_b32_e32 v15, 7, v14
	v_ffbh_u32_e32 v7, v15
	v_min_u32_e32 v25, 32, v7
	v_subrev_u32_e32 v7, 28, v25
	v_lshrrev_b32_e32 v24, 3, v8
	v_cmp_gt_u32_e32 vcc, 8, v8
	v_lshlrev_b64 v[7:8], v7, v[14:15]
	v_sub_u32_e32 v8, 29, v25
	v_and_b32_e32 v7, 7, v7
	v_mov_b32_e32 v14, 24
	v_cndmask_b32_e32 v8, v24, v8, vcc
	v_cndmask_b32_e32 v7, v15, v7, vcc
	v_lshlrev_b32_sdwa v14, v14, v50 dst_sel:DWORD dst_unused:UNUSED_PAD src0_sel:DWORD src1_sel:BYTE_3
	v_lshlrev_b32_e32 v7, 20, v7
	v_and_b32_e32 v14, 0x80000000, v14
	v_lshl_add_u32 v8, v8, 23, v62
	v_or3_b32 v7, v14, v8, v7
.LBB6_9204:                             ;   in Loop: Header=BB6_6244 Depth=2
	s_or_b64 exec, exec, s[78:79]
.LBB6_9205:                             ;   in Loop: Header=BB6_6244 Depth=2
	s_or_b64 exec, exec, s[76:77]
.LBB6_9206:                             ;   in Loop: Header=BB6_6244 Depth=2
	s_or_b64 exec, exec, s[18:19]
	v_cmp_lt_u64_e32 vcc, s[60:61], v[10:11]
	s_and_saveexec_b64 s[18:19], vcc
	s_cbranch_execz .LBB6_9212
; %bb.9207:                             ;   in Loop: Header=BB6_6244 Depth=2
	v_lshrrev_b32_e32 v10, 24, v11
	v_cmp_ne_u32_e32 vcc, s50, v10
	v_bfrev_b32_e32 v0, 1
	s_and_saveexec_b64 s[76:77], vcc
	s_cbranch_execz .LBB6_9211
; %bb.9208:                             ;   in Loop: Header=BB6_6244 Depth=2
	v_bfe_u32 v8, v11, 24, 7
	v_cmp_ne_u32_e32 vcc, s39, v8
	v_mov_b32_e32 v0, 0x7f800001
	s_and_saveexec_b64 s[78:79], vcc
	s_cbranch_execz .LBB6_9210
; %bb.9209:                             ;   in Loop: Header=BB6_6244 Depth=2
	v_and_b32_e32 v0, 7, v10
	v_lshrrev_b32_e32 v11, 3, v8
	v_cmp_gt_u32_e32 vcc, 8, v8
	v_ffbh_u32_e32 v8, v0
	v_min_u32_e32 v8, 32, v8
	v_subrev_u32_e32 v14, 28, v8
	v_lshlrev_b64 v[14:15], v14, v[10:11]
	v_sub_u32_e32 v8, 29, v8
	v_and_b32_e32 v14, 7, v14
	v_cndmask_b32_e32 v8, v11, v8, vcc
	v_cndmask_b32_e32 v0, v0, v14, vcc
	v_lshlrev_b32_e32 v10, 24, v10
	v_lshlrev_b32_e32 v0, 20, v0
	v_and_b32_e32 v10, 0x80000000, v10
	v_lshl_add_u32 v8, v8, 23, v62
	v_or3_b32 v0, v10, v8, v0
.LBB6_9210:                             ;   in Loop: Header=BB6_6244 Depth=2
	s_or_b64 exec, exec, s[78:79]
.LBB6_9211:                             ;   in Loop: Header=BB6_6244 Depth=2
	s_or_b64 exec, exec, s[76:77]
.LBB6_9212:                             ;   in Loop: Header=BB6_6244 Depth=2
	s_or_b64 exec, exec, s[18:19]
	v_add_f32_e32 v7, v7, v0
	v_and_b32_e32 v50, 0x7f800000, v7
	v_cmp_ne_u64_e32 vcc, s[46:47], v[50:51]
                                        ; implicit-def: $vgpr59
	s_and_saveexec_b64 s[18:19], vcc
	s_xor_b64 s[76:77], exec, s[18:19]
	s_cbranch_execz .LBB6_9226
; %bb.9213:                             ;   in Loop: Header=BB6_6244 Depth=2
	v_and_b32_e32 v50, 0x7fffffff, v7
	v_cmp_gt_u64_e32 vcc, s[56:57], v[50:51]
	v_and_b32_sdwa v0, v7, s50 dst_sel:DWORD dst_unused:UNUSED_PAD src0_sel:BYTE_3 src1_sel:DWORD
                                        ; implicit-def: $vgpr59
	s_and_saveexec_b64 s[18:19], vcc
	s_xor_b64 s[78:79], exec, s[18:19]
	s_cbranch_execz .LBB6_9223
; %bb.9214:                             ;   in Loop: Header=BB6_6244 Depth=2
	v_mov_b32_e32 v59, 0
	v_cmp_ne_u32_e32 vcc, 0, v7
	s_and_saveexec_b64 s[88:89], vcc
	s_cbranch_execz .LBB6_9222
; %bb.9215:                             ;   in Loop: Header=BB6_6244 Depth=2
	v_and_b32_e32 v10, 0x7fffff, v7
	v_bfe_u32 v7, v7, 23, 8
	v_cmp_gt_u32_e64 s[18:19], s51, v7
	v_sub_u32_e32 v8, 0x79, v7
	v_cmp_eq_u32_e32 vcc, 0, v7
	v_cndmask_b32_e64 v8, 0, v8, s[18:19]
	v_mov_b32_e32 v14, 0x78
	v_or_b32_e32 v11, 0x800000, v10
	v_cndmask_b32_e32 v8, v8, v14, vcc
	v_cndmask_b32_e32 v50, v11, v10, vcc
	v_add_u32_e32 v10, 20, v8
	v_lshlrev_b64 v[10:11], v10, -1
	v_add_u32_e32 v14, 19, v8
	v_lshlrev_b64 v[14:15], v14, 1
	v_bfi_b32 v11, v11, 0, 0
	v_bfi_b32 v10, v10, 0, v50
	v_cmp_eq_u64_e64 s[18:19], v[10:11], v[14:15]
	v_lshrrev_b64 v[10:11], v8, v[50:51]
	v_mov_b32_e32 v15, v11
	v_mov_b32_e32 v14, v10
	s_and_saveexec_b64 s[90:91], s[18:19]
; %bb.9216:                             ;   in Loop: Header=BB6_6244 Depth=2
	v_bfe_u32 v11, v10, 20, 1
	v_add_co_u32_e64 v11, s[18:19], v10, v11
	v_add_co_u32_e64 v14, s[18:19], -1, v11
; %bb.9217:                             ;   in Loop: Header=BB6_6244 Depth=2
	s_or_b64 exec, exec, s[90:91]
	v_add_u32_e32 v7, 0xffffff81, v7
	v_mov_b32_e32 v11, 0xffffff82
	v_cndmask_b32_e32 v7, v7, v11, vcc
	v_lshrrev_b32_e32 v11, 23, v10
	v_add3_u32 v15, v8, v7, v11
	v_add_u32_e32 v8, 6, v15
	v_and_b32_e32 v7, 0xfffff, v14
	v_add_u32_e32 v50, v7, v10
	v_cmp_ne_u32_e32 vcc, 0, v8
                                        ; implicit-def: $vgpr10_vgpr11
                                        ; implicit-def: $vgpr7
	s_and_saveexec_b64 s[18:19], vcc
	s_xor_b64 s[18:19], exec, s[18:19]
; %bb.9218:                             ;   in Loop: Header=BB6_6244 Depth=2
	v_cmp_lt_u64_e32 vcc, s[58:59], v[50:51]
	v_add_u32_e32 v7, 7, v15
	v_cndmask_b32_e32 v7, v8, v7, vcc
	v_cndmask_b32_e64 v8, 0, 1, vcc
	v_lshrrev_b64 v[10:11], v8, v[50:51]
; %bb.9219:                             ;   in Loop: Header=BB6_6244 Depth=2
	s_andn2_saveexec_b64 s[18:19], s[18:19]
; %bb.9220:                             ;   in Loop: Header=BB6_6244 Depth=2
	v_mov_b32_e32 v10, v50
	v_bfe_u32 v7, v50, 23, 1
	v_mov_b32_e32 v11, v51
; %bb.9221:                             ;   in Loop: Header=BB6_6244 Depth=2
	s_or_b64 exec, exec, s[18:19]
	v_lshrrev_b64 v[10:11], 20, v[10:11]
	v_cmp_gt_i32_e32 vcc, 16, v7
	v_cndmask_b32_e32 v11, 0, v11, vcc
	v_cndmask_b32_e32 v10, 7, v10, vcc
	v_cmp_eq_u32_e32 vcc, 0, v7
	v_min_i32_e32 v7, 15, v7
	v_cmp_eq_u64_e64 s[18:19], 0, v[10:11]
	v_lshlrev_b32_e32 v7, 3, v7
	v_and_b32_e32 v7, 0xf8, v7
	v_and_or_b32 v7, v10, 7, v7
	s_and_b64 s[18:19], vcc, s[18:19]
	v_cndmask_b32_e64 v7, v7, 0, s[18:19]
	v_or_b32_e32 v59, v7, v0
.LBB6_9222:                             ;   in Loop: Header=BB6_6244 Depth=2
	s_or_b64 exec, exec, s[88:89]
                                        ; implicit-def: $vgpr0
.LBB6_9223:                             ;   in Loop: Header=BB6_6244 Depth=2
	s_andn2_saveexec_b64 s[18:19], s[78:79]
; %bb.9224:                             ;   in Loop: Header=BB6_6244 Depth=2
	v_or_b32_e32 v59, 0x7e, v0
; %bb.9225:                             ;   in Loop: Header=BB6_6244 Depth=2
	s_or_b64 exec, exec, s[18:19]
                                        ; implicit-def: $vgpr7
.LBB6_9226:                             ;   in Loop: Header=BB6_6244 Depth=2
	s_andn2_saveexec_b64 s[18:19], s[76:77]
; %bb.9227:                             ;   in Loop: Header=BB6_6244 Depth=2
	v_or_b32_sdwa v59, v7, s39 dst_sel:DWORD dst_unused:UNUSED_PAD src0_sel:BYTE_3 src1_sel:DWORD
; %bb.9228:                             ;   in Loop: Header=BB6_6244 Depth=2
	s_or_b64 exec, exec, s[18:19]
	buffer_load_dword v0, off, s[0:3], s33 offset:120 ; 4-byte Folded Reload
	buffer_load_dword v7, off, s[0:3], s33 offset:128 ; 4-byte Folded Reload
	;; [unrolled: 1-line block ×3, first 2 shown]
	v_cmp_ne_u32_e32 vcc, 0, v6
	s_waitcnt vmcnt(2)
	v_lshl_or_b32 v0, v0, 8, v6
	s_waitcnt vmcnt(1)
	v_lshlrev_b32_e32 v7, 16, v7
	s_waitcnt vmcnt(0)
	v_lshlrev_b32_e32 v8, 24, v8
	v_or3_b32 v50, v7, v8, v0
	v_mov_b32_e32 v7, 0
	v_mov_b32_e32 v8, 0
	s_and_saveexec_b64 s[18:19], vcc
	s_cbranch_execz .LBB6_9234
; %bb.9229:                             ;   in Loop: Header=BB6_6244 Depth=2
	v_cmp_ne_u32_e32 vcc, s50, v6
	v_bfrev_b32_e32 v8, 1
	s_and_saveexec_b64 s[76:77], vcc
	s_cbranch_execz .LBB6_9233
; %bb.9230:                             ;   in Loop: Header=BB6_6244 Depth=2
	v_and_b32_e32 v10, 0x7f, v6
	v_cmp_ne_u32_e32 vcc, s39, v10
	v_mov_b32_e32 v8, 0x7f800001
	s_and_saveexec_b64 s[78:79], vcc
	s_cbranch_execz .LBB6_9232
; %bb.9231:                             ;   in Loop: Header=BB6_6244 Depth=2
	v_and_b32_e32 v6, 7, v6
	v_ffbh_u32_e32 v6, v6
	v_min_u32_e32 v6, 32, v6
	v_lshrrev_b32_e32 v8, 3, v10
	v_cmp_gt_u32_e32 vcc, 8, v10
	v_subrev_u32_e32 v10, 28, v6
	v_sub_u32_e32 v6, 29, v6
	v_cndmask_b32_e32 v6, v8, v6, vcc
	v_cndmask_b32_e32 v8, 0, v10, vcc
	v_lshlrev_b64 v[10:11], v8, v[50:51]
	v_lshl_add_u32 v6, v6, 23, v62
	v_lshlrev_b32_e32 v8, 20, v10
	v_lshlrev_b32_e32 v10, 24, v50
	v_and_b32_e32 v8, 0x700000, v8
	v_and_b32_e32 v10, 0x80000000, v10
	v_or3_b32 v8, v10, v6, v8
.LBB6_9232:                             ;   in Loop: Header=BB6_6244 Depth=2
	s_or_b64 exec, exec, s[78:79]
.LBB6_9233:                             ;   in Loop: Header=BB6_6244 Depth=2
	s_or_b64 exec, exec, s[76:77]
.LBB6_9234:                             ;   in Loop: Header=BB6_6244 Depth=2
	s_or_b64 exec, exec, s[18:19]
	v_cmp_ne_u16_sdwa s[76:77], v12, v51 src0_sel:BYTE_0 src1_sel:DWORD
	s_and_saveexec_b64 s[18:19], s[76:77]
	s_cbranch_execz .LBB6_9240
; %bb.9235:                             ;   in Loop: Header=BB6_6244 Depth=2
	v_cmp_ne_u16_sdwa s[78:79], v12, s50 src0_sel:BYTE_0 src1_sel:DWORD
	v_bfrev_b32_e32 v7, 1
	s_and_saveexec_b64 s[76:77], s[78:79]
	s_cbranch_execz .LBB6_9239
; %bb.9236:                             ;   in Loop: Header=BB6_6244 Depth=2
	v_and_b32_e32 v6, 0x7f, v12
	v_cmp_ne_u32_e32 vcc, s39, v6
	v_mov_b32_e32 v7, 0x7f800001
	s_and_saveexec_b64 s[78:79], vcc
	s_cbranch_execz .LBB6_9238
; %bb.9237:                             ;   in Loop: Header=BB6_6244 Depth=2
	v_and_b32_e32 v7, 7, v12
	v_lshrrev_b32_e32 v10, 3, v6
	v_cmp_gt_u32_e32 vcc, 8, v6
	v_ffbh_u32_e32 v6, v7
	v_min_u32_e32 v6, 32, v6
	v_subrev_u32_e32 v7, 28, v6
	v_sub_u32_e32 v6, 29, v6
	v_cndmask_b32_e32 v10, v10, v6, vcc
	v_cndmask_b32_e32 v6, 0, v7, vcc
	v_lshlrev_b64 v[6:7], v6, v[12:13]
	v_lshlrev_b32_e32 v7, 24, v12
	v_lshlrev_b32_e32 v6, 20, v6
	v_and_b32_e32 v6, 0x700000, v6
	v_and_b32_e32 v7, 0x80000000, v7
	v_lshl_add_u32 v10, v10, 23, v62
	v_or3_b32 v7, v7, v10, v6
.LBB6_9238:                             ;   in Loop: Header=BB6_6244 Depth=2
	s_or_b64 exec, exec, s[78:79]
.LBB6_9239:                             ;   in Loop: Header=BB6_6244 Depth=2
	s_or_b64 exec, exec, s[76:77]
.LBB6_9240:                             ;   in Loop: Header=BB6_6244 Depth=2
	s_or_b64 exec, exec, s[18:19]
	v_add_f32_e32 v8, v8, v7
	v_and_b32_e32 v6, 0x7f800000, v8
	v_mov_b32_e32 v7, v51
	v_cmp_ne_u64_e32 vcc, s[46:47], v[6:7]
                                        ; implicit-def: $vgpr6
	s_and_saveexec_b64 s[18:19], vcc
	s_xor_b64 s[76:77], exec, s[18:19]
	s_cbranch_execz .LBB6_9254
; %bb.9241:                             ;   in Loop: Header=BB6_6244 Depth=2
	v_and_b32_e32 v6, 0x7fffffff, v8
	v_mov_b32_e32 v7, v51
	v_cmp_gt_u64_e32 vcc, s[56:57], v[6:7]
	v_and_b32_sdwa v7, v8, s50 dst_sel:DWORD dst_unused:UNUSED_PAD src0_sel:BYTE_3 src1_sel:DWORD
                                        ; implicit-def: $vgpr6
	s_and_saveexec_b64 s[18:19], vcc
	s_xor_b64 s[78:79], exec, s[18:19]
	s_cbranch_execz .LBB6_9251
; %bb.9242:                             ;   in Loop: Header=BB6_6244 Depth=2
	v_mov_b32_e32 v6, 0
	v_cmp_ne_u32_e32 vcc, 0, v8
	s_and_saveexec_b64 s[88:89], vcc
	s_cbranch_execz .LBB6_9250
; %bb.9243:                             ;   in Loop: Header=BB6_6244 Depth=2
	v_bfe_u32 v6, v8, 23, 8
	v_and_b32_e32 v10, 0x7fffff, v8
	v_cmp_gt_u32_e64 s[18:19], s51, v6
	v_sub_u32_e32 v8, 0x79, v6
	v_cmp_eq_u32_e32 vcc, 0, v6
	v_cndmask_b32_e64 v8, 0, v8, s[18:19]
	v_mov_b32_e32 v14, 0x78
	v_cndmask_b32_e32 v8, v8, v14, vcc
	v_add_u32_e32 v14, 20, v8
	v_or_b32_e32 v11, 0x800000, v10
	v_lshlrev_b64 v[14:15], v14, -1
	v_cndmask_b32_e32 v10, v11, v10, vcc
	v_mov_b32_e32 v11, v51
	v_add_u32_e32 v24, 19, v8
	v_bfi_b32 v14, v14, 0, v10
	v_lshlrev_b64 v[24:25], v24, 1
	v_lshrrev_b64 v[10:11], v8, v[10:11]
	v_bfi_b32 v15, v15, 0, 0
	v_cmp_eq_u64_e64 s[18:19], v[14:15], v[24:25]
	v_mov_b32_e32 v15, v11
	v_mov_b32_e32 v14, v10
	s_and_saveexec_b64 s[90:91], s[18:19]
; %bb.9244:                             ;   in Loop: Header=BB6_6244 Depth=2
	v_bfe_u32 v11, v10, 20, 1
	v_add_co_u32_e64 v11, s[18:19], v10, v11
	v_add_co_u32_e64 v14, s[18:19], -1, v11
; %bb.9245:                             ;   in Loop: Header=BB6_6244 Depth=2
	s_or_b64 exec, exec, s[90:91]
	v_add_u32_e32 v6, 0xffffff81, v6
	v_mov_b32_e32 v11, 0xffffff82
	v_cndmask_b32_e32 v6, v6, v11, vcc
	v_lshrrev_b32_e32 v11, 23, v10
	v_add3_u32 v15, v8, v6, v11
	v_add_u32_e32 v8, 6, v15
	v_and_b32_e32 v6, 0xfffff, v14
	v_add_u32_e32 v10, v6, v10
	v_mov_b32_e32 v11, v51
	v_cmp_ne_u32_e32 vcc, 0, v8
                                        ; implicit-def: $vgpr6
	s_and_saveexec_b64 s[18:19], vcc
	s_xor_b64 s[18:19], exec, s[18:19]
; %bb.9246:                             ;   in Loop: Header=BB6_6244 Depth=2
	v_cmp_lt_u64_e32 vcc, s[58:59], v[10:11]
	v_add_u32_e32 v6, 7, v15
	v_cndmask_b32_e32 v6, v8, v6, vcc
	v_cndmask_b32_e64 v8, 0, 1, vcc
	v_lshrrev_b64 v[10:11], v8, v[10:11]
; %bb.9247:                             ;   in Loop: Header=BB6_6244 Depth=2
	s_andn2_saveexec_b64 s[18:19], s[18:19]
; %bb.9248:                             ;   in Loop: Header=BB6_6244 Depth=2
	v_bfe_u32 v6, v10, 23, 1
; %bb.9249:                             ;   in Loop: Header=BB6_6244 Depth=2
	s_or_b64 exec, exec, s[18:19]
	v_lshrrev_b64 v[10:11], 20, v[10:11]
	v_cmp_gt_i32_e32 vcc, 16, v6
	v_cndmask_b32_e32 v11, 0, v11, vcc
	v_cndmask_b32_e32 v10, 7, v10, vcc
	v_cmp_eq_u32_e32 vcc, 0, v6
	v_min_i32_e32 v6, 15, v6
	v_cmp_eq_u64_e64 s[18:19], 0, v[10:11]
	v_lshlrev_b32_e32 v6, 3, v6
	v_and_b32_e32 v6, 0xf8, v6
	v_and_or_b32 v6, v10, 7, v6
	s_and_b64 s[18:19], vcc, s[18:19]
	v_cndmask_b32_e64 v6, v6, 0, s[18:19]
	v_or_b32_e32 v6, v6, v7
.LBB6_9250:                             ;   in Loop: Header=BB6_6244 Depth=2
	s_or_b64 exec, exec, s[88:89]
                                        ; implicit-def: $vgpr7
.LBB6_9251:                             ;   in Loop: Header=BB6_6244 Depth=2
	s_andn2_saveexec_b64 s[18:19], s[78:79]
; %bb.9252:                             ;   in Loop: Header=BB6_6244 Depth=2
	v_or_b32_e32 v6, 0x7e, v7
; %bb.9253:                             ;   in Loop: Header=BB6_6244 Depth=2
	s_or_b64 exec, exec, s[18:19]
                                        ; implicit-def: $vgpr8
.LBB6_9254:                             ;   in Loop: Header=BB6_6244 Depth=2
	s_andn2_saveexec_b64 s[18:19], s[76:77]
; %bb.9255:                             ;   in Loop: Header=BB6_6244 Depth=2
	v_or_b32_sdwa v6, v8, s39 dst_sel:DWORD dst_unused:UNUSED_PAD src0_sel:BYTE_3 src1_sel:DWORD
; %bb.9256:                             ;   in Loop: Header=BB6_6244 Depth=2
	s_or_b64 exec, exec, s[18:19]
	v_lshrrev_b16_e32 v10, 8, v0
	v_cmp_ne_u16_e32 vcc, 0, v10
	v_mov_b32_e32 v7, 0
	v_mov_b32_e32 v8, 0
	s_and_saveexec_b64 s[18:19], vcc
	s_cbranch_execz .LBB6_9262
; %bb.9257:                             ;   in Loop: Header=BB6_6244 Depth=2
	v_cmp_ne_u16_e32 vcc, s50, v10
	v_bfrev_b32_e32 v8, 1
	s_and_saveexec_b64 s[76:77], vcc
	s_cbranch_execz .LBB6_9261
; %bb.9258:                             ;   in Loop: Header=BB6_6244 Depth=2
	v_and_b32_e32 v11, 0x7f, v10
	v_cmp_ne_u32_e32 vcc, s39, v11
	v_mov_b32_e32 v8, 0x7f800001
	s_and_saveexec_b64 s[78:79], vcc
	s_cbranch_execz .LBB6_9260
; %bb.9259:                             ;   in Loop: Header=BB6_6244 Depth=2
	v_and_b32_e32 v8, 7, v10
	v_lshrrev_b32_e32 v14, 3, v11
	v_cmp_gt_u32_e32 vcc, 8, v11
	v_ffbh_u32_e32 v11, v8
	v_min_u32_e32 v15, 32, v11
	v_subrev_u32_e32 v11, 28, v15
	v_lshlrev_b64 v[10:11], v11, v[10:11]
	v_sub_u32_e32 v11, 29, v15
	v_and_b32_e32 v10, 7, v10
	v_cndmask_b32_e32 v11, v14, v11, vcc
	v_cndmask_b32_e32 v8, v8, v10, vcc
	v_lshlrev_b32_e32 v0, 16, v0
	v_lshlrev_b32_e32 v8, 20, v8
	v_and_b32_e32 v0, 0x80000000, v0
	v_lshl_add_u32 v10, v11, 23, v62
	v_or3_b32 v8, v0, v10, v8
.LBB6_9260:                             ;   in Loop: Header=BB6_6244 Depth=2
	s_or_b64 exec, exec, s[78:79]
.LBB6_9261:                             ;   in Loop: Header=BB6_6244 Depth=2
	s_or_b64 exec, exec, s[76:77]
.LBB6_9262:                             ;   in Loop: Header=BB6_6244 Depth=2
	s_or_b64 exec, exec, s[18:19]
	v_lshrrev_b16_e32 v10, 8, v12
	v_cmp_ne_u16_e32 vcc, 0, v10
	s_and_saveexec_b64 s[18:19], vcc
	s_cbranch_execz .LBB6_9268
; %bb.9263:                             ;   in Loop: Header=BB6_6244 Depth=2
	v_cmp_ne_u16_e32 vcc, s50, v10
	v_bfrev_b32_e32 v7, 1
	s_and_saveexec_b64 s[76:77], vcc
	s_cbranch_execz .LBB6_9267
; %bb.9264:                             ;   in Loop: Header=BB6_6244 Depth=2
	v_and_b32_e32 v0, 0x7f, v10
	v_cmp_ne_u32_e32 vcc, s39, v0
	v_mov_b32_e32 v7, 0x7f800001
	s_and_saveexec_b64 s[78:79], vcc
	s_cbranch_execz .LBB6_9266
; %bb.9265:                             ;   in Loop: Header=BB6_6244 Depth=2
	v_and_b32_e32 v7, 7, v10
	v_lshrrev_b32_e32 v14, 3, v0
	v_cmp_gt_u32_e32 vcc, 8, v0
	v_ffbh_u32_e32 v0, v7
	v_min_u32_e32 v0, 32, v0
	v_subrev_u32_e32 v11, 28, v0
	v_lshlrev_b64 v[10:11], v11, v[10:11]
	v_sub_u32_e32 v0, 29, v0
	v_and_b32_e32 v10, 7, v10
	v_cndmask_b32_e32 v0, v14, v0, vcc
	v_cndmask_b32_e32 v7, v7, v10, vcc
	v_lshlrev_b32_e32 v10, 16, v12
	v_lshlrev_b32_e32 v7, 20, v7
	v_and_b32_e32 v10, 0x80000000, v10
	v_lshl_add_u32 v0, v0, 23, v62
	v_or3_b32 v7, v10, v0, v7
.LBB6_9266:                             ;   in Loop: Header=BB6_6244 Depth=2
	s_or_b64 exec, exec, s[78:79]
.LBB6_9267:                             ;   in Loop: Header=BB6_6244 Depth=2
	s_or_b64 exec, exec, s[76:77]
.LBB6_9268:                             ;   in Loop: Header=BB6_6244 Depth=2
	s_or_b64 exec, exec, s[18:19]
	v_add_f32_e32 v7, v8, v7
	v_and_b32_e32 v10, 0x7f800000, v7
	v_mov_b32_e32 v11, v51
	v_cmp_ne_u64_e32 vcc, s[46:47], v[10:11]
                                        ; implicit-def: $vgpr30
	s_and_saveexec_b64 s[18:19], vcc
	s_xor_b64 s[76:77], exec, s[18:19]
	s_cbranch_execz .LBB6_9282
; %bb.9269:                             ;   in Loop: Header=BB6_6244 Depth=2
	v_and_b32_e32 v10, 0x7fffffff, v7
	v_mov_b32_e32 v11, v51
	v_cmp_gt_u64_e32 vcc, s[56:57], v[10:11]
	v_and_b32_sdwa v0, v7, s50 dst_sel:DWORD dst_unused:UNUSED_PAD src0_sel:BYTE_3 src1_sel:DWORD
                                        ; implicit-def: $vgpr30
	s_and_saveexec_b64 s[18:19], vcc
	s_xor_b64 s[78:79], exec, s[18:19]
	s_cbranch_execz .LBB6_9279
; %bb.9270:                             ;   in Loop: Header=BB6_6244 Depth=2
	v_mov_b32_e32 v30, 0
	v_cmp_ne_u32_e32 vcc, 0, v7
	s_and_saveexec_b64 s[88:89], vcc
	s_cbranch_execz .LBB6_9278
; %bb.9271:                             ;   in Loop: Header=BB6_6244 Depth=2
	v_and_b32_e32 v10, 0x7fffff, v7
	v_bfe_u32 v7, v7, 23, 8
	v_cmp_gt_u32_e64 s[18:19], s51, v7
	v_sub_u32_e32 v8, 0x79, v7
	v_cmp_eq_u32_e32 vcc, 0, v7
	v_cndmask_b32_e64 v8, 0, v8, s[18:19]
	v_mov_b32_e32 v14, 0x78
	v_cndmask_b32_e32 v8, v8, v14, vcc
	v_add_u32_e32 v14, 20, v8
	v_or_b32_e32 v11, 0x800000, v10
	v_lshlrev_b64 v[14:15], v14, -1
	v_cndmask_b32_e32 v10, v11, v10, vcc
	v_mov_b32_e32 v11, v51
	v_add_u32_e32 v24, 19, v8
	v_bfi_b32 v14, v14, 0, v10
	v_lshlrev_b64 v[24:25], v24, 1
	v_lshrrev_b64 v[10:11], v8, v[10:11]
	v_bfi_b32 v15, v15, 0, 0
	v_cmp_eq_u64_e64 s[18:19], v[14:15], v[24:25]
	v_mov_b32_e32 v15, v11
	v_mov_b32_e32 v14, v10
	s_and_saveexec_b64 s[90:91], s[18:19]
; %bb.9272:                             ;   in Loop: Header=BB6_6244 Depth=2
	v_bfe_u32 v11, v10, 20, 1
	v_add_co_u32_e64 v11, s[18:19], v10, v11
	v_add_co_u32_e64 v14, s[18:19], -1, v11
; %bb.9273:                             ;   in Loop: Header=BB6_6244 Depth=2
	s_or_b64 exec, exec, s[90:91]
	v_add_u32_e32 v7, 0xffffff81, v7
	v_mov_b32_e32 v11, 0xffffff82
	v_cndmask_b32_e32 v7, v7, v11, vcc
	v_lshrrev_b32_e32 v11, 23, v10
	v_add3_u32 v15, v8, v7, v11
	v_add_u32_e32 v8, 6, v15
	v_and_b32_e32 v7, 0xfffff, v14
	v_add_u32_e32 v10, v7, v10
	v_mov_b32_e32 v11, v51
	v_cmp_ne_u32_e32 vcc, 0, v8
                                        ; implicit-def: $vgpr7
	s_and_saveexec_b64 s[18:19], vcc
	s_xor_b64 s[18:19], exec, s[18:19]
; %bb.9274:                             ;   in Loop: Header=BB6_6244 Depth=2
	v_cmp_lt_u64_e32 vcc, s[58:59], v[10:11]
	v_add_u32_e32 v7, 7, v15
	v_cndmask_b32_e32 v7, v8, v7, vcc
	v_cndmask_b32_e64 v8, 0, 1, vcc
	v_lshrrev_b64 v[10:11], v8, v[10:11]
; %bb.9275:                             ;   in Loop: Header=BB6_6244 Depth=2
	s_andn2_saveexec_b64 s[18:19], s[18:19]
; %bb.9276:                             ;   in Loop: Header=BB6_6244 Depth=2
	v_bfe_u32 v7, v10, 23, 1
; %bb.9277:                             ;   in Loop: Header=BB6_6244 Depth=2
	s_or_b64 exec, exec, s[18:19]
	v_lshrrev_b64 v[10:11], 20, v[10:11]
	v_cmp_gt_i32_e32 vcc, 16, v7
	v_cndmask_b32_e32 v11, 0, v11, vcc
	v_cndmask_b32_e32 v10, 7, v10, vcc
	v_cmp_eq_u32_e32 vcc, 0, v7
	v_min_i32_e32 v7, 15, v7
	v_cmp_eq_u64_e64 s[18:19], 0, v[10:11]
	v_lshlrev_b32_e32 v7, 3, v7
	v_and_b32_e32 v7, 0xf8, v7
	v_and_or_b32 v7, v10, 7, v7
	s_and_b64 s[18:19], vcc, s[18:19]
	v_cndmask_b32_e64 v7, v7, 0, s[18:19]
	v_or_b32_e32 v30, v7, v0
.LBB6_9278:                             ;   in Loop: Header=BB6_6244 Depth=2
	s_or_b64 exec, exec, s[88:89]
                                        ; implicit-def: $vgpr0
.LBB6_9279:                             ;   in Loop: Header=BB6_6244 Depth=2
	s_andn2_saveexec_b64 s[18:19], s[78:79]
; %bb.9280:                             ;   in Loop: Header=BB6_6244 Depth=2
	v_or_b32_e32 v30, 0x7e, v0
; %bb.9281:                             ;   in Loop: Header=BB6_6244 Depth=2
	s_or_b64 exec, exec, s[18:19]
                                        ; implicit-def: $vgpr7
.LBB6_9282:                             ;   in Loop: Header=BB6_6244 Depth=2
	s_andn2_saveexec_b64 s[18:19], s[76:77]
; %bb.9283:                             ;   in Loop: Header=BB6_6244 Depth=2
	v_or_b32_sdwa v30, v7, s39 dst_sel:DWORD dst_unused:UNUSED_PAD src0_sel:BYTE_3 src1_sel:DWORD
; %bb.9284:                             ;   in Loop: Header=BB6_6244 Depth=2
	s_or_b64 exec, exec, s[18:19]
	v_lshrrev_b32_e32 v10, 16, v50
	v_cmp_ne_u16_sdwa s[76:77], v10, v51 src0_sel:BYTE_0 src1_sel:DWORD
	v_mov_b32_e32 v0, 0
	v_mov_b32_e32 v7, 0
	s_and_saveexec_b64 s[18:19], s[76:77]
	s_cbranch_execz .LBB6_9290
; %bb.9285:                             ;   in Loop: Header=BB6_6244 Depth=2
	v_cmp_ne_u16_sdwa s[78:79], v10, s50 src0_sel:BYTE_0 src1_sel:DWORD
	v_bfrev_b32_e32 v7, 1
	s_and_saveexec_b64 s[76:77], s[78:79]
	s_cbranch_execz .LBB6_9289
; %bb.9286:                             ;   in Loop: Header=BB6_6244 Depth=2
	v_bfe_u32 v8, v50, 16, 7
	v_cmp_ne_u32_e32 vcc, s39, v8
	v_mov_b32_e32 v7, 0x7f800001
	s_and_saveexec_b64 s[78:79], vcc
	s_cbranch_execz .LBB6_9288
; %bb.9287:                             ;   in Loop: Header=BB6_6244 Depth=2
	v_and_b32_e32 v11, 7, v10
	v_ffbh_u32_e32 v7, v11
	v_min_u32_e32 v15, 32, v7
	v_subrev_u32_e32 v7, 28, v15
	v_lshrrev_b32_e32 v14, 3, v8
	v_cmp_gt_u32_e32 vcc, 8, v8
	v_lshlrev_b64 v[7:8], v7, v[10:11]
	v_sub_u32_e32 v8, 29, v15
	v_and_b32_e32 v7, 7, v7
	v_cndmask_b32_e32 v8, v14, v8, vcc
	v_cndmask_b32_e32 v7, v11, v7, vcc
	v_lshlrev_b32_e32 v10, 24, v10
	v_lshlrev_b32_e32 v7, 20, v7
	v_and_b32_e32 v10, 0x80000000, v10
	v_lshl_add_u32 v8, v8, 23, v62
	v_or3_b32 v7, v10, v8, v7
.LBB6_9288:                             ;   in Loop: Header=BB6_6244 Depth=2
	s_or_b64 exec, exec, s[78:79]
.LBB6_9289:                             ;   in Loop: Header=BB6_6244 Depth=2
	s_or_b64 exec, exec, s[76:77]
.LBB6_9290:                             ;   in Loop: Header=BB6_6244 Depth=2
	s_or_b64 exec, exec, s[18:19]
	v_lshrrev_b32_e32 v10, 16, v12
	v_cmp_ne_u16_sdwa s[76:77], v10, v51 src0_sel:BYTE_0 src1_sel:DWORD
	s_and_saveexec_b64 s[18:19], s[76:77]
	s_cbranch_execz .LBB6_9296
; %bb.9291:                             ;   in Loop: Header=BB6_6244 Depth=2
	v_cmp_ne_u16_sdwa s[78:79], v10, s50 src0_sel:BYTE_0 src1_sel:DWORD
	v_bfrev_b32_e32 v0, 1
	s_and_saveexec_b64 s[76:77], s[78:79]
	s_cbranch_execz .LBB6_9295
; %bb.9292:                             ;   in Loop: Header=BB6_6244 Depth=2
	v_bfe_u32 v8, v12, 16, 7
	v_cmp_ne_u32_e32 vcc, s39, v8
	v_mov_b32_e32 v0, 0x7f800001
	s_and_saveexec_b64 s[78:79], vcc
	s_cbranch_execz .LBB6_9294
; %bb.9293:                             ;   in Loop: Header=BB6_6244 Depth=2
	v_and_b32_e32 v0, 7, v10
	v_lshrrev_b32_e32 v14, 3, v8
	v_cmp_gt_u32_e32 vcc, 8, v8
	v_ffbh_u32_e32 v8, v0
	v_min_u32_e32 v8, 32, v8
	v_subrev_u32_e32 v11, 28, v8
	v_lshlrev_b64 v[10:11], v11, v[10:11]
	v_sub_u32_e32 v8, 29, v8
	v_and_b32_e32 v10, 7, v10
	v_cndmask_b32_e32 v8, v14, v8, vcc
	v_cndmask_b32_e32 v0, v0, v10, vcc
	v_lshlrev_b32_e32 v10, 8, v12
	v_lshlrev_b32_e32 v0, 20, v0
	v_and_b32_e32 v10, 0x80000000, v10
	v_lshl_add_u32 v8, v8, 23, v62
	v_or3_b32 v0, v10, v8, v0
.LBB6_9294:                             ;   in Loop: Header=BB6_6244 Depth=2
	s_or_b64 exec, exec, s[78:79]
.LBB6_9295:                             ;   in Loop: Header=BB6_6244 Depth=2
	s_or_b64 exec, exec, s[76:77]
.LBB6_9296:                             ;   in Loop: Header=BB6_6244 Depth=2
	s_or_b64 exec, exec, s[18:19]
	v_add_f32_e32 v8, v7, v0
	v_and_b32_e32 v10, 0x7f800000, v8
	v_mov_b32_e32 v11, v51
	v_cmp_ne_u64_e32 vcc, s[46:47], v[10:11]
                                        ; implicit-def: $vgpr0
	s_and_saveexec_b64 s[18:19], vcc
	s_xor_b64 s[76:77], exec, s[18:19]
	s_cbranch_execz .LBB6_9310
; %bb.9297:                             ;   in Loop: Header=BB6_6244 Depth=2
	v_and_b32_e32 v10, 0x7fffffff, v8
	v_mov_b32_e32 v11, v51
	v_cmp_gt_u64_e32 vcc, s[56:57], v[10:11]
	v_and_b32_sdwa v7, v8, s50 dst_sel:DWORD dst_unused:UNUSED_PAD src0_sel:BYTE_3 src1_sel:DWORD
                                        ; implicit-def: $vgpr0
	s_and_saveexec_b64 s[18:19], vcc
	s_xor_b64 s[78:79], exec, s[18:19]
	s_cbranch_execz .LBB6_9307
; %bb.9298:                             ;   in Loop: Header=BB6_6244 Depth=2
	v_mov_b32_e32 v0, 0
	v_cmp_ne_u32_e32 vcc, 0, v8
	s_and_saveexec_b64 s[88:89], vcc
	s_cbranch_execz .LBB6_9306
; %bb.9299:                             ;   in Loop: Header=BB6_6244 Depth=2
	v_bfe_u32 v0, v8, 23, 8
	v_and_b32_e32 v10, 0x7fffff, v8
	v_cmp_gt_u32_e64 s[18:19], s51, v0
	v_sub_u32_e32 v8, 0x79, v0
	v_cmp_eq_u32_e32 vcc, 0, v0
	v_cndmask_b32_e64 v8, 0, v8, s[18:19]
	v_mov_b32_e32 v14, 0x78
	v_cndmask_b32_e32 v8, v8, v14, vcc
	v_add_u32_e32 v14, 20, v8
	v_or_b32_e32 v11, 0x800000, v10
	v_lshlrev_b64 v[14:15], v14, -1
	v_cndmask_b32_e32 v10, v11, v10, vcc
	v_mov_b32_e32 v11, v51
	v_add_u32_e32 v24, 19, v8
	v_bfi_b32 v14, v14, 0, v10
	v_lshlrev_b64 v[24:25], v24, 1
	v_lshrrev_b64 v[10:11], v8, v[10:11]
	v_bfi_b32 v15, v15, 0, 0
	v_cmp_eq_u64_e64 s[18:19], v[14:15], v[24:25]
	v_mov_b32_e32 v15, v11
	v_mov_b32_e32 v14, v10
	s_and_saveexec_b64 s[90:91], s[18:19]
; %bb.9300:                             ;   in Loop: Header=BB6_6244 Depth=2
	v_bfe_u32 v11, v10, 20, 1
	v_add_co_u32_e64 v11, s[18:19], v10, v11
	v_add_co_u32_e64 v14, s[18:19], -1, v11
; %bb.9301:                             ;   in Loop: Header=BB6_6244 Depth=2
	s_or_b64 exec, exec, s[90:91]
	v_add_u32_e32 v0, 0xffffff81, v0
	v_mov_b32_e32 v11, 0xffffff82
	v_cndmask_b32_e32 v0, v0, v11, vcc
	v_lshrrev_b32_e32 v11, 23, v10
	v_add3_u32 v15, v8, v0, v11
	v_add_u32_e32 v8, 6, v15
	v_and_b32_e32 v0, 0xfffff, v14
	v_add_u32_e32 v10, v0, v10
	v_mov_b32_e32 v11, v51
	v_cmp_ne_u32_e32 vcc, 0, v8
                                        ; implicit-def: $vgpr0
	s_and_saveexec_b64 s[18:19], vcc
	s_xor_b64 s[18:19], exec, s[18:19]
; %bb.9302:                             ;   in Loop: Header=BB6_6244 Depth=2
	v_cmp_lt_u64_e32 vcc, s[58:59], v[10:11]
	v_add_u32_e32 v0, 7, v15
	v_cndmask_b32_e32 v0, v8, v0, vcc
	v_cndmask_b32_e64 v8, 0, 1, vcc
	v_lshrrev_b64 v[10:11], v8, v[10:11]
; %bb.9303:                             ;   in Loop: Header=BB6_6244 Depth=2
	s_andn2_saveexec_b64 s[18:19], s[18:19]
; %bb.9304:                             ;   in Loop: Header=BB6_6244 Depth=2
	v_bfe_u32 v0, v10, 23, 1
; %bb.9305:                             ;   in Loop: Header=BB6_6244 Depth=2
	s_or_b64 exec, exec, s[18:19]
	v_lshrrev_b64 v[10:11], 20, v[10:11]
	v_cmp_gt_i32_e32 vcc, 16, v0
	v_cndmask_b32_e32 v11, 0, v11, vcc
	v_cndmask_b32_e32 v10, 7, v10, vcc
	v_cmp_eq_u32_e32 vcc, 0, v0
	v_min_i32_e32 v0, 15, v0
	v_cmp_eq_u64_e64 s[18:19], 0, v[10:11]
	v_lshlrev_b32_e32 v0, 3, v0
	v_and_b32_e32 v0, 0xf8, v0
	v_and_or_b32 v0, v10, 7, v0
	s_and_b64 s[18:19], vcc, s[18:19]
	v_cndmask_b32_e64 v0, v0, 0, s[18:19]
	v_or_b32_e32 v0, v0, v7
.LBB6_9306:                             ;   in Loop: Header=BB6_6244 Depth=2
	s_or_b64 exec, exec, s[88:89]
                                        ; implicit-def: $vgpr7
.LBB6_9307:                             ;   in Loop: Header=BB6_6244 Depth=2
	s_andn2_saveexec_b64 s[18:19], s[78:79]
; %bb.9308:                             ;   in Loop: Header=BB6_6244 Depth=2
	v_or_b32_e32 v0, 0x7e, v7
; %bb.9309:                             ;   in Loop: Header=BB6_6244 Depth=2
	s_or_b64 exec, exec, s[18:19]
                                        ; implicit-def: $vgpr8
.LBB6_9310:                             ;   in Loop: Header=BB6_6244 Depth=2
	s_andn2_saveexec_b64 s[18:19], s[76:77]
; %bb.9311:                             ;   in Loop: Header=BB6_6244 Depth=2
	v_or_b32_sdwa v0, v8, s39 dst_sel:DWORD dst_unused:UNUSED_PAD src0_sel:BYTE_3 src1_sel:DWORD
; %bb.9312:                             ;   in Loop: Header=BB6_6244 Depth=2
	s_or_b64 exec, exec, s[18:19]
	v_cmp_lt_u32_e32 vcc, s61, v50
	v_mov_b32_e32 v7, 0
	v_mov_b32_e32 v8, 0
	s_and_saveexec_b64 s[18:19], vcc
	s_cbranch_execz .LBB6_9318
; %bb.9313:                             ;   in Loop: Header=BB6_6244 Depth=2
	v_lshrrev_b32_e32 v10, 24, v50
	v_cmp_ne_u32_sdwa s[78:79], v50, s50 src0_sel:BYTE_3 src1_sel:DWORD
	v_bfrev_b32_e32 v8, 1
	s_and_saveexec_b64 s[76:77], s[78:79]
	s_cbranch_execz .LBB6_9317
; %bb.9314:                             ;   in Loop: Header=BB6_6244 Depth=2
	v_bfe_u32 v11, v50, 24, 7
	v_cmp_ne_u32_e32 vcc, s39, v11
	v_mov_b32_e32 v8, 0x7f800001
	s_and_saveexec_b64 s[78:79], vcc
	s_cbranch_execz .LBB6_9316
; %bb.9315:                             ;   in Loop: Header=BB6_6244 Depth=2
	v_and_b32_e32 v8, 7, v10
	v_lshrrev_b32_e32 v14, 3, v11
	v_cmp_gt_u32_e32 vcc, 8, v11
	v_ffbh_u32_e32 v11, v8
	v_min_u32_e32 v15, 32, v11
	v_subrev_u32_e32 v11, 28, v15
	v_lshlrev_b64 v[10:11], v11, v[10:11]
	v_sub_u32_e32 v11, 29, v15
	v_and_b32_e32 v10, 7, v10
	v_cndmask_b32_e32 v8, v8, v10, vcc
	v_mov_b32_e32 v10, 24
	v_cndmask_b32_e32 v11, v14, v11, vcc
	v_lshlrev_b32_sdwa v10, v10, v50 dst_sel:DWORD dst_unused:UNUSED_PAD src0_sel:DWORD src1_sel:BYTE_3
	v_lshlrev_b32_e32 v8, 20, v8
	v_and_b32_e32 v10, 0x80000000, v10
	v_lshl_add_u32 v11, v11, 23, v62
	v_or3_b32 v8, v10, v11, v8
.LBB6_9316:                             ;   in Loop: Header=BB6_6244 Depth=2
	s_or_b64 exec, exec, s[78:79]
.LBB6_9317:                             ;   in Loop: Header=BB6_6244 Depth=2
	s_or_b64 exec, exec, s[76:77]
.LBB6_9318:                             ;   in Loop: Header=BB6_6244 Depth=2
	s_or_b64 exec, exec, s[18:19]
	v_cmp_lt_u32_e32 vcc, s61, v12
	s_and_saveexec_b64 s[18:19], vcc
	s_cbranch_execz .LBB6_9324
; %bb.9319:                             ;   in Loop: Header=BB6_6244 Depth=2
	v_lshrrev_b32_e32 v10, 24, v12
	v_cmp_ne_u32_e32 vcc, s50, v10
	v_bfrev_b32_e32 v7, 1
	s_and_saveexec_b64 s[76:77], vcc
	s_cbranch_execz .LBB6_9323
; %bb.9320:                             ;   in Loop: Header=BB6_6244 Depth=2
	v_bfe_u32 v11, v12, 24, 7
	v_cmp_ne_u32_e32 vcc, s39, v11
	v_mov_b32_e32 v7, 0x7f800001
	s_and_saveexec_b64 s[78:79], vcc
	s_cbranch_execz .LBB6_9322
; %bb.9321:                             ;   in Loop: Header=BB6_6244 Depth=2
	v_and_b32_e32 v7, 7, v10
	v_lshrrev_b32_e32 v24, 3, v11
	v_cmp_gt_u32_e32 vcc, 8, v11
	v_ffbh_u32_e32 v11, v7
	v_min_u32_e32 v11, 32, v11
	v_subrev_u32_e32 v14, 28, v11
	v_lshlrev_b64 v[14:15], v14, v[10:11]
	v_sub_u32_e32 v11, 29, v11
	v_and_b32_e32 v14, 7, v14
	v_cndmask_b32_e32 v11, v24, v11, vcc
	v_cndmask_b32_e32 v7, v7, v14, vcc
	v_lshlrev_b32_e32 v10, 24, v10
	v_lshlrev_b32_e32 v7, 20, v7
	v_and_b32_e32 v10, 0x80000000, v10
	v_lshl_add_u32 v11, v11, 23, v62
	v_or3_b32 v7, v10, v11, v7
.LBB6_9322:                             ;   in Loop: Header=BB6_6244 Depth=2
	s_or_b64 exec, exec, s[78:79]
.LBB6_9323:                             ;   in Loop: Header=BB6_6244 Depth=2
	s_or_b64 exec, exec, s[76:77]
.LBB6_9324:                             ;   in Loop: Header=BB6_6244 Depth=2
	s_or_b64 exec, exec, s[18:19]
	v_add_f32_e32 v10, v8, v7
	v_and_b32_e32 v50, 0x7f800000, v10
	v_cmp_ne_u64_e32 vcc, s[46:47], v[50:51]
                                        ; implicit-def: $vgpr7
	s_and_saveexec_b64 s[18:19], vcc
	s_xor_b64 s[76:77], exec, s[18:19]
	s_cbranch_execz .LBB6_9338
; %bb.9325:                             ;   in Loop: Header=BB6_6244 Depth=2
	v_and_b32_e32 v50, 0x7fffffff, v10
	v_cmp_gt_u64_e32 vcc, s[56:57], v[50:51]
	v_and_b32_sdwa v8, v10, s50 dst_sel:DWORD dst_unused:UNUSED_PAD src0_sel:BYTE_3 src1_sel:DWORD
                                        ; implicit-def: $vgpr7
	s_and_saveexec_b64 s[18:19], vcc
	s_xor_b64 s[78:79], exec, s[18:19]
	s_cbranch_execz .LBB6_9335
; %bb.9326:                             ;   in Loop: Header=BB6_6244 Depth=2
	v_mov_b32_e32 v7, 0
	v_cmp_ne_u32_e32 vcc, 0, v10
	s_and_saveexec_b64 s[88:89], vcc
	s_cbranch_execz .LBB6_9334
; %bb.9327:                             ;   in Loop: Header=BB6_6244 Depth=2
	v_bfe_u32 v7, v10, 23, 8
	v_and_b32_e32 v11, 0x7fffff, v10
	v_cmp_gt_u32_e64 s[18:19], s51, v7
	v_sub_u32_e32 v10, 0x79, v7
	v_cmp_eq_u32_e32 vcc, 0, v7
	v_cndmask_b32_e64 v10, 0, v10, s[18:19]
	v_mov_b32_e32 v15, 0x78
	v_cndmask_b32_e32 v25, v10, v15, vcc
	v_or_b32_e32 v14, 0x800000, v11
	v_add_u32_e32 v10, 20, v25
	v_cndmask_b32_e32 v50, v14, v11, vcc
	v_lshlrev_b64 v[10:11], v10, -1
	v_add_u32_e32 v14, 19, v25
	v_lshlrev_b64 v[14:15], v14, 1
	v_bfi_b32 v11, v11, 0, 0
	v_bfi_b32 v10, v10, 0, v50
	v_cmp_eq_u64_e64 s[18:19], v[10:11], v[14:15]
	v_lshrrev_b64 v[10:11], v25, v[50:51]
	v_mov_b32_e32 v15, v11
	v_mov_b32_e32 v14, v10
	s_and_saveexec_b64 s[90:91], s[18:19]
; %bb.9328:                             ;   in Loop: Header=BB6_6244 Depth=2
	v_bfe_u32 v11, v10, 20, 1
	v_add_co_u32_e64 v11, s[18:19], v10, v11
	v_add_co_u32_e64 v14, s[18:19], -1, v11
; %bb.9329:                             ;   in Loop: Header=BB6_6244 Depth=2
	s_or_b64 exec, exec, s[90:91]
	v_add_u32_e32 v7, 0xffffff81, v7
	v_mov_b32_e32 v11, 0xffffff82
	v_cndmask_b32_e32 v7, v7, v11, vcc
	v_lshrrev_b32_e32 v11, 23, v10
	v_add3_u32 v25, v25, v7, v11
	v_add_u32_e32 v15, 6, v25
	v_and_b32_e32 v7, 0xfffff, v14
	v_add_u32_e32 v50, v7, v10
	v_cmp_ne_u32_e32 vcc, 0, v15
                                        ; implicit-def: $vgpr10_vgpr11
                                        ; implicit-def: $vgpr7
	s_and_saveexec_b64 s[18:19], vcc
	s_xor_b64 s[18:19], exec, s[18:19]
; %bb.9330:                             ;   in Loop: Header=BB6_6244 Depth=2
	v_cmp_lt_u64_e32 vcc, s[58:59], v[50:51]
	v_add_u32_e32 v7, 7, v25
	v_cndmask_b32_e64 v10, 0, 1, vcc
	v_lshrrev_b64 v[10:11], v10, v[50:51]
	v_cndmask_b32_e32 v7, v15, v7, vcc
; %bb.9331:                             ;   in Loop: Header=BB6_6244 Depth=2
	s_andn2_saveexec_b64 s[18:19], s[18:19]
; %bb.9332:                             ;   in Loop: Header=BB6_6244 Depth=2
	v_mov_b32_e32 v10, v50
	v_bfe_u32 v7, v50, 23, 1
	v_mov_b32_e32 v11, v51
; %bb.9333:                             ;   in Loop: Header=BB6_6244 Depth=2
	s_or_b64 exec, exec, s[18:19]
	v_lshrrev_b64 v[10:11], 20, v[10:11]
	v_cmp_gt_i32_e32 vcc, 16, v7
	v_cndmask_b32_e32 v11, 0, v11, vcc
	v_cndmask_b32_e32 v10, 7, v10, vcc
	v_cmp_eq_u32_e32 vcc, 0, v7
	v_min_i32_e32 v7, 15, v7
	v_cmp_eq_u64_e64 s[18:19], 0, v[10:11]
	v_lshlrev_b32_e32 v7, 3, v7
	v_and_b32_e32 v7, 0xf8, v7
	v_and_or_b32 v7, v10, 7, v7
	s_and_b64 s[18:19], vcc, s[18:19]
	v_cndmask_b32_e64 v7, v7, 0, s[18:19]
	v_or_b32_e32 v7, v7, v8
.LBB6_9334:                             ;   in Loop: Header=BB6_6244 Depth=2
	s_or_b64 exec, exec, s[88:89]
                                        ; implicit-def: $vgpr8
.LBB6_9335:                             ;   in Loop: Header=BB6_6244 Depth=2
	s_andn2_saveexec_b64 s[18:19], s[78:79]
; %bb.9336:                             ;   in Loop: Header=BB6_6244 Depth=2
	v_or_b32_e32 v7, 0x7e, v8
; %bb.9337:                             ;   in Loop: Header=BB6_6244 Depth=2
	s_or_b64 exec, exec, s[18:19]
                                        ; implicit-def: $vgpr10
.LBB6_9338:                             ;   in Loop: Header=BB6_6244 Depth=2
	s_andn2_saveexec_b64 s[18:19], s[76:77]
; %bb.9339:                             ;   in Loop: Header=BB6_6244 Depth=2
	v_or_b32_sdwa v7, v10, s39 dst_sel:DWORD dst_unused:UNUSED_PAD src0_sel:BYTE_3 src1_sel:DWORD
; %bb.9340:                             ;   in Loop: Header=BB6_6244 Depth=2
	s_or_b64 exec, exec, s[18:19]
	buffer_load_dword v8, off, s[0:3], s33 offset:132 ; 4-byte Folded Reload
	v_cmp_ne_u32_e32 vcc, 0, v4
	s_waitcnt vmcnt(0)
	v_lshlrev_b32_e32 v10, 24, v8
	buffer_load_dword v8, off, s[0:3], s33 offset:124 ; 4-byte Folded Reload
	s_waitcnt vmcnt(0)
	v_lshlrev_b32_e32 v11, 16, v8
	buffer_load_dword v8, off, s[0:3], s33 offset:112 ; 4-byte Folded Reload
	s_waitcnt vmcnt(0)
	v_lshl_or_b32 v8, v8, 8, v4
	v_or3_b32 v50, v11, v10, v8
	v_mov_b32_e32 v11, 0
	v_mov_b32_e32 v10, 0
	s_and_saveexec_b64 s[18:19], vcc
	s_cbranch_execz .LBB6_9346
; %bb.9341:                             ;   in Loop: Header=BB6_6244 Depth=2
	v_cmp_ne_u32_e32 vcc, s50, v4
	v_bfrev_b32_e32 v10, 1
	s_and_saveexec_b64 s[76:77], vcc
	s_cbranch_execz .LBB6_9345
; %bb.9342:                             ;   in Loop: Header=BB6_6244 Depth=2
	v_and_b32_e32 v14, 0x7f, v4
	v_cmp_ne_u32_e32 vcc, s39, v14
	v_mov_b32_e32 v10, 0x7f800001
	s_and_saveexec_b64 s[78:79], vcc
	s_cbranch_execz .LBB6_9344
; %bb.9343:                             ;   in Loop: Header=BB6_6244 Depth=2
	v_and_b32_e32 v4, 7, v4
	v_ffbh_u32_e32 v4, v4
	v_min_u32_e32 v4, 32, v4
	v_lshrrev_b32_e32 v10, 3, v14
	v_cmp_gt_u32_e32 vcc, 8, v14
	v_subrev_u32_e32 v14, 28, v4
	v_sub_u32_e32 v4, 29, v4
	v_cndmask_b32_e32 v4, v10, v4, vcc
	v_cndmask_b32_e32 v10, 0, v14, vcc
	v_lshlrev_b64 v[14:15], v10, v[50:51]
	v_lshl_add_u32 v4, v4, 23, v62
	v_lshlrev_b32_e32 v10, 20, v14
	v_lshlrev_b32_e32 v14, 24, v50
	v_and_b32_e32 v10, 0x700000, v10
	v_and_b32_e32 v14, 0x80000000, v14
	v_or3_b32 v10, v14, v4, v10
.LBB6_9344:                             ;   in Loop: Header=BB6_6244 Depth=2
	s_or_b64 exec, exec, s[78:79]
.LBB6_9345:                             ;   in Loop: Header=BB6_6244 Depth=2
	s_or_b64 exec, exec, s[76:77]
.LBB6_9346:                             ;   in Loop: Header=BB6_6244 Depth=2
	s_or_b64 exec, exec, s[18:19]
	v_cmp_ne_u16_sdwa s[76:77], v13, v51 src0_sel:BYTE_0 src1_sel:DWORD
	s_and_saveexec_b64 s[18:19], s[76:77]
	s_cbranch_execz .LBB6_9352
; %bb.9347:                             ;   in Loop: Header=BB6_6244 Depth=2
	v_cmp_ne_u16_sdwa s[78:79], v13, s50 src0_sel:BYTE_0 src1_sel:DWORD
	v_bfrev_b32_e32 v11, 1
	s_and_saveexec_b64 s[76:77], s[78:79]
	s_cbranch_execz .LBB6_9351
; %bb.9348:                             ;   in Loop: Header=BB6_6244 Depth=2
	v_and_b32_e32 v4, 0x7f, v13
	v_cmp_ne_u32_e32 vcc, s39, v4
	v_mov_b32_e32 v11, 0x7f800001
	s_and_saveexec_b64 s[78:79], vcc
	s_cbranch_execz .LBB6_9350
; %bb.9349:                             ;   in Loop: Header=BB6_6244 Depth=2
	v_and_b32_e32 v11, 7, v13
	v_lshrrev_b32_e32 v24, 3, v4
	v_cmp_gt_u32_e32 vcc, 8, v4
	v_ffbh_u32_e32 v4, v11
	v_min_u32_e32 v4, 32, v4
	v_subrev_u32_e32 v11, 28, v4
	v_mov_b32_e32 v14, v13
	v_mov_b32_e32 v15, v51
	v_sub_u32_e32 v4, 29, v4
	v_cndmask_b32_e32 v11, 0, v11, vcc
	v_cndmask_b32_e32 v4, v24, v4, vcc
	v_lshlrev_b64 v[24:25], v11, v[14:15]
	v_lshlrev_b32_e32 v14, 24, v14
	v_lshlrev_b32_e32 v11, 20, v24
	v_and_b32_e32 v11, 0x700000, v11
	v_and_b32_e32 v14, 0x80000000, v14
	v_lshl_add_u32 v4, v4, 23, v62
	v_or3_b32 v11, v14, v4, v11
.LBB6_9350:                             ;   in Loop: Header=BB6_6244 Depth=2
	s_or_b64 exec, exec, s[78:79]
.LBB6_9351:                             ;   in Loop: Header=BB6_6244 Depth=2
	s_or_b64 exec, exec, s[76:77]
.LBB6_9352:                             ;   in Loop: Header=BB6_6244 Depth=2
	s_or_b64 exec, exec, s[18:19]
	v_add_f32_e32 v10, v10, v11
	v_and_b32_e32 v14, 0x7f800000, v10
	v_mov_b32_e32 v15, v51
	v_cmp_ne_u64_e32 vcc, s[46:47], v[14:15]
                                        ; implicit-def: $vgpr4
	s_and_saveexec_b64 s[18:19], vcc
	s_xor_b64 s[76:77], exec, s[18:19]
	s_cbranch_execz .LBB6_9366
; %bb.9353:                             ;   in Loop: Header=BB6_6244 Depth=2
	v_and_b32_e32 v14, 0x7fffffff, v10
	v_mov_b32_e32 v15, v51
	v_cmp_gt_u64_e32 vcc, s[56:57], v[14:15]
	v_and_b32_sdwa v25, v10, s50 dst_sel:DWORD dst_unused:UNUSED_PAD src0_sel:BYTE_3 src1_sel:DWORD
                                        ; implicit-def: $vgpr4
	s_and_saveexec_b64 s[18:19], vcc
	s_xor_b64 s[78:79], exec, s[18:19]
	s_cbranch_execz .LBB6_9363
; %bb.9354:                             ;   in Loop: Header=BB6_6244 Depth=2
	v_mov_b32_e32 v4, 0
	v_cmp_ne_u32_e32 vcc, 0, v10
	s_and_saveexec_b64 s[88:89], vcc
	s_cbranch_execz .LBB6_9362
; %bb.9355:                             ;   in Loop: Header=BB6_6244 Depth=2
	v_bfe_u32 v4, v10, 23, 8
	v_and_b32_e32 v11, 0x7fffff, v10
	v_cmp_gt_u32_e64 s[18:19], s51, v4
	v_sub_u32_e32 v10, 0x79, v4
	v_cmp_eq_u32_e32 vcc, 0, v4
	v_cndmask_b32_e64 v10, 0, v10, s[18:19]
	v_mov_b32_e32 v15, 0x78
	v_or_b32_e32 v14, 0x800000, v11
	v_cndmask_b32_e32 v28, v10, v15, vcc
	v_cndmask_b32_e32 v10, v14, v11, vcc
	v_add_u32_e32 v14, 20, v28
	v_lshlrev_b64 v[14:15], v14, -1
	v_mov_b32_e32 v11, v51
	v_add_u32_e32 v24, 19, v28
	v_mov_b32_e32 v37, v33
	v_mov_b32_e32 v29, v32
	v_bfi_b32 v14, v14, 0, v10
	v_lshlrev_b64 v[32:33], v24, 1
	v_lshrrev_b64 v[10:11], v28, v[10:11]
	v_bfi_b32 v15, v15, 0, 0
	v_cmp_eq_u64_e64 s[18:19], v[14:15], v[32:33]
	v_mov_b32_e32 v15, v11
	v_mov_b32_e32 v14, v10
	s_and_saveexec_b64 s[90:91], s[18:19]
; %bb.9356:                             ;   in Loop: Header=BB6_6244 Depth=2
	v_bfe_u32 v11, v10, 20, 1
	v_add_co_u32_e64 v11, s[18:19], v10, v11
	v_add_co_u32_e64 v14, s[18:19], -1, v11
; %bb.9357:                             ;   in Loop: Header=BB6_6244 Depth=2
	s_or_b64 exec, exec, s[90:91]
	v_add_u32_e32 v4, 0xffffff81, v4
	v_mov_b32_e32 v11, 0xffffff82
	v_cndmask_b32_e32 v4, v4, v11, vcc
	v_lshrrev_b32_e32 v11, 23, v10
	v_add3_u32 v28, v28, v4, v11
	v_add_u32_e32 v15, 6, v28
	v_and_b32_e32 v4, 0xfffff, v14
	v_add_u32_e32 v10, v4, v10
	v_mov_b32_e32 v11, v51
	v_cmp_ne_u32_e32 vcc, 0, v15
                                        ; implicit-def: $vgpr4
	s_and_saveexec_b64 s[18:19], vcc
	s_xor_b64 s[18:19], exec, s[18:19]
; %bb.9358:                             ;   in Loop: Header=BB6_6244 Depth=2
	v_cmp_lt_u64_e32 vcc, s[58:59], v[10:11]
	v_add_u32_e32 v4, 7, v28
	v_cndmask_b32_e64 v14, 0, 1, vcc
	v_lshrrev_b64 v[10:11], v14, v[10:11]
	v_cndmask_b32_e32 v4, v15, v4, vcc
; %bb.9359:                             ;   in Loop: Header=BB6_6244 Depth=2
	s_or_saveexec_b64 s[18:19], s[18:19]
	v_mov_b32_e32 v32, v29
	v_mov_b32_e32 v33, v37
	s_xor_b64 exec, exec, s[18:19]
; %bb.9360:                             ;   in Loop: Header=BB6_6244 Depth=2
	v_bfe_u32 v4, v10, 23, 1
; %bb.9361:                             ;   in Loop: Header=BB6_6244 Depth=2
	s_or_b64 exec, exec, s[18:19]
	v_lshrrev_b64 v[10:11], 20, v[10:11]
	v_cmp_gt_i32_e32 vcc, 16, v4
	v_cndmask_b32_e32 v11, 0, v11, vcc
	v_cndmask_b32_e32 v10, 7, v10, vcc
	v_cmp_eq_u32_e32 vcc, 0, v4
	v_min_i32_e32 v4, 15, v4
	v_cmp_eq_u64_e64 s[18:19], 0, v[10:11]
	v_lshlrev_b32_e32 v4, 3, v4
	v_and_b32_e32 v4, 0xf8, v4
	v_and_or_b32 v4, v10, 7, v4
	s_and_b64 s[18:19], vcc, s[18:19]
	v_cndmask_b32_e64 v4, v4, 0, s[18:19]
	v_or_b32_e32 v4, v4, v25
.LBB6_9362:                             ;   in Loop: Header=BB6_6244 Depth=2
	s_or_b64 exec, exec, s[88:89]
                                        ; implicit-def: $vgpr25
.LBB6_9363:                             ;   in Loop: Header=BB6_6244 Depth=2
	s_andn2_saveexec_b64 s[18:19], s[78:79]
; %bb.9364:                             ;   in Loop: Header=BB6_6244 Depth=2
	v_or_b32_e32 v4, 0x7e, v25
; %bb.9365:                             ;   in Loop: Header=BB6_6244 Depth=2
	s_or_b64 exec, exec, s[18:19]
                                        ; implicit-def: $vgpr10
.LBB6_9366:                             ;   in Loop: Header=BB6_6244 Depth=2
	s_andn2_saveexec_b64 s[18:19], s[76:77]
; %bb.9367:                             ;   in Loop: Header=BB6_6244 Depth=2
	v_or_b32_sdwa v4, v10, s39 dst_sel:DWORD dst_unused:UNUSED_PAD src0_sel:BYTE_3 src1_sel:DWORD
; %bb.9368:                             ;   in Loop: Header=BB6_6244 Depth=2
	s_or_b64 exec, exec, s[18:19]
	v_lshrrev_b16_e32 v10, 8, v8
	v_cmp_ne_u16_e32 vcc, 0, v10
	v_mov_b32_e32 v11, 0
	v_mov_b32_e32 v14, 0
	s_and_saveexec_b64 s[18:19], vcc
	s_cbranch_execz .LBB6_9374
; %bb.9369:                             ;   in Loop: Header=BB6_6244 Depth=2
	v_cmp_ne_u16_e32 vcc, s50, v10
	v_bfrev_b32_e32 v14, 1
	s_and_saveexec_b64 s[76:77], vcc
	s_cbranch_execz .LBB6_9373
; %bb.9370:                             ;   in Loop: Header=BB6_6244 Depth=2
	v_and_b32_e32 v15, 0x7f, v10
	v_cmp_ne_u32_e32 vcc, s39, v15
	v_mov_b32_e32 v14, 0x7f800001
	s_and_saveexec_b64 s[78:79], vcc
	s_cbranch_execz .LBB6_9372
; %bb.9371:                             ;   in Loop: Header=BB6_6244 Depth=2
	v_and_b32_e32 v24, 7, v10
	v_ffbh_u32_e32 v14, v24
	v_min_u32_e32 v28, 32, v14
	v_subrev_u32_e32 v14, 28, v28
	v_lshrrev_b32_e32 v25, 3, v15
	v_cmp_gt_u32_e32 vcc, 8, v15
	v_lshlrev_b64 v[14:15], v14, v[10:11]
	v_sub_u32_e32 v10, 29, v28
	v_and_b32_e32 v14, 7, v14
	v_cndmask_b32_e32 v10, v25, v10, vcc
	v_cndmask_b32_e32 v14, v24, v14, vcc
	v_lshlrev_b32_e32 v8, 16, v8
	v_lshlrev_b32_e32 v14, 20, v14
	v_and_b32_e32 v8, 0x80000000, v8
	v_lshl_add_u32 v10, v10, 23, v62
	v_or3_b32 v14, v8, v10, v14
.LBB6_9372:                             ;   in Loop: Header=BB6_6244 Depth=2
	s_or_b64 exec, exec, s[78:79]
.LBB6_9373:                             ;   in Loop: Header=BB6_6244 Depth=2
	s_or_b64 exec, exec, s[76:77]
.LBB6_9374:                             ;   in Loop: Header=BB6_6244 Depth=2
	s_or_b64 exec, exec, s[18:19]
	v_lshrrev_b16_e32 v10, 8, v13
	v_cmp_ne_u16_e32 vcc, 0, v10
	s_and_saveexec_b64 s[18:19], vcc
	s_cbranch_execz .LBB6_9380
; %bb.9375:                             ;   in Loop: Header=BB6_6244 Depth=2
	v_cmp_ne_u16_e32 vcc, s50, v10
	v_bfrev_b32_e32 v11, 1
	s_and_saveexec_b64 s[76:77], vcc
	s_cbranch_execz .LBB6_9379
; %bb.9376:                             ;   in Loop: Header=BB6_6244 Depth=2
	v_and_b32_e32 v8, 0x7f, v10
	v_cmp_ne_u32_e32 vcc, s39, v8
	v_mov_b32_e32 v11, 0x7f800001
	s_and_saveexec_b64 s[78:79], vcc
	s_cbranch_execz .LBB6_9378
; %bb.9377:                             ;   in Loop: Header=BB6_6244 Depth=2
	v_and_b32_e32 v15, 7, v10
	v_lshrrev_b32_e32 v24, 3, v8
	v_cmp_gt_u32_e32 vcc, 8, v8
	v_ffbh_u32_e32 v8, v15
	v_min_u32_e32 v8, 32, v8
	v_subrev_u32_e32 v11, 28, v8
	v_lshlrev_b64 v[10:11], v11, v[10:11]
	v_sub_u32_e32 v8, 29, v8
	v_and_b32_e32 v10, 7, v10
	v_cndmask_b32_e32 v8, v24, v8, vcc
	v_cndmask_b32_e32 v10, v15, v10, vcc
	v_lshlrev_b32_e32 v11, 16, v13
	v_lshlrev_b32_e32 v10, 20, v10
	v_and_b32_e32 v11, 0x80000000, v11
	v_lshl_add_u32 v8, v8, 23, v62
	v_or3_b32 v11, v11, v8, v10
.LBB6_9378:                             ;   in Loop: Header=BB6_6244 Depth=2
	s_or_b64 exec, exec, s[78:79]
.LBB6_9379:                             ;   in Loop: Header=BB6_6244 Depth=2
	s_or_b64 exec, exec, s[76:77]
.LBB6_9380:                             ;   in Loop: Header=BB6_6244 Depth=2
	s_or_b64 exec, exec, s[18:19]
	v_add_f32_e32 v10, v14, v11
	v_and_b32_e32 v14, 0x7f800000, v10
	v_mov_b32_e32 v15, v51
	v_cmp_ne_u64_e32 vcc, s[46:47], v[14:15]
                                        ; implicit-def: $vgpr8
	s_and_saveexec_b64 s[18:19], vcc
	s_xor_b64 s[76:77], exec, s[18:19]
	s_cbranch_execz .LBB6_9394
; %bb.9381:                             ;   in Loop: Header=BB6_6244 Depth=2
	v_and_b32_e32 v14, 0x7fffffff, v10
	v_mov_b32_e32 v15, v51
	v_cmp_gt_u64_e32 vcc, s[56:57], v[14:15]
	v_and_b32_sdwa v25, v10, s50 dst_sel:DWORD dst_unused:UNUSED_PAD src0_sel:BYTE_3 src1_sel:DWORD
                                        ; implicit-def: $vgpr8
	s_and_saveexec_b64 s[18:19], vcc
	s_xor_b64 s[78:79], exec, s[18:19]
	s_cbranch_execz .LBB6_9391
; %bb.9382:                             ;   in Loop: Header=BB6_6244 Depth=2
	v_mov_b32_e32 v8, 0
	v_cmp_ne_u32_e32 vcc, 0, v10
	s_and_saveexec_b64 s[88:89], vcc
	s_cbranch_execz .LBB6_9390
; %bb.9383:                             ;   in Loop: Header=BB6_6244 Depth=2
	v_bfe_u32 v8, v10, 23, 8
	v_and_b32_e32 v11, 0x7fffff, v10
	v_cmp_gt_u32_e64 s[18:19], s51, v8
	v_sub_u32_e32 v10, 0x79, v8
	v_cmp_eq_u32_e32 vcc, 0, v8
	v_cndmask_b32_e64 v10, 0, v10, s[18:19]
	v_mov_b32_e32 v15, 0x78
	v_or_b32_e32 v14, 0x800000, v11
	v_cndmask_b32_e32 v28, v10, v15, vcc
	v_cndmask_b32_e32 v10, v14, v11, vcc
	v_add_u32_e32 v14, 20, v28
	v_lshlrev_b64 v[14:15], v14, -1
	v_mov_b32_e32 v11, v51
	v_add_u32_e32 v24, 19, v28
	v_mov_b32_e32 v37, v33
	v_mov_b32_e32 v29, v32
	v_bfi_b32 v14, v14, 0, v10
	v_lshlrev_b64 v[32:33], v24, 1
	v_lshrrev_b64 v[10:11], v28, v[10:11]
	v_bfi_b32 v15, v15, 0, 0
	v_cmp_eq_u64_e64 s[18:19], v[14:15], v[32:33]
	v_mov_b32_e32 v15, v11
	v_mov_b32_e32 v14, v10
	s_and_saveexec_b64 s[90:91], s[18:19]
; %bb.9384:                             ;   in Loop: Header=BB6_6244 Depth=2
	v_bfe_u32 v11, v10, 20, 1
	v_add_co_u32_e64 v11, s[18:19], v10, v11
	v_add_co_u32_e64 v14, s[18:19], -1, v11
; %bb.9385:                             ;   in Loop: Header=BB6_6244 Depth=2
	s_or_b64 exec, exec, s[90:91]
	v_add_u32_e32 v8, 0xffffff81, v8
	v_mov_b32_e32 v11, 0xffffff82
	v_cndmask_b32_e32 v8, v8, v11, vcc
	v_lshrrev_b32_e32 v11, 23, v10
	v_add3_u32 v28, v28, v8, v11
	v_add_u32_e32 v15, 6, v28
	v_and_b32_e32 v8, 0xfffff, v14
	v_add_u32_e32 v10, v8, v10
	v_mov_b32_e32 v11, v51
	v_cmp_ne_u32_e32 vcc, 0, v15
                                        ; implicit-def: $vgpr8
	s_and_saveexec_b64 s[18:19], vcc
	s_xor_b64 s[18:19], exec, s[18:19]
; %bb.9386:                             ;   in Loop: Header=BB6_6244 Depth=2
	v_cmp_lt_u64_e32 vcc, s[58:59], v[10:11]
	v_add_u32_e32 v8, 7, v28
	v_cndmask_b32_e64 v14, 0, 1, vcc
	v_lshrrev_b64 v[10:11], v14, v[10:11]
	v_cndmask_b32_e32 v8, v15, v8, vcc
; %bb.9387:                             ;   in Loop: Header=BB6_6244 Depth=2
	s_or_saveexec_b64 s[18:19], s[18:19]
	v_mov_b32_e32 v32, v29
	v_mov_b32_e32 v33, v37
	s_xor_b64 exec, exec, s[18:19]
; %bb.9388:                             ;   in Loop: Header=BB6_6244 Depth=2
	v_bfe_u32 v8, v10, 23, 1
; %bb.9389:                             ;   in Loop: Header=BB6_6244 Depth=2
	s_or_b64 exec, exec, s[18:19]
	v_lshrrev_b64 v[10:11], 20, v[10:11]
	v_cmp_gt_i32_e32 vcc, 16, v8
	v_cndmask_b32_e32 v11, 0, v11, vcc
	v_cndmask_b32_e32 v10, 7, v10, vcc
	v_cmp_eq_u32_e32 vcc, 0, v8
	v_min_i32_e32 v8, 15, v8
	v_cmp_eq_u64_e64 s[18:19], 0, v[10:11]
	v_lshlrev_b32_e32 v8, 3, v8
	v_and_b32_e32 v8, 0xf8, v8
	v_and_or_b32 v8, v10, 7, v8
	s_and_b64 s[18:19], vcc, s[18:19]
	v_cndmask_b32_e64 v8, v8, 0, s[18:19]
	v_or_b32_e32 v8, v8, v25
.LBB6_9390:                             ;   in Loop: Header=BB6_6244 Depth=2
	s_or_b64 exec, exec, s[88:89]
                                        ; implicit-def: $vgpr25
.LBB6_9391:                             ;   in Loop: Header=BB6_6244 Depth=2
	s_andn2_saveexec_b64 s[18:19], s[78:79]
; %bb.9392:                             ;   in Loop: Header=BB6_6244 Depth=2
	v_or_b32_e32 v8, 0x7e, v25
; %bb.9393:                             ;   in Loop: Header=BB6_6244 Depth=2
	s_or_b64 exec, exec, s[18:19]
                                        ; implicit-def: $vgpr10
.LBB6_9394:                             ;   in Loop: Header=BB6_6244 Depth=2
	s_andn2_saveexec_b64 s[18:19], s[76:77]
; %bb.9395:                             ;   in Loop: Header=BB6_6244 Depth=2
	v_or_b32_sdwa v8, v10, s39 dst_sel:DWORD dst_unused:UNUSED_PAD src0_sel:BYTE_3 src1_sel:DWORD
; %bb.9396:                             ;   in Loop: Header=BB6_6244 Depth=2
	s_or_b64 exec, exec, s[18:19]
	v_lshrrev_b32_e32 v10, 16, v50
	v_cmp_ne_u16_sdwa s[76:77], v10, v51 src0_sel:BYTE_0 src1_sel:DWORD
	v_mov_b32_e32 v11, 0
	v_mov_b32_e32 v14, 0
	s_and_saveexec_b64 s[18:19], s[76:77]
	s_cbranch_execz .LBB6_9402
; %bb.9397:                             ;   in Loop: Header=BB6_6244 Depth=2
	v_cmp_ne_u16_sdwa s[78:79], v10, s50 src0_sel:BYTE_0 src1_sel:DWORD
	v_bfrev_b32_e32 v14, 1
	s_and_saveexec_b64 s[76:77], s[78:79]
	s_cbranch_execz .LBB6_9401
; %bb.9398:                             ;   in Loop: Header=BB6_6244 Depth=2
	v_bfe_u32 v15, v50, 16, 7
	v_cmp_ne_u32_e32 vcc, s39, v15
	v_mov_b32_e32 v14, 0x7f800001
	s_and_saveexec_b64 s[78:79], vcc
	s_cbranch_execz .LBB6_9400
; %bb.9399:                             ;   in Loop: Header=BB6_6244 Depth=2
	v_and_b32_e32 v24, 7, v10
	v_ffbh_u32_e32 v14, v24
	v_min_u32_e32 v28, 32, v14
	v_subrev_u32_e32 v14, 28, v28
	v_lshrrev_b32_e32 v25, 3, v15
	v_cmp_gt_u32_e32 vcc, 8, v15
	v_lshlrev_b64 v[14:15], v14, v[10:11]
	v_sub_u32_e32 v15, 29, v28
	v_and_b32_e32 v14, 7, v14
	v_cndmask_b32_e32 v15, v25, v15, vcc
	v_cndmask_b32_e32 v14, v24, v14, vcc
	v_lshlrev_b32_e32 v10, 24, v10
	v_lshlrev_b32_e32 v14, 20, v14
	v_and_b32_e32 v10, 0x80000000, v10
	v_lshl_add_u32 v15, v15, 23, v62
	v_or3_b32 v14, v10, v15, v14
.LBB6_9400:                             ;   in Loop: Header=BB6_6244 Depth=2
	s_or_b64 exec, exec, s[78:79]
.LBB6_9401:                             ;   in Loop: Header=BB6_6244 Depth=2
	s_or_b64 exec, exec, s[76:77]
.LBB6_9402:                             ;   in Loop: Header=BB6_6244 Depth=2
	s_or_b64 exec, exec, s[18:19]
	v_lshrrev_b32_e32 v10, 16, v13
	v_cmp_ne_u16_sdwa s[76:77], v10, v51 src0_sel:BYTE_0 src1_sel:DWORD
	s_and_saveexec_b64 s[18:19], s[76:77]
	s_cbranch_execz .LBB6_9408
; %bb.9403:                             ;   in Loop: Header=BB6_6244 Depth=2
	v_cmp_ne_u16_sdwa s[78:79], v10, s50 src0_sel:BYTE_0 src1_sel:DWORD
	v_bfrev_b32_e32 v11, 1
	s_and_saveexec_b64 s[76:77], s[78:79]
	s_cbranch_execz .LBB6_9407
; %bb.9404:                             ;   in Loop: Header=BB6_6244 Depth=2
	v_bfe_u32 v15, v13, 16, 7
	v_cmp_ne_u32_e32 vcc, s39, v15
	v_mov_b32_e32 v11, 0x7f800001
	s_and_saveexec_b64 s[78:79], vcc
	s_cbranch_execz .LBB6_9406
; %bb.9405:                             ;   in Loop: Header=BB6_6244 Depth=2
	v_and_b32_e32 v24, 7, v10
	v_ffbh_u32_e32 v11, v24
	v_lshrrev_b32_e32 v25, 3, v15
	v_cmp_gt_u32_e32 vcc, 8, v15
	v_min_u32_e32 v15, 32, v11
	v_subrev_u32_e32 v11, 28, v15
	v_lshlrev_b64 v[10:11], v11, v[10:11]
	v_sub_u32_e32 v11, 29, v15
	v_and_b32_e32 v10, 7, v10
	v_cndmask_b32_e32 v11, v25, v11, vcc
	v_cndmask_b32_e32 v10, v24, v10, vcc
	v_lshlrev_b32_e32 v15, 8, v13
	v_lshlrev_b32_e32 v10, 20, v10
	v_and_b32_e32 v15, 0x80000000, v15
	v_lshl_add_u32 v11, v11, 23, v62
	v_or3_b32 v11, v15, v11, v10
.LBB6_9406:                             ;   in Loop: Header=BB6_6244 Depth=2
	s_or_b64 exec, exec, s[78:79]
.LBB6_9407:                             ;   in Loop: Header=BB6_6244 Depth=2
	s_or_b64 exec, exec, s[76:77]
.LBB6_9408:                             ;   in Loop: Header=BB6_6244 Depth=2
	s_or_b64 exec, exec, s[18:19]
	v_add_f32_e32 v10, v14, v11
	v_and_b32_e32 v14, 0x7f800000, v10
	v_mov_b32_e32 v15, v51
	v_cmp_ne_u64_e32 vcc, s[46:47], v[14:15]
                                        ; implicit-def: $vgpr14
	s_and_saveexec_b64 s[18:19], vcc
	s_xor_b64 s[76:77], exec, s[18:19]
	s_cbranch_execz .LBB6_9422
; %bb.9409:                             ;   in Loop: Header=BB6_6244 Depth=2
	v_and_b32_e32 v14, 0x7fffffff, v10
	v_mov_b32_e32 v15, v51
	v_cmp_gt_u64_e32 vcc, s[56:57], v[14:15]
	v_and_b32_sdwa v25, v10, s50 dst_sel:DWORD dst_unused:UNUSED_PAD src0_sel:BYTE_3 src1_sel:DWORD
                                        ; implicit-def: $vgpr14
	s_and_saveexec_b64 s[18:19], vcc
	s_xor_b64 s[78:79], exec, s[18:19]
	s_cbranch_execz .LBB6_9419
; %bb.9410:                             ;   in Loop: Header=BB6_6244 Depth=2
	v_mov_b32_e32 v14, 0
	v_cmp_ne_u32_e32 vcc, 0, v10
	s_and_saveexec_b64 s[88:89], vcc
	s_cbranch_execz .LBB6_9418
; %bb.9411:                             ;   in Loop: Header=BB6_6244 Depth=2
	v_bfe_u32 v28, v10, 23, 8
	v_and_b32_e32 v11, 0x7fffff, v10
	v_cmp_gt_u32_e64 s[18:19], s51, v28
	v_sub_u32_e32 v10, 0x79, v28
	v_cmp_eq_u32_e32 vcc, 0, v28
	v_cndmask_b32_e64 v10, 0, v10, s[18:19]
	v_mov_b32_e32 v15, 0x78
	v_or_b32_e32 v14, 0x800000, v11
	v_cndmask_b32_e32 v29, v10, v15, vcc
	v_cndmask_b32_e32 v10, v14, v11, vcc
	v_add_u32_e32 v14, 20, v29
	v_lshlrev_b64 v[14:15], v14, -1
	v_mov_b32_e32 v11, v51
	v_add_u32_e32 v24, 19, v29
	v_mov_b32_e32 v40, v33
	v_mov_b32_e32 v37, v32
	v_bfi_b32 v14, v14, 0, v10
	v_lshlrev_b64 v[32:33], v24, 1
	v_lshrrev_b64 v[10:11], v29, v[10:11]
	v_bfi_b32 v15, v15, 0, 0
	v_cmp_eq_u64_e64 s[18:19], v[14:15], v[32:33]
	v_mov_b32_e32 v15, v11
	v_mov_b32_e32 v14, v10
	s_and_saveexec_b64 s[90:91], s[18:19]
; %bb.9412:                             ;   in Loop: Header=BB6_6244 Depth=2
	v_bfe_u32 v11, v10, 20, 1
	v_add_co_u32_e64 v11, s[18:19], v10, v11
	v_add_co_u32_e64 v14, s[18:19], -1, v11
; %bb.9413:                             ;   in Loop: Header=BB6_6244 Depth=2
	s_or_b64 exec, exec, s[90:91]
	v_add_u32_e32 v11, 0xffffff81, v28
	v_mov_b32_e32 v15, 0xffffff82
	v_cndmask_b32_e32 v11, v11, v15, vcc
	v_lshrrev_b32_e32 v15, 23, v10
	v_add3_u32 v28, v29, v11, v15
	v_add_u32_e32 v15, 6, v28
	v_and_b32_e32 v11, 0xfffff, v14
	v_add_u32_e32 v10, v11, v10
	v_mov_b32_e32 v11, v51
	v_cmp_ne_u32_e32 vcc, 0, v15
                                        ; implicit-def: $vgpr14
	s_and_saveexec_b64 s[18:19], vcc
	s_xor_b64 s[18:19], exec, s[18:19]
; %bb.9414:                             ;   in Loop: Header=BB6_6244 Depth=2
	v_cmp_lt_u64_e32 vcc, s[58:59], v[10:11]
	v_add_u32_e32 v14, 7, v28
	v_cndmask_b32_e32 v14, v15, v14, vcc
	v_cndmask_b32_e64 v15, 0, 1, vcc
	v_lshrrev_b64 v[10:11], v15, v[10:11]
; %bb.9415:                             ;   in Loop: Header=BB6_6244 Depth=2
	s_or_saveexec_b64 s[18:19], s[18:19]
	v_mov_b32_e32 v32, v37
	v_mov_b32_e32 v33, v40
	s_xor_b64 exec, exec, s[18:19]
; %bb.9416:                             ;   in Loop: Header=BB6_6244 Depth=2
	v_bfe_u32 v14, v10, 23, 1
; %bb.9417:                             ;   in Loop: Header=BB6_6244 Depth=2
	s_or_b64 exec, exec, s[18:19]
	v_lshrrev_b64 v[10:11], 20, v[10:11]
	v_cmp_gt_i32_e32 vcc, 16, v14
	v_cndmask_b32_e32 v11, 0, v11, vcc
	v_cndmask_b32_e32 v10, 7, v10, vcc
	v_cmp_eq_u64_e64 s[18:19], 0, v[10:11]
	v_min_i32_e32 v11, 15, v14
	v_lshlrev_b32_e32 v11, 3, v11
	v_cmp_eq_u32_e32 vcc, 0, v14
	v_and_b32_e32 v11, 0xf8, v11
	v_and_or_b32 v10, v10, 7, v11
	s_and_b64 s[18:19], vcc, s[18:19]
	v_cndmask_b32_e64 v10, v10, 0, s[18:19]
	v_or_b32_e32 v14, v10, v25
.LBB6_9418:                             ;   in Loop: Header=BB6_6244 Depth=2
	s_or_b64 exec, exec, s[88:89]
                                        ; implicit-def: $vgpr25
.LBB6_9419:                             ;   in Loop: Header=BB6_6244 Depth=2
	s_andn2_saveexec_b64 s[18:19], s[78:79]
; %bb.9420:                             ;   in Loop: Header=BB6_6244 Depth=2
	v_or_b32_e32 v14, 0x7e, v25
; %bb.9421:                             ;   in Loop: Header=BB6_6244 Depth=2
	s_or_b64 exec, exec, s[18:19]
                                        ; implicit-def: $vgpr10
.LBB6_9422:                             ;   in Loop: Header=BB6_6244 Depth=2
	s_andn2_saveexec_b64 s[18:19], s[76:77]
; %bb.9423:                             ;   in Loop: Header=BB6_6244 Depth=2
	v_or_b32_sdwa v14, v10, s39 dst_sel:DWORD dst_unused:UNUSED_PAD src0_sel:BYTE_3 src1_sel:DWORD
; %bb.9424:                             ;   in Loop: Header=BB6_6244 Depth=2
	s_or_b64 exec, exec, s[18:19]
	v_cmp_lt_u32_e32 vcc, s61, v50
	v_mov_b32_e32 v11, 0
	v_mov_b32_e32 v15, 0
	s_and_saveexec_b64 s[18:19], vcc
	s_cbranch_execz .LBB6_9430
; %bb.9425:                             ;   in Loop: Header=BB6_6244 Depth=2
	v_lshrrev_b32_e32 v10, 24, v50
	v_cmp_ne_u32_sdwa s[78:79], v50, s50 src0_sel:BYTE_3 src1_sel:DWORD
	v_bfrev_b32_e32 v15, 1
	s_and_saveexec_b64 s[76:77], s[78:79]
	s_cbranch_execz .LBB6_9429
; %bb.9426:                             ;   in Loop: Header=BB6_6244 Depth=2
	v_bfe_u32 v25, v50, 24, 7
	v_cmp_ne_u32_e32 vcc, s39, v25
	v_mov_b32_e32 v15, 0x7f800001
	s_and_saveexec_b64 s[78:79], vcc
	s_cbranch_execz .LBB6_9428
; %bb.9427:                             ;   in Loop: Header=BB6_6244 Depth=2
	v_and_b32_e32 v15, 7, v10
	v_ffbh_u32_e32 v24, v15
	v_min_u32_e32 v29, 32, v24
	v_subrev_u32_e32 v24, 28, v29
	v_lshrrev_b32_e32 v28, 3, v25
	v_cmp_gt_u32_e32 vcc, 8, v25
	v_lshlrev_b64 v[24:25], v24, v[10:11]
	v_sub_u32_e32 v10, 29, v29
	v_and_b32_e32 v24, 7, v24
	v_cndmask_b32_e32 v15, v15, v24, vcc
	v_mov_b32_e32 v24, 24
	v_cndmask_b32_e32 v10, v28, v10, vcc
	v_lshlrev_b32_sdwa v24, v24, v50 dst_sel:DWORD dst_unused:UNUSED_PAD src0_sel:DWORD src1_sel:BYTE_3
	v_lshlrev_b32_e32 v15, 20, v15
	v_and_b32_e32 v24, 0x80000000, v24
	v_lshl_add_u32 v10, v10, 23, v62
	v_or3_b32 v15, v24, v10, v15
.LBB6_9428:                             ;   in Loop: Header=BB6_6244 Depth=2
	s_or_b64 exec, exec, s[78:79]
.LBB6_9429:                             ;   in Loop: Header=BB6_6244 Depth=2
	s_or_b64 exec, exec, s[76:77]
.LBB6_9430:                             ;   in Loop: Header=BB6_6244 Depth=2
	s_or_b64 exec, exec, s[18:19]
	v_cmp_lt_u64_e32 vcc, s[60:61], v[12:13]
	s_and_saveexec_b64 s[18:19], vcc
	s_cbranch_execz .LBB6_9436
; %bb.9431:                             ;   in Loop: Header=BB6_6244 Depth=2
	v_lshrrev_b32_e32 v10, 24, v13
	v_cmp_ne_u32_e32 vcc, s50, v10
	v_bfrev_b32_e32 v11, 1
	s_and_saveexec_b64 s[76:77], vcc
	s_cbranch_execz .LBB6_9435
; %bb.9432:                             ;   in Loop: Header=BB6_6244 Depth=2
	v_bfe_u32 v12, v13, 24, 7
	v_cmp_ne_u32_e32 vcc, s39, v12
	v_mov_b32_e32 v11, 0x7f800001
	s_and_saveexec_b64 s[78:79], vcc
	s_cbranch_execz .LBB6_9434
; %bb.9433:                             ;   in Loop: Header=BB6_6244 Depth=2
	v_and_b32_e32 v13, 7, v10
	v_ffbh_u32_e32 v11, v13
	v_min_u32_e32 v25, 32, v11
	v_subrev_u32_e32 v11, 28, v25
	v_lshrrev_b32_e32 v24, 3, v12
	v_cmp_gt_u32_e32 vcc, 8, v12
	v_lshlrev_b64 v[11:12], v11, v[10:11]
	v_sub_u32_e32 v12, 29, v25
	v_and_b32_e32 v11, 7, v11
	v_cndmask_b32_e32 v12, v24, v12, vcc
	v_cndmask_b32_e32 v11, v13, v11, vcc
	v_lshlrev_b32_e32 v10, 24, v10
	v_lshlrev_b32_e32 v11, 20, v11
	v_and_b32_e32 v10, 0x80000000, v10
	v_lshl_add_u32 v12, v12, 23, v62
	v_or3_b32 v11, v10, v12, v11
.LBB6_9434:                             ;   in Loop: Header=BB6_6244 Depth=2
	s_or_b64 exec, exec, s[78:79]
.LBB6_9435:                             ;   in Loop: Header=BB6_6244 Depth=2
	s_or_b64 exec, exec, s[76:77]
.LBB6_9436:                             ;   in Loop: Header=BB6_6244 Depth=2
	s_or_b64 exec, exec, s[18:19]
	v_add_f32_e32 v11, v15, v11
	v_and_b32_e32 v50, 0x7f800000, v11
	v_cmp_ne_u64_e32 vcc, s[46:47], v[50:51]
                                        ; implicit-def: $vgpr10
	s_and_saveexec_b64 s[18:19], vcc
	s_xor_b64 s[76:77], exec, s[18:19]
	s_cbranch_execz .LBB6_9450
; %bb.9437:                             ;   in Loop: Header=BB6_6244 Depth=2
	v_and_b32_e32 v50, 0x7fffffff, v11
	v_cmp_gt_u64_e32 vcc, s[56:57], v[50:51]
	v_and_b32_sdwa v13, v11, s50 dst_sel:DWORD dst_unused:UNUSED_PAD src0_sel:BYTE_3 src1_sel:DWORD
                                        ; implicit-def: $vgpr10
	s_and_saveexec_b64 s[18:19], vcc
	s_xor_b64 s[78:79], exec, s[18:19]
	s_cbranch_execz .LBB6_9447
; %bb.9438:                             ;   in Loop: Header=BB6_6244 Depth=2
	v_mov_b32_e32 v10, 0
	v_cmp_ne_u32_e32 vcc, 0, v11
	s_and_saveexec_b64 s[88:89], vcc
	s_cbranch_execz .LBB6_9446
; %bb.9439:                             ;   in Loop: Header=BB6_6244 Depth=2
	v_bfe_u32 v15, v11, 23, 8
	v_and_b32_e32 v10, 0x7fffff, v11
	v_cmp_gt_u32_e64 s[18:19], s51, v15
	v_sub_u32_e32 v11, 0x79, v15
	v_cmp_eq_u32_e32 vcc, 0, v15
	v_cndmask_b32_e64 v11, 0, v11, s[18:19]
	v_mov_b32_e32 v24, 0x78
	v_or_b32_e32 v12, 0x800000, v10
	v_cndmask_b32_e32 v25, v11, v24, vcc
	v_cndmask_b32_e32 v50, v12, v10, vcc
	v_add_u32_e32 v10, 20, v25
	v_lshlrev_b64 v[10:11], v10, -1
	v_add_u32_e32 v12, 19, v25
	v_lshlrev_b64 v[28:29], v12, 1
	v_bfi_b32 v11, v11, 0, 0
	v_bfi_b32 v10, v10, 0, v50
	v_cmp_eq_u64_e64 s[18:19], v[10:11], v[28:29]
	v_lshrrev_b64 v[10:11], v25, v[50:51]
	v_mov_b32_e32 v12, v11
	v_mov_b32_e32 v11, v10
	s_and_saveexec_b64 s[90:91], s[18:19]
; %bb.9440:                             ;   in Loop: Header=BB6_6244 Depth=2
	v_bfe_u32 v11, v10, 20, 1
	v_add_co_u32_e64 v11, s[18:19], v10, v11
	v_add_co_u32_e64 v11, s[18:19], -1, v11
; %bb.9441:                             ;   in Loop: Header=BB6_6244 Depth=2
	s_or_b64 exec, exec, s[90:91]
	v_add_u32_e32 v12, 0xffffff81, v15
	v_mov_b32_e32 v15, 0xffffff82
	v_cndmask_b32_e32 v12, v12, v15, vcc
	v_lshrrev_b32_e32 v15, 23, v10
	v_add3_u32 v25, v25, v12, v15
	v_add_u32_e32 v15, 6, v25
	v_and_b32_e32 v11, 0xfffff, v11
	v_add_u32_e32 v50, v11, v10
	v_cmp_ne_u32_e32 vcc, 0, v15
                                        ; implicit-def: $vgpr10_vgpr11
                                        ; implicit-def: $vgpr12
	s_and_saveexec_b64 s[18:19], vcc
	s_xor_b64 s[18:19], exec, s[18:19]
; %bb.9442:                             ;   in Loop: Header=BB6_6244 Depth=2
	v_cmp_lt_u64_e32 vcc, s[58:59], v[50:51]
	v_add_u32_e32 v10, 7, v25
	v_cndmask_b32_e32 v12, v15, v10, vcc
	v_cndmask_b32_e64 v10, 0, 1, vcc
	v_lshrrev_b64 v[10:11], v10, v[50:51]
; %bb.9443:                             ;   in Loop: Header=BB6_6244 Depth=2
	s_andn2_saveexec_b64 s[18:19], s[18:19]
; %bb.9444:                             ;   in Loop: Header=BB6_6244 Depth=2
	v_mov_b32_e32 v10, v50
	v_bfe_u32 v12, v50, 23, 1
	v_mov_b32_e32 v11, v51
; %bb.9445:                             ;   in Loop: Header=BB6_6244 Depth=2
	s_or_b64 exec, exec, s[18:19]
	v_lshrrev_b64 v[10:11], 20, v[10:11]
	v_cmp_gt_i32_e32 vcc, 16, v12
	v_cndmask_b32_e32 v11, 0, v11, vcc
	v_cndmask_b32_e32 v10, 7, v10, vcc
	v_cmp_eq_u64_e64 s[18:19], 0, v[10:11]
	v_min_i32_e32 v11, 15, v12
	v_lshlrev_b32_e32 v11, 3, v11
	v_cmp_eq_u32_e32 vcc, 0, v12
	v_and_b32_e32 v11, 0xf8, v11
	v_and_or_b32 v10, v10, 7, v11
	s_and_b64 s[18:19], vcc, s[18:19]
	v_cndmask_b32_e64 v10, v10, 0, s[18:19]
	v_or_b32_e32 v10, v10, v13
.LBB6_9446:                             ;   in Loop: Header=BB6_6244 Depth=2
	s_or_b64 exec, exec, s[88:89]
                                        ; implicit-def: $vgpr13
.LBB6_9447:                             ;   in Loop: Header=BB6_6244 Depth=2
	s_andn2_saveexec_b64 s[18:19], s[78:79]
; %bb.9448:                             ;   in Loop: Header=BB6_6244 Depth=2
	v_or_b32_e32 v10, 0x7e, v13
; %bb.9449:                             ;   in Loop: Header=BB6_6244 Depth=2
	s_or_b64 exec, exec, s[18:19]
                                        ; implicit-def: $vgpr11
.LBB6_9450:                             ;   in Loop: Header=BB6_6244 Depth=2
	s_or_saveexec_b64 s[18:19], s[76:77]
	buffer_load_dword v24, off, s[0:3], s33 offset:304 ; 4-byte Folded Reload
	s_xor_b64 exec, exec, s[18:19]
	s_cbranch_execz .LBB6_6243
; %bb.9451:                             ;   in Loop: Header=BB6_6244 Depth=2
	v_or_b32_sdwa v10, v11, s39 dst_sel:DWORD dst_unused:UNUSED_PAD src0_sel:BYTE_3 src1_sel:DWORD
	s_branch .LBB6_6243
.LBB6_9452:                             ;   in Loop: Header=BB6_6169 Depth=1
	s_or_b64 exec, exec, s[74:75]
	buffer_load_dword v48, off, s[0:3], s33 offset:368 ; 4-byte Folded Reload
	buffer_load_dword v49, off, s[0:3], s33 offset:372 ; 4-byte Folded Reload
	;; [unrolled: 1-line block ×4, first 2 shown]
.LBB6_9453:                             ;   in Loop: Header=BB6_6169 Depth=1
	s_or_b64 exec, exec, s[20:21]
	buffer_load_dword v0, off, s[0:3], s33 offset:348 ; 4-byte Folded Reload
	s_mov_b64 s[18:19], 0
	v_mov_b32_e32 v8, 0
                                        ; implicit-def: $vgpr3
                                        ; implicit-def: $vgpr4
	s_waitcnt vmcnt(0)
	v_and_b32_e32 v2, 0x3ffff000, v0
	v_cmp_ne_u32_e32 vcc, v0, v2
	s_and_saveexec_b64 s[74:75], vcc
	s_cbranch_execz .LBB6_10267
; %bb.9454:                             ;   in Loop: Header=BB6_6169 Depth=1
	buffer_load_dword v7, off, s[0:3], s33 offset:348 ; 4-byte Folded Reload
	buffer_load_dword v3, off, s[0:3], s33 offset:384 ; 4-byte Folded Reload
	v_lshlrev_b32_e32 v0, 6, v26
	s_waitcnt vmcnt(1)
	v_and_b32_e32 v1, 0xfff, v7
	s_waitcnt vmcnt(0)
	v_sub_u32_e32 v0, v3, v0
	v_ashrrev_i32_e32 v3, 31, v0
	v_lshrrev_b32_e32 v3, 26, v3
	v_add_u32_e32 v3, v0, v3
	v_ashrrev_i32_e32 v5, 6, v3
	v_and_b32_e32 v3, 0xffffffc0, v3
	v_sub_u32_e32 v0, v0, v3
	v_lshlrev_b32_e32 v3, 4, v0
	v_lshl_add_u32 v4, v5, 10, v3
	v_sub_u32_e32 v3, v1, v4
	v_and_b32_e32 v1, 0x3ff, v7
	v_bfe_u32 v6, v7, 10, 2
	v_cmp_lt_u32_e64 s[18:19], 15, v1
	v_addc_co_u32_e64 v6, vcc, 0, v6, s[18:19]
	v_sub_u32_e32 v5, v6, v5
	v_cmp_lt_i32_e32 vcc, 15, v3
	s_and_saveexec_b64 s[76:77], vcc
	s_cbranch_execz .LBB6_10266
; %bb.9455:                             ;   in Loop: Header=BB6_6169 Depth=1
	s_trap 2
	ds_read_b64 v[6:7], v0
	v_add_u32_e32 v2, v4, v2
	v_ashrrev_i32_e32 v4, 31, v2
	v_add_co_u32_e32 v14, vcc, v2, v52
	s_waitcnt lgkmcnt(0)
	v_readfirstlane_b32 s20, v6
	s_and_b32 s21, s20, 7
	s_flbit_i32_b32 s21, s21
	s_min_u32 s21, s21, 32
	s_and_b32 s78, s20, 0x7f
	s_bfe_u32 s79, s20, 0x40003
	s_sub_i32 s88, s21, 28
	s_sub_i32 s21, 29, s21
	v_addc_co_u32_e32 v15, vcc, v4, v53, vcc
	s_cmp_lt_u32 s78, 8
	v_add_co_u32_e32 v16, vcc, v6, v2
	s_cselect_b32 s88, s88, 0
	s_cselect_b32 s21, s21, s79
	v_addc_co_u32_e32 v17, vcc, v7, v4, vcc
	v_lshlrev_b64 v[6:7], s88, v[6:7]
	s_lshl_b32 s79, s20, 24
	s_lshl_b32 s21, s21, 23
	s_and_b32 s79, s79, 0x80000000
	s_add_i32 s21, s21, 0x3c000000
	v_add_co_u32_e32 v18, vcc, v2, v48
	v_lshlrev_b32_e32 v2, 20, v6
	s_or_b32 s21, s79, s21
	v_addc_co_u32_e32 v19, vcc, v4, v49, vcc
	v_and_b32_e32 v2, 0x700000, v2
	s_cmpk_lg_i32 s78, 0x7f
	v_or_b32_e32 v2, s21, v2
	s_cselect_b64 vcc, -1, 0
	v_mov_b32_e32 v4, 0x7f800001
	v_cndmask_b32_e32 v4, v4, v2, vcc
	s_mov_b64 s[78:79], 0
	s_and_b32 s30, s20, 0xff
	s_branch .LBB6_9457
.LBB6_9456:                             ;   in Loop: Header=BB6_9457 Depth=2
	s_or_b64 exec, exec, s[20:21]
	v_lshl_or_b32 v11, v30, 8, v23
	v_lshlrev_b32_e32 v12, 16, v32
	v_lshlrev_b32_e32 v13, 24, v33
	v_or3_b32 v22, v11, v12, v13
	v_lshl_or_b32 v6, v7, 8, v6
	v_lshlrev_b32_e32 v7, 16, v24
	v_lshlrev_b32_e32 v11, 24, v28
	v_or3_b32 v21, v6, v7, v11
	;; [unrolled: 4-line block ×3, first 2 shown]
	v_lshlrev_b32_e32 v6, 24, v10
	v_lshlrev_b32_e32 v7, 16, v20
	v_lshl_or_b32 v2, v9, 8, v2
	v_or3_b32 v24, v2, v7, v6
	buffer_load_dword v2, off, s[0:3], s33 offset:344 ; 4-byte Folded Reload
	s_waitcnt vmcnt(0)
	v_add_co_u32_e32 v14, vcc, v14, v2
	v_addc_co_u32_e32 v15, vcc, 0, v15, vcc
	v_add_co_u32_e32 v16, vcc, v16, v2
	v_addc_co_u32_e32 v17, vcc, 0, v17, vcc
	global_store_dwordx4 v[18:19], v[21:24], off glc slc
	v_add_co_u32_e32 v18, vcc, v18, v2
	v_sub_u32_e32 v3, v3, v2
	buffer_load_dword v2, off, s[0:3], s33 offset:160 ; 4-byte Folded Reload
	v_addc_co_u32_e32 v19, vcc, 0, v19, vcc
	v_cmp_gt_i32_e32 vcc, 16, v3
	s_or_b64 s[78:79], vcc, s[78:79]
	s_waitcnt vmcnt(0)
	v_sub_u32_e32 v5, v5, v2
	s_andn2_b64 exec, exec, s[78:79]
	s_cbranch_execz .LBB6_10265
.LBB6_9457:                             ;   Parent Loop BB6_6169 Depth=1
                                        ; =>  This Inner Loop Header: Depth=2
	s_cmpk_lt_i32 s30, 0x80
	s_cbranch_scc1 .LBB6_9461
; %bb.9458:                             ;   in Loop: Header=BB6_9457 Depth=2
	s_and_b32 s20, 0xffff, s30
	s_cmpk_eq_i32 s20, 0x80
	s_mov_b64 s[20:21], -1
	s_cbranch_scc0 .LBB6_9460
; %bb.9459:                             ;   in Loop: Header=BB6_9457 Depth=2
	s_mov_b64 s[20:21], 0
.LBB6_9460:                             ;   in Loop: Header=BB6_9457 Depth=2
	s_brev_b32 s90, 1
	s_branch .LBB6_9463
.LBB6_9461:                             ;   in Loop: Header=BB6_9457 Depth=2
	s_mov_b64 s[20:21], 0
	s_brev_b32 s90, 1
	s_cbranch_execz .LBB6_9463
; %bb.9462:                             ;   in Loop: Header=BB6_9457 Depth=2
	s_and_b32 s20, 0xffff, s30
	s_cmp_lg_u32 s20, 0
	s_mov_b32 s90, 0
	s_cselect_b64 s[20:21], -1, 0
.LBB6_9463:                             ;   in Loop: Header=BB6_9457 Depth=2
	s_andn2_b64 vcc, exec, s[20:21]
	v_mov_b32_e32 v7, s90
	s_cbranch_vccnz .LBB6_9465
; %bb.9464:                             ;   in Loop: Header=BB6_9457 Depth=2
	v_mov_b32_e32 v7, v4
.LBB6_9465:                             ;   in Loop: Header=BB6_9457 Depth=2
	global_load_dwordx4 v[10:13], v[14:15], off glc slc
	v_mov_b32_e32 v2, 0
	s_waitcnt vmcnt(0)
	v_cmp_ne_u16_sdwa s[88:89], v10, v51 src0_sel:BYTE_0 src1_sel:DWORD
	s_and_saveexec_b64 s[20:21], s[88:89]
	s_cbranch_execz .LBB6_9471
; %bb.9466:                             ;   in Loop: Header=BB6_9457 Depth=2
	v_cmp_ne_u16_sdwa s[90:91], v10, s50 src0_sel:BYTE_0 src1_sel:DWORD
	v_bfrev_b32_e32 v2, 1
	s_and_saveexec_b64 s[88:89], s[90:91]
	s_cbranch_execz .LBB6_9470
; %bb.9467:                             ;   in Loop: Header=BB6_9457 Depth=2
	v_and_b32_e32 v6, 0x7f, v10
	v_cmp_ne_u32_e32 vcc, s39, v6
	v_mov_b32_e32 v2, 0x7f800001
	s_and_saveexec_b64 s[90:91], vcc
	s_cbranch_execz .LBB6_9469
; %bb.9468:                             ;   in Loop: Header=BB6_9457 Depth=2
	v_and_b32_e32 v2, 7, v10
	v_ffbh_u32_e32 v2, v2
	v_min_u32_e32 v2, 32, v2
	v_lshrrev_b32_e32 v8, 3, v6
	v_cmp_gt_u32_e32 vcc, 8, v6
	v_subrev_u32_e32 v6, 28, v2
	v_sub_u32_e32 v2, 29, v2
	v_cndmask_b32_e32 v6, 0, v6, vcc
	v_cndmask_b32_e32 v2, v8, v2, vcc
	v_lshlrev_b64 v[8:9], v6, v[10:11]
	v_lshl_add_u32 v2, v2, 23, v62
	v_lshlrev_b32_e32 v6, 20, v8
	v_lshlrev_b32_e32 v8, 24, v10
	v_and_b32_e32 v6, 0x700000, v6
	v_and_b32_e32 v8, 0x80000000, v8
	v_or3_b32 v2, v8, v2, v6
.LBB6_9469:                             ;   in Loop: Header=BB6_9457 Depth=2
	s_or_b64 exec, exec, s[90:91]
.LBB6_9470:                             ;   in Loop: Header=BB6_9457 Depth=2
	s_or_b64 exec, exec, s[88:89]
.LBB6_9471:                             ;   in Loop: Header=BB6_9457 Depth=2
	s_or_b64 exec, exec, s[20:21]
	v_mul_f32_e32 v8, v7, v2
	v_and_b32_e32 v50, 0x7f800000, v8
	v_cmp_ne_u64_e32 vcc, s[46:47], v[50:51]
                                        ; implicit-def: $vgpr6
	s_and_saveexec_b64 s[20:21], vcc
	s_xor_b64 s[88:89], exec, s[20:21]
	s_cbranch_execz .LBB6_9485
; %bb.9472:                             ;   in Loop: Header=BB6_9457 Depth=2
	v_and_b32_e32 v50, 0x7fffffff, v8
	v_cmp_gt_u64_e32 vcc, s[56:57], v[50:51]
	v_and_b32_sdwa v2, v8, s50 dst_sel:DWORD dst_unused:UNUSED_PAD src0_sel:BYTE_3 src1_sel:DWORD
                                        ; implicit-def: $vgpr6
	s_and_saveexec_b64 s[20:21], vcc
	s_xor_b64 s[90:91], exec, s[20:21]
	s_cbranch_execz .LBB6_9482
; %bb.9473:                             ;   in Loop: Header=BB6_9457 Depth=2
	v_mov_b32_e32 v6, 0
	v_cmp_ne_u32_e32 vcc, 0, v8
	s_and_saveexec_b64 s[92:93], vcc
	s_cbranch_execz .LBB6_9481
; %bb.9474:                             ;   in Loop: Header=BB6_9457 Depth=2
	v_bfe_u32 v6, v8, 23, 8
	v_and_b32_e32 v9, 0x7fffff, v8
	v_cmp_gt_u32_e64 s[20:21], s51, v6
	v_sub_u32_e32 v8, 0x79, v6
	v_cmp_eq_u32_e32 vcc, 0, v6
	v_cndmask_b32_e64 v8, 0, v8, s[20:21]
	v_mov_b32_e32 v21, 0x78
	v_or_b32_e32 v20, 0x800000, v9
	v_cndmask_b32_e32 v8, v8, v21, vcc
	v_cndmask_b32_e32 v50, v20, v9, vcc
	v_add_u32_e32 v9, 20, v8
	v_lshlrev_b64 v[20:21], v9, -1
	v_add_u32_e32 v9, 19, v8
	v_lshlrev_b64 v[22:23], v9, 1
	v_bfi_b32 v21, v21, 0, 0
	v_bfi_b32 v20, v20, 0, v50
	v_cmp_eq_u64_e64 s[20:21], v[20:21], v[22:23]
	v_lshrrev_b64 v[20:21], v8, v[50:51]
	v_mov_b32_e32 v22, v21
	v_mov_b32_e32 v21, v20
	s_and_saveexec_b64 s[94:95], s[20:21]
; %bb.9475:                             ;   in Loop: Header=BB6_9457 Depth=2
	v_bfe_u32 v9, v20, 20, 1
	v_add_co_u32_e64 v9, s[20:21], v20, v9
	v_add_co_u32_e64 v21, s[20:21], -1, v9
; %bb.9476:                             ;   in Loop: Header=BB6_9457 Depth=2
	s_or_b64 exec, exec, s[94:95]
	v_add_u32_e32 v6, 0xffffff81, v6
	v_mov_b32_e32 v9, 0xffffff82
	v_cndmask_b32_e32 v6, v6, v9, vcc
	v_lshrrev_b32_e32 v9, 23, v20
	v_add3_u32 v9, v8, v6, v9
	v_add_u32_e32 v8, 6, v9
	v_and_b32_e32 v6, 0xfffff, v21
	v_add_u32_e32 v50, v6, v20
	v_cmp_ne_u32_e32 vcc, 0, v8
                                        ; implicit-def: $vgpr20_vgpr21
                                        ; implicit-def: $vgpr6
	s_and_saveexec_b64 s[20:21], vcc
	s_xor_b64 s[20:21], exec, s[20:21]
; %bb.9477:                             ;   in Loop: Header=BB6_9457 Depth=2
	v_cmp_lt_u64_e32 vcc, s[58:59], v[50:51]
	v_add_u32_e32 v6, 7, v9
	v_cndmask_b32_e32 v6, v8, v6, vcc
	v_cndmask_b32_e64 v8, 0, 1, vcc
	v_lshrrev_b64 v[20:21], v8, v[50:51]
; %bb.9478:                             ;   in Loop: Header=BB6_9457 Depth=2
	s_andn2_saveexec_b64 s[20:21], s[20:21]
; %bb.9479:                             ;   in Loop: Header=BB6_9457 Depth=2
	v_mov_b32_e32 v20, v50
	v_bfe_u32 v6, v50, 23, 1
	v_mov_b32_e32 v21, v51
; %bb.9480:                             ;   in Loop: Header=BB6_9457 Depth=2
	s_or_b64 exec, exec, s[20:21]
	v_lshrrev_b64 v[8:9], 20, v[20:21]
	v_cmp_gt_i32_e32 vcc, 16, v6
	v_cndmask_b32_e32 v9, 0, v9, vcc
	v_cndmask_b32_e32 v8, 7, v8, vcc
	v_cmp_eq_u32_e32 vcc, 0, v6
	v_min_i32_e32 v6, 15, v6
	v_cmp_eq_u64_e64 s[20:21], 0, v[8:9]
	v_lshlrev_b32_e32 v6, 3, v6
	v_and_b32_e32 v6, 0xf8, v6
	v_and_or_b32 v6, v8, 7, v6
	s_and_b64 s[20:21], vcc, s[20:21]
	v_cndmask_b32_e64 v6, v6, 0, s[20:21]
	v_or_b32_e32 v6, v6, v2
.LBB6_9481:                             ;   in Loop: Header=BB6_9457 Depth=2
	s_or_b64 exec, exec, s[92:93]
                                        ; implicit-def: $vgpr2
.LBB6_9482:                             ;   in Loop: Header=BB6_9457 Depth=2
	s_andn2_saveexec_b64 s[20:21], s[90:91]
; %bb.9483:                             ;   in Loop: Header=BB6_9457 Depth=2
	v_or_b32_e32 v6, 0x7e, v2
; %bb.9484:                             ;   in Loop: Header=BB6_9457 Depth=2
	s_or_b64 exec, exec, s[20:21]
                                        ; implicit-def: $vgpr8
.LBB6_9485:                             ;   in Loop: Header=BB6_9457 Depth=2
	s_andn2_saveexec_b64 s[20:21], s[88:89]
; %bb.9486:                             ;   in Loop: Header=BB6_9457 Depth=2
	v_or_b32_sdwa v6, v8, s39 dst_sel:DWORD dst_unused:UNUSED_PAD src0_sel:BYTE_3 src1_sel:DWORD
; %bb.9487:                             ;   in Loop: Header=BB6_9457 Depth=2
	s_or_b64 exec, exec, s[20:21]
	v_lshrrev_b16_e32 v20, 8, v10
	v_cmp_ne_u16_e32 vcc, 0, v20
	v_mov_b32_e32 v2, 0
	s_and_saveexec_b64 s[20:21], vcc
	s_cbranch_execz .LBB6_9493
; %bb.9488:                             ;   in Loop: Header=BB6_9457 Depth=2
	v_cmp_ne_u16_e32 vcc, s50, v20
	v_bfrev_b32_e32 v2, 1
	s_and_saveexec_b64 s[88:89], vcc
	s_cbranch_execz .LBB6_9492
; %bb.9489:                             ;   in Loop: Header=BB6_9457 Depth=2
	v_and_b32_e32 v8, 0x7f, v20
	v_cmp_ne_u32_e32 vcc, s39, v8
	v_mov_b32_e32 v2, 0x7f800001
	s_and_saveexec_b64 s[90:91], vcc
	s_cbranch_execz .LBB6_9491
; %bb.9490:                             ;   in Loop: Header=BB6_9457 Depth=2
	v_and_b32_e32 v2, 7, v20
	v_lshrrev_b32_e32 v21, 3, v8
	v_cmp_gt_u32_e32 vcc, 8, v8
	v_ffbh_u32_e32 v8, v2
	v_min_u32_e32 v22, 32, v8
	v_subrev_u32_e32 v8, 28, v22
	v_lshlrev_b64 v[8:9], v8, v[20:21]
	v_sub_u32_e32 v9, 29, v22
	v_and_b32_e32 v8, 7, v8
	v_cndmask_b32_e32 v9, v21, v9, vcc
	v_cndmask_b32_e32 v2, v2, v8, vcc
	v_lshlrev_b32_e32 v8, 16, v10
	v_lshlrev_b32_e32 v2, 20, v2
	v_and_b32_e32 v8, 0x80000000, v8
	v_lshl_add_u32 v9, v9, 23, v62
	v_or3_b32 v2, v8, v9, v2
.LBB6_9491:                             ;   in Loop: Header=BB6_9457 Depth=2
	s_or_b64 exec, exec, s[90:91]
.LBB6_9492:                             ;   in Loop: Header=BB6_9457 Depth=2
	s_or_b64 exec, exec, s[88:89]
.LBB6_9493:                             ;   in Loop: Header=BB6_9457 Depth=2
	s_or_b64 exec, exec, s[20:21]
	v_mul_f32_e32 v8, v7, v2
	v_and_b32_e32 v50, 0x7f800000, v8
	v_cmp_ne_u64_e32 vcc, s[46:47], v[50:51]
                                        ; implicit-def: $vgpr24
	s_and_saveexec_b64 s[20:21], vcc
	s_xor_b64 s[88:89], exec, s[20:21]
	s_cbranch_execz .LBB6_9507
; %bb.9494:                             ;   in Loop: Header=BB6_9457 Depth=2
	v_and_b32_e32 v50, 0x7fffffff, v8
	v_cmp_gt_u64_e32 vcc, s[56:57], v[50:51]
	v_and_b32_sdwa v2, v8, s50 dst_sel:DWORD dst_unused:UNUSED_PAD src0_sel:BYTE_3 src1_sel:DWORD
                                        ; implicit-def: $vgpr24
	s_and_saveexec_b64 s[20:21], vcc
	s_xor_b64 s[90:91], exec, s[20:21]
	s_cbranch_execz .LBB6_9504
; %bb.9495:                             ;   in Loop: Header=BB6_9457 Depth=2
	v_mov_b32_e32 v24, 0
	v_cmp_ne_u32_e32 vcc, 0, v8
	s_and_saveexec_b64 s[92:93], vcc
	s_cbranch_execz .LBB6_9503
; %bb.9496:                             ;   in Loop: Header=BB6_9457 Depth=2
	v_and_b32_e32 v20, 0x7fffff, v8
	v_bfe_u32 v8, v8, 23, 8
	v_cmp_gt_u32_e64 s[20:21], s51, v8
	v_sub_u32_e32 v9, 0x79, v8
	v_cmp_eq_u32_e32 vcc, 0, v8
	v_cndmask_b32_e64 v9, 0, v9, s[20:21]
	v_mov_b32_e32 v22, 0x78
	v_or_b32_e32 v21, 0x800000, v20
	v_cndmask_b32_e32 v9, v9, v22, vcc
	v_cndmask_b32_e32 v50, v21, v20, vcc
	v_add_u32_e32 v20, 20, v9
	v_lshlrev_b64 v[20:21], v20, -1
	v_add_u32_e32 v22, 19, v9
	v_lshlrev_b64 v[22:23], v22, 1
	v_bfi_b32 v21, v21, 0, 0
	v_bfi_b32 v20, v20, 0, v50
	v_cmp_eq_u64_e64 s[20:21], v[20:21], v[22:23]
	v_lshrrev_b64 v[20:21], v9, v[50:51]
	v_mov_b32_e32 v22, v21
	v_mov_b32_e32 v21, v20
	s_and_saveexec_b64 s[94:95], s[20:21]
; %bb.9497:                             ;   in Loop: Header=BB6_9457 Depth=2
	v_bfe_u32 v21, v20, 20, 1
	v_add_co_u32_e64 v21, s[20:21], v20, v21
	v_add_co_u32_e64 v21, s[20:21], -1, v21
; %bb.9498:                             ;   in Loop: Header=BB6_9457 Depth=2
	s_or_b64 exec, exec, s[94:95]
	v_add_u32_e32 v8, 0xffffff81, v8
	v_mov_b32_e32 v22, 0xffffff82
	v_cndmask_b32_e32 v8, v8, v22, vcc
	v_lshrrev_b32_e32 v22, 23, v20
	v_add3_u32 v22, v9, v8, v22
	v_add_u32_e32 v9, 6, v22
	v_and_b32_e32 v8, 0xfffff, v21
	v_add_u32_e32 v50, v8, v20
	v_cmp_ne_u32_e32 vcc, 0, v9
                                        ; implicit-def: $vgpr20_vgpr21
                                        ; implicit-def: $vgpr8
	s_and_saveexec_b64 s[20:21], vcc
	s_xor_b64 s[20:21], exec, s[20:21]
; %bb.9499:                             ;   in Loop: Header=BB6_9457 Depth=2
	v_cmp_lt_u64_e32 vcc, s[58:59], v[50:51]
	v_add_u32_e32 v8, 7, v22
	v_cndmask_b32_e32 v8, v9, v8, vcc
	v_cndmask_b32_e64 v9, 0, 1, vcc
	v_lshrrev_b64 v[20:21], v9, v[50:51]
; %bb.9500:                             ;   in Loop: Header=BB6_9457 Depth=2
	s_andn2_saveexec_b64 s[20:21], s[20:21]
; %bb.9501:                             ;   in Loop: Header=BB6_9457 Depth=2
	v_mov_b32_e32 v20, v50
	v_bfe_u32 v8, v50, 23, 1
	v_mov_b32_e32 v21, v51
; %bb.9502:                             ;   in Loop: Header=BB6_9457 Depth=2
	s_or_b64 exec, exec, s[20:21]
	v_lshrrev_b64 v[20:21], 20, v[20:21]
	v_cmp_gt_i32_e32 vcc, 16, v8
	v_cndmask_b32_e32 v21, 0, v21, vcc
	v_cndmask_b32_e32 v20, 7, v20, vcc
	v_cmp_eq_u32_e32 vcc, 0, v8
	v_min_i32_e32 v8, 15, v8
	v_cmp_eq_u64_e64 s[20:21], 0, v[20:21]
	v_lshlrev_b32_e32 v8, 3, v8
	v_and_b32_e32 v8, 0xf8, v8
	v_and_or_b32 v8, v20, 7, v8
	s_and_b64 s[20:21], vcc, s[20:21]
	v_cndmask_b32_e64 v8, v8, 0, s[20:21]
	v_or_b32_e32 v24, v8, v2
.LBB6_9503:                             ;   in Loop: Header=BB6_9457 Depth=2
	s_or_b64 exec, exec, s[92:93]
                                        ; implicit-def: $vgpr2
.LBB6_9504:                             ;   in Loop: Header=BB6_9457 Depth=2
	s_andn2_saveexec_b64 s[20:21], s[90:91]
; %bb.9505:                             ;   in Loop: Header=BB6_9457 Depth=2
	v_or_b32_e32 v24, 0x7e, v2
; %bb.9506:                             ;   in Loop: Header=BB6_9457 Depth=2
	s_or_b64 exec, exec, s[20:21]
                                        ; implicit-def: $vgpr8
.LBB6_9507:                             ;   in Loop: Header=BB6_9457 Depth=2
	s_andn2_saveexec_b64 s[20:21], s[88:89]
; %bb.9508:                             ;   in Loop: Header=BB6_9457 Depth=2
	v_or_b32_sdwa v24, v8, s39 dst_sel:DWORD dst_unused:UNUSED_PAD src0_sel:BYTE_3 src1_sel:DWORD
; %bb.9509:                             ;   in Loop: Header=BB6_9457 Depth=2
	s_or_b64 exec, exec, s[20:21]
	v_lshrrev_b32_e32 v20, 16, v10
	v_cmp_ne_u16_sdwa s[88:89], v20, v51 src0_sel:BYTE_0 src1_sel:DWORD
	v_mov_b32_e32 v2, 0
	s_and_saveexec_b64 s[20:21], s[88:89]
	s_cbranch_execz .LBB6_9515
; %bb.9510:                             ;   in Loop: Header=BB6_9457 Depth=2
	v_cmp_ne_u16_sdwa s[90:91], v20, s50 src0_sel:BYTE_0 src1_sel:DWORD
	v_bfrev_b32_e32 v2, 1
	s_and_saveexec_b64 s[88:89], s[90:91]
	s_cbranch_execz .LBB6_9514
; %bb.9511:                             ;   in Loop: Header=BB6_9457 Depth=2
	v_bfe_u32 v8, v10, 16, 7
	v_cmp_ne_u32_e32 vcc, s39, v8
	v_mov_b32_e32 v2, 0x7f800001
	s_and_saveexec_b64 s[90:91], vcc
	s_cbranch_execz .LBB6_9513
; %bb.9512:                             ;   in Loop: Header=BB6_9457 Depth=2
	v_and_b32_e32 v2, 7, v20
	v_lshrrev_b32_e32 v21, 3, v8
	v_cmp_gt_u32_e32 vcc, 8, v8
	v_ffbh_u32_e32 v8, v2
	v_min_u32_e32 v22, 32, v8
	v_subrev_u32_e32 v8, 28, v22
	v_lshlrev_b64 v[8:9], v8, v[20:21]
	v_sub_u32_e32 v9, 29, v22
	v_and_b32_e32 v8, 7, v8
	v_cndmask_b32_e32 v9, v21, v9, vcc
	v_cndmask_b32_e32 v2, v2, v8, vcc
	v_lshlrev_b32_e32 v8, 24, v20
	v_lshlrev_b32_e32 v2, 20, v2
	v_and_b32_e32 v8, 0x80000000, v8
	v_lshl_add_u32 v9, v9, 23, v62
	v_or3_b32 v2, v8, v9, v2
.LBB6_9513:                             ;   in Loop: Header=BB6_9457 Depth=2
	s_or_b64 exec, exec, s[90:91]
.LBB6_9514:                             ;   in Loop: Header=BB6_9457 Depth=2
	s_or_b64 exec, exec, s[88:89]
.LBB6_9515:                             ;   in Loop: Header=BB6_9457 Depth=2
	s_or_b64 exec, exec, s[20:21]
	v_mul_f32_e32 v8, v7, v2
	v_and_b32_e32 v50, 0x7f800000, v8
	v_cmp_ne_u64_e32 vcc, s[46:47], v[50:51]
                                        ; implicit-def: $vgpr28
	s_and_saveexec_b64 s[20:21], vcc
	s_xor_b64 s[88:89], exec, s[20:21]
	s_cbranch_execz .LBB6_9529
; %bb.9516:                             ;   in Loop: Header=BB6_9457 Depth=2
	v_and_b32_e32 v50, 0x7fffffff, v8
	v_cmp_gt_u64_e32 vcc, s[56:57], v[50:51]
	v_and_b32_sdwa v2, v8, s50 dst_sel:DWORD dst_unused:UNUSED_PAD src0_sel:BYTE_3 src1_sel:DWORD
                                        ; implicit-def: $vgpr28
	s_and_saveexec_b64 s[20:21], vcc
	s_xor_b64 s[90:91], exec, s[20:21]
	s_cbranch_execz .LBB6_9526
; %bb.9517:                             ;   in Loop: Header=BB6_9457 Depth=2
	v_mov_b32_e32 v28, 0
	v_cmp_ne_u32_e32 vcc, 0, v8
	s_and_saveexec_b64 s[92:93], vcc
	s_cbranch_execz .LBB6_9525
; %bb.9518:                             ;   in Loop: Header=BB6_9457 Depth=2
	v_and_b32_e32 v20, 0x7fffff, v8
	v_bfe_u32 v8, v8, 23, 8
	v_cmp_gt_u32_e64 s[20:21], s51, v8
	v_sub_u32_e32 v9, 0x79, v8
	v_cmp_eq_u32_e32 vcc, 0, v8
	v_cndmask_b32_e64 v9, 0, v9, s[20:21]
	v_mov_b32_e32 v22, 0x78
	v_or_b32_e32 v21, 0x800000, v20
	v_cndmask_b32_e32 v9, v9, v22, vcc
	v_cndmask_b32_e32 v50, v21, v20, vcc
	v_add_u32_e32 v20, 20, v9
	v_lshlrev_b64 v[20:21], v20, -1
	v_add_u32_e32 v22, 19, v9
	v_lshlrev_b64 v[22:23], v22, 1
	v_bfi_b32 v21, v21, 0, 0
	v_bfi_b32 v20, v20, 0, v50
	v_cmp_eq_u64_e64 s[20:21], v[20:21], v[22:23]
	v_lshrrev_b64 v[20:21], v9, v[50:51]
	v_mov_b32_e32 v22, v21
	v_mov_b32_e32 v21, v20
	s_and_saveexec_b64 s[94:95], s[20:21]
; %bb.9519:                             ;   in Loop: Header=BB6_9457 Depth=2
	v_bfe_u32 v21, v20, 20, 1
	v_add_co_u32_e64 v21, s[20:21], v20, v21
	v_add_co_u32_e64 v21, s[20:21], -1, v21
; %bb.9520:                             ;   in Loop: Header=BB6_9457 Depth=2
	s_or_b64 exec, exec, s[94:95]
	v_add_u32_e32 v8, 0xffffff81, v8
	v_mov_b32_e32 v22, 0xffffff82
	v_cndmask_b32_e32 v8, v8, v22, vcc
	v_lshrrev_b32_e32 v22, 23, v20
	v_add3_u32 v22, v9, v8, v22
	v_add_u32_e32 v9, 6, v22
	v_and_b32_e32 v8, 0xfffff, v21
	v_add_u32_e32 v50, v8, v20
	v_cmp_ne_u32_e32 vcc, 0, v9
                                        ; implicit-def: $vgpr20_vgpr21
                                        ; implicit-def: $vgpr8
	s_and_saveexec_b64 s[20:21], vcc
	s_xor_b64 s[20:21], exec, s[20:21]
; %bb.9521:                             ;   in Loop: Header=BB6_9457 Depth=2
	v_cmp_lt_u64_e32 vcc, s[58:59], v[50:51]
	v_add_u32_e32 v8, 7, v22
	v_cndmask_b32_e32 v8, v9, v8, vcc
	v_cndmask_b32_e64 v9, 0, 1, vcc
	v_lshrrev_b64 v[20:21], v9, v[50:51]
; %bb.9522:                             ;   in Loop: Header=BB6_9457 Depth=2
	s_andn2_saveexec_b64 s[20:21], s[20:21]
; %bb.9523:                             ;   in Loop: Header=BB6_9457 Depth=2
	v_mov_b32_e32 v20, v50
	v_bfe_u32 v8, v50, 23, 1
	v_mov_b32_e32 v21, v51
; %bb.9524:                             ;   in Loop: Header=BB6_9457 Depth=2
	s_or_b64 exec, exec, s[20:21]
	v_lshrrev_b64 v[20:21], 20, v[20:21]
	v_cmp_gt_i32_e32 vcc, 16, v8
	v_cndmask_b32_e32 v21, 0, v21, vcc
	v_cndmask_b32_e32 v20, 7, v20, vcc
	v_cmp_eq_u32_e32 vcc, 0, v8
	v_min_i32_e32 v8, 15, v8
	v_cmp_eq_u64_e64 s[20:21], 0, v[20:21]
	v_lshlrev_b32_e32 v8, 3, v8
	v_and_b32_e32 v8, 0xf8, v8
	v_and_or_b32 v8, v20, 7, v8
	s_and_b64 s[20:21], vcc, s[20:21]
	v_cndmask_b32_e64 v8, v8, 0, s[20:21]
	v_or_b32_e32 v28, v8, v2
.LBB6_9525:                             ;   in Loop: Header=BB6_9457 Depth=2
	s_or_b64 exec, exec, s[92:93]
                                        ; implicit-def: $vgpr2
.LBB6_9526:                             ;   in Loop: Header=BB6_9457 Depth=2
	s_andn2_saveexec_b64 s[20:21], s[90:91]
; %bb.9527:                             ;   in Loop: Header=BB6_9457 Depth=2
	v_or_b32_e32 v28, 0x7e, v2
; %bb.9528:                             ;   in Loop: Header=BB6_9457 Depth=2
	s_or_b64 exec, exec, s[20:21]
                                        ; implicit-def: $vgpr8
.LBB6_9529:                             ;   in Loop: Header=BB6_9457 Depth=2
	s_andn2_saveexec_b64 s[20:21], s[88:89]
; %bb.9530:                             ;   in Loop: Header=BB6_9457 Depth=2
	v_or_b32_sdwa v28, v8, s39 dst_sel:DWORD dst_unused:UNUSED_PAD src0_sel:BYTE_3 src1_sel:DWORD
; %bb.9531:                             ;   in Loop: Header=BB6_9457 Depth=2
	s_or_b64 exec, exec, s[20:21]
	v_cmp_lt_u32_e32 vcc, s61, v10
	v_mov_b32_e32 v2, 0
	s_and_saveexec_b64 s[20:21], vcc
	s_cbranch_execz .LBB6_9537
; %bb.9532:                             ;   in Loop: Header=BB6_9457 Depth=2
	v_lshrrev_b32_e32 v20, 24, v10
	v_cmp_ne_u32_e32 vcc, s50, v20
	v_bfrev_b32_e32 v2, 1
	s_and_saveexec_b64 s[88:89], vcc
	s_cbranch_execz .LBB6_9536
; %bb.9533:                             ;   in Loop: Header=BB6_9457 Depth=2
	v_bfe_u32 v8, v10, 24, 7
	v_cmp_ne_u32_e32 vcc, s39, v8
	v_mov_b32_e32 v2, 0x7f800001
	s_and_saveexec_b64 s[90:91], vcc
	s_cbranch_execz .LBB6_9535
; %bb.9534:                             ;   in Loop: Header=BB6_9457 Depth=2
	v_and_b32_e32 v2, 7, v20
	v_lshrrev_b32_e32 v21, 3, v8
	v_cmp_gt_u32_e32 vcc, 8, v8
	v_ffbh_u32_e32 v8, v2
	v_min_u32_e32 v22, 32, v8
	v_subrev_u32_e32 v8, 28, v22
	v_lshlrev_b64 v[8:9], v8, v[20:21]
	v_sub_u32_e32 v9, 29, v22
	v_and_b32_e32 v8, 7, v8
	v_cndmask_b32_e32 v9, v21, v9, vcc
	v_cndmask_b32_e32 v2, v2, v8, vcc
	v_lshlrev_b32_e32 v8, 24, v20
	v_lshlrev_b32_e32 v2, 20, v2
	v_and_b32_e32 v8, 0x80000000, v8
	v_lshl_add_u32 v9, v9, 23, v62
	v_or3_b32 v2, v8, v9, v2
.LBB6_9535:                             ;   in Loop: Header=BB6_9457 Depth=2
	s_or_b64 exec, exec, s[90:91]
.LBB6_9536:                             ;   in Loop: Header=BB6_9457 Depth=2
	s_or_b64 exec, exec, s[88:89]
.LBB6_9537:                             ;   in Loop: Header=BB6_9457 Depth=2
	s_or_b64 exec, exec, s[20:21]
	v_mul_f32_e32 v8, v7, v2
	v_and_b32_e32 v50, 0x7f800000, v8
	v_cmp_ne_u64_e32 vcc, s[46:47], v[50:51]
                                        ; implicit-def: $vgpr34
	s_and_saveexec_b64 s[20:21], vcc
	s_xor_b64 s[88:89], exec, s[20:21]
	s_cbranch_execz .LBB6_9551
; %bb.9538:                             ;   in Loop: Header=BB6_9457 Depth=2
	v_and_b32_e32 v50, 0x7fffffff, v8
	v_cmp_gt_u64_e32 vcc, s[56:57], v[50:51]
	v_and_b32_sdwa v2, v8, s50 dst_sel:DWORD dst_unused:UNUSED_PAD src0_sel:BYTE_3 src1_sel:DWORD
                                        ; implicit-def: $vgpr34
	s_and_saveexec_b64 s[20:21], vcc
	s_xor_b64 s[90:91], exec, s[20:21]
	s_cbranch_execz .LBB6_9548
; %bb.9539:                             ;   in Loop: Header=BB6_9457 Depth=2
	v_mov_b32_e32 v34, 0
	v_cmp_ne_u32_e32 vcc, 0, v8
	s_and_saveexec_b64 s[92:93], vcc
	s_cbranch_execz .LBB6_9547
; %bb.9540:                             ;   in Loop: Header=BB6_9457 Depth=2
	v_and_b32_e32 v20, 0x7fffff, v8
	v_bfe_u32 v8, v8, 23, 8
	v_cmp_gt_u32_e64 s[20:21], s51, v8
	v_sub_u32_e32 v9, 0x79, v8
	v_cmp_eq_u32_e32 vcc, 0, v8
	v_cndmask_b32_e64 v9, 0, v9, s[20:21]
	v_mov_b32_e32 v22, 0x78
	v_or_b32_e32 v21, 0x800000, v20
	v_cndmask_b32_e32 v9, v9, v22, vcc
	v_cndmask_b32_e32 v50, v21, v20, vcc
	v_add_u32_e32 v20, 20, v9
	v_lshlrev_b64 v[20:21], v20, -1
	v_add_u32_e32 v22, 19, v9
	v_lshlrev_b64 v[22:23], v22, 1
	v_bfi_b32 v21, v21, 0, 0
	v_bfi_b32 v20, v20, 0, v50
	v_cmp_eq_u64_e64 s[20:21], v[20:21], v[22:23]
	v_lshrrev_b64 v[20:21], v9, v[50:51]
	v_mov_b32_e32 v22, v21
	v_mov_b32_e32 v21, v20
	s_and_saveexec_b64 s[94:95], s[20:21]
; %bb.9541:                             ;   in Loop: Header=BB6_9457 Depth=2
	v_bfe_u32 v21, v20, 20, 1
	v_add_co_u32_e64 v21, s[20:21], v20, v21
	v_add_co_u32_e64 v21, s[20:21], -1, v21
; %bb.9542:                             ;   in Loop: Header=BB6_9457 Depth=2
	s_or_b64 exec, exec, s[94:95]
	v_add_u32_e32 v8, 0xffffff81, v8
	v_mov_b32_e32 v22, 0xffffff82
	v_cndmask_b32_e32 v8, v8, v22, vcc
	v_lshrrev_b32_e32 v22, 23, v20
	v_add3_u32 v22, v9, v8, v22
	v_add_u32_e32 v9, 6, v22
	v_and_b32_e32 v8, 0xfffff, v21
	v_add_u32_e32 v50, v8, v20
	v_cmp_ne_u32_e32 vcc, 0, v9
                                        ; implicit-def: $vgpr20_vgpr21
                                        ; implicit-def: $vgpr8
	s_and_saveexec_b64 s[20:21], vcc
	s_xor_b64 s[20:21], exec, s[20:21]
; %bb.9543:                             ;   in Loop: Header=BB6_9457 Depth=2
	v_cmp_lt_u64_e32 vcc, s[58:59], v[50:51]
	v_add_u32_e32 v8, 7, v22
	v_cndmask_b32_e32 v8, v9, v8, vcc
	v_cndmask_b32_e64 v9, 0, 1, vcc
	v_lshrrev_b64 v[20:21], v9, v[50:51]
; %bb.9544:                             ;   in Loop: Header=BB6_9457 Depth=2
	s_andn2_saveexec_b64 s[20:21], s[20:21]
; %bb.9545:                             ;   in Loop: Header=BB6_9457 Depth=2
	v_mov_b32_e32 v20, v50
	v_bfe_u32 v8, v50, 23, 1
	v_mov_b32_e32 v21, v51
; %bb.9546:                             ;   in Loop: Header=BB6_9457 Depth=2
	s_or_b64 exec, exec, s[20:21]
	v_lshrrev_b64 v[20:21], 20, v[20:21]
	v_cmp_gt_i32_e32 vcc, 16, v8
	v_cndmask_b32_e32 v21, 0, v21, vcc
	v_cndmask_b32_e32 v20, 7, v20, vcc
	v_cmp_eq_u32_e32 vcc, 0, v8
	v_min_i32_e32 v8, 15, v8
	v_cmp_eq_u64_e64 s[20:21], 0, v[20:21]
	v_lshlrev_b32_e32 v8, 3, v8
	v_and_b32_e32 v8, 0xf8, v8
	v_and_or_b32 v8, v20, 7, v8
	s_and_b64 s[20:21], vcc, s[20:21]
	v_cndmask_b32_e64 v8, v8, 0, s[20:21]
	v_or_b32_e32 v34, v8, v2
.LBB6_9547:                             ;   in Loop: Header=BB6_9457 Depth=2
	s_or_b64 exec, exec, s[92:93]
                                        ; implicit-def: $vgpr2
.LBB6_9548:                             ;   in Loop: Header=BB6_9457 Depth=2
	s_andn2_saveexec_b64 s[20:21], s[90:91]
; %bb.9549:                             ;   in Loop: Header=BB6_9457 Depth=2
	v_or_b32_e32 v34, 0x7e, v2
; %bb.9550:                             ;   in Loop: Header=BB6_9457 Depth=2
	s_or_b64 exec, exec, s[20:21]
                                        ; implicit-def: $vgpr8
.LBB6_9551:                             ;   in Loop: Header=BB6_9457 Depth=2
	s_andn2_saveexec_b64 s[20:21], s[88:89]
; %bb.9552:                             ;   in Loop: Header=BB6_9457 Depth=2
	v_or_b32_sdwa v34, v8, s39 dst_sel:DWORD dst_unused:UNUSED_PAD src0_sel:BYTE_3 src1_sel:DWORD
; %bb.9553:                             ;   in Loop: Header=BB6_9457 Depth=2
	s_or_b64 exec, exec, s[20:21]
	v_mov_b32_e32 v50, v11
	v_cmp_ne_u16_sdwa s[88:89], v11, v51 src0_sel:BYTE_0 src1_sel:DWORD
	v_mov_b32_e32 v2, 0
	s_and_saveexec_b64 s[20:21], s[88:89]
	s_cbranch_execz .LBB6_9559
; %bb.9554:                             ;   in Loop: Header=BB6_9457 Depth=2
	v_cmp_ne_u16_sdwa s[90:91], v11, s50 src0_sel:BYTE_0 src1_sel:DWORD
	v_bfrev_b32_e32 v2, 1
	s_and_saveexec_b64 s[88:89], s[90:91]
	s_cbranch_execz .LBB6_9558
; %bb.9555:                             ;   in Loop: Header=BB6_9457 Depth=2
	v_and_b32_e32 v8, 0x7f, v11
	v_cmp_ne_u32_e32 vcc, s39, v8
	v_mov_b32_e32 v2, 0x7f800001
	s_and_saveexec_b64 s[90:91], vcc
	s_cbranch_execz .LBB6_9557
; %bb.9556:                             ;   in Loop: Header=BB6_9457 Depth=2
	v_and_b32_e32 v2, 7, v11
	v_ffbh_u32_e32 v2, v2
	v_min_u32_e32 v2, 32, v2
	v_lshrrev_b32_e32 v9, 3, v8
	v_cmp_gt_u32_e32 vcc, 8, v8
	v_subrev_u32_e32 v8, 28, v2
	v_sub_u32_e32 v2, 29, v2
	v_cndmask_b32_e32 v8, 0, v8, vcc
	v_cndmask_b32_e32 v2, v9, v2, vcc
	v_lshlrev_b64 v[8:9], v8, v[50:51]
	v_lshlrev_b32_e32 v9, 24, v50
	v_lshlrev_b32_e32 v8, 20, v8
	v_and_b32_e32 v8, 0x700000, v8
	v_and_b32_e32 v9, 0x80000000, v9
	v_lshl_add_u32 v2, v2, 23, v62
	v_or3_b32 v2, v9, v2, v8
.LBB6_9557:                             ;   in Loop: Header=BB6_9457 Depth=2
	s_or_b64 exec, exec, s[90:91]
.LBB6_9558:                             ;   in Loop: Header=BB6_9457 Depth=2
	s_or_b64 exec, exec, s[88:89]
.LBB6_9559:                             ;   in Loop: Header=BB6_9457 Depth=2
	s_or_b64 exec, exec, s[20:21]
	v_mul_f32_e32 v8, v7, v2
	v_and_b32_e32 v20, 0x7f800000, v8
	v_mov_b32_e32 v21, v51
	v_cmp_ne_u64_e32 vcc, s[46:47], v[20:21]
                                        ; implicit-def: $vgpr23
	s_and_saveexec_b64 s[20:21], vcc
	s_xor_b64 s[88:89], exec, s[20:21]
	s_cbranch_execz .LBB6_9573
; %bb.9560:                             ;   in Loop: Header=BB6_9457 Depth=2
	v_and_b32_e32 v20, 0x7fffffff, v8
	v_mov_b32_e32 v21, v51
	v_cmp_gt_u64_e32 vcc, s[56:57], v[20:21]
	v_and_b32_sdwa v2, v8, s50 dst_sel:DWORD dst_unused:UNUSED_PAD src0_sel:BYTE_3 src1_sel:DWORD
                                        ; implicit-def: $vgpr23
	s_and_saveexec_b64 s[20:21], vcc
	s_xor_b64 s[90:91], exec, s[20:21]
	s_cbranch_execz .LBB6_9570
; %bb.9561:                             ;   in Loop: Header=BB6_9457 Depth=2
	v_mov_b32_e32 v23, 0
	v_cmp_ne_u32_e32 vcc, 0, v8
	s_and_saveexec_b64 s[92:93], vcc
	s_cbranch_execz .LBB6_9569
; %bb.9562:                             ;   in Loop: Header=BB6_9457 Depth=2
	v_and_b32_e32 v20, 0x7fffff, v8
	v_bfe_u32 v8, v8, 23, 8
	v_cmp_gt_u32_e64 s[20:21], s51, v8
	v_sub_u32_e32 v9, 0x79, v8
	v_cmp_eq_u32_e32 vcc, 0, v8
	v_cndmask_b32_e64 v9, 0, v9, s[20:21]
	v_mov_b32_e32 v22, 0x78
	v_cndmask_b32_e32 v9, v9, v22, vcc
	v_add_u32_e32 v22, 20, v9
	v_or_b32_e32 v21, 0x800000, v20
	v_lshlrev_b64 v[22:23], v22, -1
	v_cndmask_b32_e32 v20, v21, v20, vcc
	v_mov_b32_e32 v21, v51
	v_add_u32_e32 v25, 19, v9
	v_bfi_b32 v22, v22, 0, v20
	v_lshlrev_b64 v[25:26], v25, 1
	v_lshrrev_b64 v[20:21], v9, v[20:21]
	v_bfi_b32 v23, v23, 0, 0
	v_cmp_eq_u64_e64 s[20:21], v[22:23], v[25:26]
	v_mov_b32_e32 v22, v21
	v_mov_b32_e32 v21, v20
	s_and_saveexec_b64 s[94:95], s[20:21]
; %bb.9563:                             ;   in Loop: Header=BB6_9457 Depth=2
	v_bfe_u32 v21, v20, 20, 1
	v_add_co_u32_e64 v21, s[20:21], v20, v21
	v_add_co_u32_e64 v21, s[20:21], -1, v21
; %bb.9564:                             ;   in Loop: Header=BB6_9457 Depth=2
	s_or_b64 exec, exec, s[94:95]
	v_add_u32_e32 v8, 0xffffff81, v8
	v_mov_b32_e32 v22, 0xffffff82
	v_cndmask_b32_e32 v8, v8, v22, vcc
	v_lshrrev_b32_e32 v22, 23, v20
	v_add3_u32 v22, v9, v8, v22
	v_add_u32_e32 v9, 6, v22
	v_and_b32_e32 v8, 0xfffff, v21
	v_add_u32_e32 v20, v8, v20
	v_mov_b32_e32 v21, v51
	v_cmp_ne_u32_e32 vcc, 0, v9
                                        ; implicit-def: $vgpr8
	s_and_saveexec_b64 s[20:21], vcc
	s_xor_b64 s[20:21], exec, s[20:21]
; %bb.9565:                             ;   in Loop: Header=BB6_9457 Depth=2
	v_cmp_lt_u64_e32 vcc, s[58:59], v[20:21]
	v_add_u32_e32 v8, 7, v22
	v_cndmask_b32_e32 v8, v9, v8, vcc
	v_cndmask_b32_e64 v9, 0, 1, vcc
	v_lshrrev_b64 v[20:21], v9, v[20:21]
; %bb.9566:                             ;   in Loop: Header=BB6_9457 Depth=2
	s_andn2_saveexec_b64 s[20:21], s[20:21]
; %bb.9567:                             ;   in Loop: Header=BB6_9457 Depth=2
	v_bfe_u32 v8, v20, 23, 1
; %bb.9568:                             ;   in Loop: Header=BB6_9457 Depth=2
	s_or_b64 exec, exec, s[20:21]
	v_lshrrev_b64 v[20:21], 20, v[20:21]
	v_cmp_gt_i32_e32 vcc, 16, v8
	v_cndmask_b32_e32 v21, 0, v21, vcc
	v_cndmask_b32_e32 v20, 7, v20, vcc
	v_cmp_eq_u32_e32 vcc, 0, v8
	v_min_i32_e32 v8, 15, v8
	v_cmp_eq_u64_e64 s[20:21], 0, v[20:21]
	v_lshlrev_b32_e32 v8, 3, v8
	v_and_b32_e32 v8, 0xf8, v8
	v_and_or_b32 v8, v20, 7, v8
	s_and_b64 s[20:21], vcc, s[20:21]
	v_cndmask_b32_e64 v8, v8, 0, s[20:21]
	v_or_b32_e32 v23, v8, v2
.LBB6_9569:                             ;   in Loop: Header=BB6_9457 Depth=2
	s_or_b64 exec, exec, s[92:93]
                                        ; implicit-def: $vgpr2
.LBB6_9570:                             ;   in Loop: Header=BB6_9457 Depth=2
	s_andn2_saveexec_b64 s[20:21], s[90:91]
; %bb.9571:                             ;   in Loop: Header=BB6_9457 Depth=2
	v_or_b32_e32 v23, 0x7e, v2
; %bb.9572:                             ;   in Loop: Header=BB6_9457 Depth=2
	s_or_b64 exec, exec, s[20:21]
                                        ; implicit-def: $vgpr8
.LBB6_9573:                             ;   in Loop: Header=BB6_9457 Depth=2
	s_andn2_saveexec_b64 s[20:21], s[88:89]
; %bb.9574:                             ;   in Loop: Header=BB6_9457 Depth=2
	v_or_b32_sdwa v23, v8, s39 dst_sel:DWORD dst_unused:UNUSED_PAD src0_sel:BYTE_3 src1_sel:DWORD
; %bb.9575:                             ;   in Loop: Header=BB6_9457 Depth=2
	s_or_b64 exec, exec, s[20:21]
	v_lshrrev_b16_e32 v20, 8, v50
	v_cmp_ne_u16_e32 vcc, 0, v20
	v_mov_b32_e32 v2, 0
	s_and_saveexec_b64 s[20:21], vcc
	s_cbranch_execz .LBB6_9581
; %bb.9576:                             ;   in Loop: Header=BB6_9457 Depth=2
	v_cmp_ne_u16_e32 vcc, s50, v20
	v_bfrev_b32_e32 v2, 1
	s_and_saveexec_b64 s[88:89], vcc
	s_cbranch_execz .LBB6_9580
; %bb.9577:                             ;   in Loop: Header=BB6_9457 Depth=2
	v_and_b32_e32 v8, 0x7f, v20
	v_cmp_ne_u32_e32 vcc, s39, v8
	v_mov_b32_e32 v2, 0x7f800001
	s_and_saveexec_b64 s[90:91], vcc
	s_cbranch_execz .LBB6_9579
; %bb.9578:                             ;   in Loop: Header=BB6_9457 Depth=2
	v_and_b32_e32 v2, 7, v20
	v_lshrrev_b32_e32 v21, 3, v8
	v_cmp_gt_u32_e32 vcc, 8, v8
	v_ffbh_u32_e32 v8, v2
	v_min_u32_e32 v22, 32, v8
	v_subrev_u32_e32 v8, 28, v22
	v_lshlrev_b64 v[8:9], v8, v[20:21]
	v_sub_u32_e32 v9, 29, v22
	v_and_b32_e32 v8, 7, v8
	v_cndmask_b32_e32 v9, v21, v9, vcc
	v_cndmask_b32_e32 v2, v2, v8, vcc
	v_lshlrev_b32_e32 v8, 16, v50
	v_lshlrev_b32_e32 v2, 20, v2
	v_and_b32_e32 v8, 0x80000000, v8
	v_lshl_add_u32 v9, v9, 23, v62
	v_or3_b32 v2, v8, v9, v2
.LBB6_9579:                             ;   in Loop: Header=BB6_9457 Depth=2
	s_or_b64 exec, exec, s[90:91]
.LBB6_9580:                             ;   in Loop: Header=BB6_9457 Depth=2
	s_or_b64 exec, exec, s[88:89]
.LBB6_9581:                             ;   in Loop: Header=BB6_9457 Depth=2
	s_or_b64 exec, exec, s[20:21]
	v_mul_f32_e32 v8, v7, v2
	v_and_b32_e32 v50, 0x7f800000, v8
	v_cmp_ne_u64_e32 vcc, s[46:47], v[50:51]
                                        ; implicit-def: $vgpr30
	s_and_saveexec_b64 s[20:21], vcc
	s_xor_b64 s[88:89], exec, s[20:21]
	s_cbranch_execz .LBB6_9595
; %bb.9582:                             ;   in Loop: Header=BB6_9457 Depth=2
	v_and_b32_e32 v50, 0x7fffffff, v8
	v_cmp_gt_u64_e32 vcc, s[56:57], v[50:51]
	v_and_b32_sdwa v2, v8, s50 dst_sel:DWORD dst_unused:UNUSED_PAD src0_sel:BYTE_3 src1_sel:DWORD
                                        ; implicit-def: $vgpr30
	s_and_saveexec_b64 s[20:21], vcc
	s_xor_b64 s[90:91], exec, s[20:21]
	s_cbranch_execz .LBB6_9592
; %bb.9583:                             ;   in Loop: Header=BB6_9457 Depth=2
	v_mov_b32_e32 v30, 0
	v_cmp_ne_u32_e32 vcc, 0, v8
	s_and_saveexec_b64 s[92:93], vcc
	s_cbranch_execz .LBB6_9591
; %bb.9584:                             ;   in Loop: Header=BB6_9457 Depth=2
	v_and_b32_e32 v20, 0x7fffff, v8
	v_bfe_u32 v8, v8, 23, 8
	v_cmp_gt_u32_e64 s[20:21], s51, v8
	v_sub_u32_e32 v9, 0x79, v8
	v_cmp_eq_u32_e32 vcc, 0, v8
	v_cndmask_b32_e64 v9, 0, v9, s[20:21]
	v_mov_b32_e32 v22, 0x78
	v_or_b32_e32 v21, 0x800000, v20
	v_cndmask_b32_e32 v9, v9, v22, vcc
	v_cndmask_b32_e32 v50, v21, v20, vcc
	v_add_u32_e32 v20, 20, v9
	v_lshlrev_b64 v[20:21], v20, -1
	v_add_u32_e32 v22, 19, v9
	v_lshlrev_b64 v[25:26], v22, 1
	v_bfi_b32 v21, v21, 0, 0
	v_bfi_b32 v20, v20, 0, v50
	v_cmp_eq_u64_e64 s[20:21], v[20:21], v[25:26]
	v_lshrrev_b64 v[20:21], v9, v[50:51]
	v_mov_b32_e32 v22, v21
	v_mov_b32_e32 v21, v20
	s_and_saveexec_b64 s[94:95], s[20:21]
; %bb.9585:                             ;   in Loop: Header=BB6_9457 Depth=2
	v_bfe_u32 v21, v20, 20, 1
	v_add_co_u32_e64 v21, s[20:21], v20, v21
	v_add_co_u32_e64 v21, s[20:21], -1, v21
; %bb.9586:                             ;   in Loop: Header=BB6_9457 Depth=2
	s_or_b64 exec, exec, s[94:95]
	v_add_u32_e32 v8, 0xffffff81, v8
	v_mov_b32_e32 v22, 0xffffff82
	v_cndmask_b32_e32 v8, v8, v22, vcc
	v_lshrrev_b32_e32 v22, 23, v20
	v_add3_u32 v22, v9, v8, v22
	v_add_u32_e32 v9, 6, v22
	v_and_b32_e32 v8, 0xfffff, v21
	v_add_u32_e32 v50, v8, v20
	v_cmp_ne_u32_e32 vcc, 0, v9
                                        ; implicit-def: $vgpr20_vgpr21
                                        ; implicit-def: $vgpr8
	s_and_saveexec_b64 s[20:21], vcc
	s_xor_b64 s[20:21], exec, s[20:21]
; %bb.9587:                             ;   in Loop: Header=BB6_9457 Depth=2
	v_cmp_lt_u64_e32 vcc, s[58:59], v[50:51]
	v_add_u32_e32 v8, 7, v22
	v_cndmask_b32_e32 v8, v9, v8, vcc
	v_cndmask_b32_e64 v9, 0, 1, vcc
	v_lshrrev_b64 v[20:21], v9, v[50:51]
; %bb.9588:                             ;   in Loop: Header=BB6_9457 Depth=2
	s_andn2_saveexec_b64 s[20:21], s[20:21]
; %bb.9589:                             ;   in Loop: Header=BB6_9457 Depth=2
	v_mov_b32_e32 v20, v50
	v_bfe_u32 v8, v50, 23, 1
	v_mov_b32_e32 v21, v51
; %bb.9590:                             ;   in Loop: Header=BB6_9457 Depth=2
	s_or_b64 exec, exec, s[20:21]
	v_lshrrev_b64 v[20:21], 20, v[20:21]
	v_cmp_gt_i32_e32 vcc, 16, v8
	v_cndmask_b32_e32 v21, 0, v21, vcc
	v_cndmask_b32_e32 v20, 7, v20, vcc
	v_cmp_eq_u32_e32 vcc, 0, v8
	v_min_i32_e32 v8, 15, v8
	v_cmp_eq_u64_e64 s[20:21], 0, v[20:21]
	v_lshlrev_b32_e32 v8, 3, v8
	v_and_b32_e32 v8, 0xf8, v8
	v_and_or_b32 v8, v20, 7, v8
	s_and_b64 s[20:21], vcc, s[20:21]
	v_cndmask_b32_e64 v8, v8, 0, s[20:21]
	v_or_b32_e32 v30, v8, v2
.LBB6_9591:                             ;   in Loop: Header=BB6_9457 Depth=2
	s_or_b64 exec, exec, s[92:93]
                                        ; implicit-def: $vgpr2
.LBB6_9592:                             ;   in Loop: Header=BB6_9457 Depth=2
	s_andn2_saveexec_b64 s[20:21], s[90:91]
; %bb.9593:                             ;   in Loop: Header=BB6_9457 Depth=2
	v_or_b32_e32 v30, 0x7e, v2
; %bb.9594:                             ;   in Loop: Header=BB6_9457 Depth=2
	s_or_b64 exec, exec, s[20:21]
                                        ; implicit-def: $vgpr8
.LBB6_9595:                             ;   in Loop: Header=BB6_9457 Depth=2
	s_andn2_saveexec_b64 s[20:21], s[88:89]
; %bb.9596:                             ;   in Loop: Header=BB6_9457 Depth=2
	v_or_b32_sdwa v30, v8, s39 dst_sel:DWORD dst_unused:UNUSED_PAD src0_sel:BYTE_3 src1_sel:DWORD
; %bb.9597:                             ;   in Loop: Header=BB6_9457 Depth=2
	s_or_b64 exec, exec, s[20:21]
	v_lshrrev_b32_e32 v20, 16, v11
	v_cmp_ne_u16_sdwa s[88:89], v20, v51 src0_sel:BYTE_0 src1_sel:DWORD
	v_mov_b32_e32 v2, 0
	s_and_saveexec_b64 s[20:21], s[88:89]
	s_cbranch_execz .LBB6_9603
; %bb.9598:                             ;   in Loop: Header=BB6_9457 Depth=2
	v_cmp_ne_u16_sdwa s[90:91], v20, s50 src0_sel:BYTE_0 src1_sel:DWORD
	v_bfrev_b32_e32 v2, 1
	s_and_saveexec_b64 s[88:89], s[90:91]
	s_cbranch_execz .LBB6_9602
; %bb.9599:                             ;   in Loop: Header=BB6_9457 Depth=2
	v_bfe_u32 v8, v11, 16, 7
	v_cmp_ne_u32_e32 vcc, s39, v8
	v_mov_b32_e32 v2, 0x7f800001
	s_and_saveexec_b64 s[90:91], vcc
	s_cbranch_execz .LBB6_9601
; %bb.9600:                             ;   in Loop: Header=BB6_9457 Depth=2
	v_and_b32_e32 v2, 7, v20
	v_lshrrev_b32_e32 v21, 3, v8
	v_cmp_gt_u32_e32 vcc, 8, v8
	v_ffbh_u32_e32 v8, v2
	v_min_u32_e32 v22, 32, v8
	v_subrev_u32_e32 v8, 28, v22
	v_lshlrev_b64 v[8:9], v8, v[20:21]
	v_sub_u32_e32 v9, 29, v22
	v_and_b32_e32 v8, 7, v8
	v_cndmask_b32_e32 v9, v21, v9, vcc
	v_cndmask_b32_e32 v2, v2, v8, vcc
	v_lshlrev_b32_e32 v8, 24, v20
	v_lshlrev_b32_e32 v2, 20, v2
	v_and_b32_e32 v8, 0x80000000, v8
	v_lshl_add_u32 v9, v9, 23, v62
	v_or3_b32 v2, v8, v9, v2
.LBB6_9601:                             ;   in Loop: Header=BB6_9457 Depth=2
	s_or_b64 exec, exec, s[90:91]
.LBB6_9602:                             ;   in Loop: Header=BB6_9457 Depth=2
	s_or_b64 exec, exec, s[88:89]
.LBB6_9603:                             ;   in Loop: Header=BB6_9457 Depth=2
	s_or_b64 exec, exec, s[20:21]
	v_mul_f32_e32 v8, v7, v2
	v_and_b32_e32 v50, 0x7f800000, v8
	v_cmp_ne_u64_e32 vcc, s[46:47], v[50:51]
                                        ; implicit-def: $vgpr32
	s_and_saveexec_b64 s[20:21], vcc
	s_xor_b64 s[88:89], exec, s[20:21]
	s_cbranch_execz .LBB6_9617
; %bb.9604:                             ;   in Loop: Header=BB6_9457 Depth=2
	v_and_b32_e32 v50, 0x7fffffff, v8
	v_cmp_gt_u64_e32 vcc, s[56:57], v[50:51]
	v_and_b32_sdwa v2, v8, s50 dst_sel:DWORD dst_unused:UNUSED_PAD src0_sel:BYTE_3 src1_sel:DWORD
                                        ; implicit-def: $vgpr32
	s_and_saveexec_b64 s[20:21], vcc
	s_xor_b64 s[90:91], exec, s[20:21]
	s_cbranch_execz .LBB6_9614
; %bb.9605:                             ;   in Loop: Header=BB6_9457 Depth=2
	v_mov_b32_e32 v32, 0
	v_cmp_ne_u32_e32 vcc, 0, v8
	s_and_saveexec_b64 s[92:93], vcc
	s_cbranch_execz .LBB6_9613
; %bb.9606:                             ;   in Loop: Header=BB6_9457 Depth=2
	v_and_b32_e32 v20, 0x7fffff, v8
	v_bfe_u32 v8, v8, 23, 8
	v_cmp_gt_u32_e64 s[20:21], s51, v8
	v_sub_u32_e32 v9, 0x79, v8
	v_cmp_eq_u32_e32 vcc, 0, v8
	v_cndmask_b32_e64 v9, 0, v9, s[20:21]
	v_mov_b32_e32 v22, 0x78
	v_or_b32_e32 v21, 0x800000, v20
	v_cndmask_b32_e32 v9, v9, v22, vcc
	v_cndmask_b32_e32 v50, v21, v20, vcc
	v_add_u32_e32 v20, 20, v9
	v_lshlrev_b64 v[20:21], v20, -1
	v_add_u32_e32 v22, 19, v9
	v_lshlrev_b64 v[25:26], v22, 1
	v_bfi_b32 v21, v21, 0, 0
	v_bfi_b32 v20, v20, 0, v50
	v_cmp_eq_u64_e64 s[20:21], v[20:21], v[25:26]
	v_lshrrev_b64 v[20:21], v9, v[50:51]
	v_mov_b32_e32 v22, v21
	v_mov_b32_e32 v21, v20
	s_and_saveexec_b64 s[94:95], s[20:21]
; %bb.9607:                             ;   in Loop: Header=BB6_9457 Depth=2
	v_bfe_u32 v21, v20, 20, 1
	v_add_co_u32_e64 v21, s[20:21], v20, v21
	v_add_co_u32_e64 v21, s[20:21], -1, v21
; %bb.9608:                             ;   in Loop: Header=BB6_9457 Depth=2
	s_or_b64 exec, exec, s[94:95]
	v_add_u32_e32 v8, 0xffffff81, v8
	v_mov_b32_e32 v22, 0xffffff82
	v_cndmask_b32_e32 v8, v8, v22, vcc
	v_lshrrev_b32_e32 v22, 23, v20
	v_add3_u32 v22, v9, v8, v22
	v_add_u32_e32 v9, 6, v22
	v_and_b32_e32 v8, 0xfffff, v21
	v_add_u32_e32 v50, v8, v20
	v_cmp_ne_u32_e32 vcc, 0, v9
                                        ; implicit-def: $vgpr20_vgpr21
                                        ; implicit-def: $vgpr8
	s_and_saveexec_b64 s[20:21], vcc
	s_xor_b64 s[20:21], exec, s[20:21]
; %bb.9609:                             ;   in Loop: Header=BB6_9457 Depth=2
	v_cmp_lt_u64_e32 vcc, s[58:59], v[50:51]
	v_add_u32_e32 v8, 7, v22
	v_cndmask_b32_e32 v8, v9, v8, vcc
	v_cndmask_b32_e64 v9, 0, 1, vcc
	v_lshrrev_b64 v[20:21], v9, v[50:51]
; %bb.9610:                             ;   in Loop: Header=BB6_9457 Depth=2
	s_andn2_saveexec_b64 s[20:21], s[20:21]
; %bb.9611:                             ;   in Loop: Header=BB6_9457 Depth=2
	v_mov_b32_e32 v20, v50
	v_bfe_u32 v8, v50, 23, 1
	v_mov_b32_e32 v21, v51
; %bb.9612:                             ;   in Loop: Header=BB6_9457 Depth=2
	s_or_b64 exec, exec, s[20:21]
	v_lshrrev_b64 v[20:21], 20, v[20:21]
	v_cmp_gt_i32_e32 vcc, 16, v8
	v_cndmask_b32_e32 v21, 0, v21, vcc
	v_cndmask_b32_e32 v20, 7, v20, vcc
	v_cmp_eq_u32_e32 vcc, 0, v8
	v_min_i32_e32 v8, 15, v8
	v_cmp_eq_u64_e64 s[20:21], 0, v[20:21]
	v_lshlrev_b32_e32 v8, 3, v8
	v_and_b32_e32 v8, 0xf8, v8
	v_and_or_b32 v8, v20, 7, v8
	s_and_b64 s[20:21], vcc, s[20:21]
	v_cndmask_b32_e64 v8, v8, 0, s[20:21]
	v_or_b32_e32 v32, v8, v2
.LBB6_9613:                             ;   in Loop: Header=BB6_9457 Depth=2
	s_or_b64 exec, exec, s[92:93]
                                        ; implicit-def: $vgpr2
.LBB6_9614:                             ;   in Loop: Header=BB6_9457 Depth=2
	s_andn2_saveexec_b64 s[20:21], s[90:91]
; %bb.9615:                             ;   in Loop: Header=BB6_9457 Depth=2
	v_or_b32_e32 v32, 0x7e, v2
; %bb.9616:                             ;   in Loop: Header=BB6_9457 Depth=2
	s_or_b64 exec, exec, s[20:21]
                                        ; implicit-def: $vgpr8
.LBB6_9617:                             ;   in Loop: Header=BB6_9457 Depth=2
	s_andn2_saveexec_b64 s[20:21], s[88:89]
; %bb.9618:                             ;   in Loop: Header=BB6_9457 Depth=2
	v_or_b32_sdwa v32, v8, s39 dst_sel:DWORD dst_unused:UNUSED_PAD src0_sel:BYTE_3 src1_sel:DWORD
; %bb.9619:                             ;   in Loop: Header=BB6_9457 Depth=2
	s_or_b64 exec, exec, s[20:21]
	v_cmp_lt_u64_e32 vcc, s[60:61], v[10:11]
	v_mov_b32_e32 v2, 0
	s_and_saveexec_b64 s[20:21], vcc
	s_cbranch_execz .LBB6_9625
; %bb.9620:                             ;   in Loop: Header=BB6_9457 Depth=2
	v_lshrrev_b32_e32 v10, 24, v11
	v_cmp_ne_u32_e32 vcc, s50, v10
	v_bfrev_b32_e32 v2, 1
	s_and_saveexec_b64 s[88:89], vcc
	s_cbranch_execz .LBB6_9624
; %bb.9621:                             ;   in Loop: Header=BB6_9457 Depth=2
	v_bfe_u32 v8, v11, 24, 7
	v_cmp_ne_u32_e32 vcc, s39, v8
	v_mov_b32_e32 v2, 0x7f800001
	s_and_saveexec_b64 s[90:91], vcc
	s_cbranch_execz .LBB6_9623
; %bb.9622:                             ;   in Loop: Header=BB6_9457 Depth=2
	v_and_b32_e32 v2, 7, v10
	v_lshrrev_b32_e32 v11, 3, v8
	v_cmp_gt_u32_e32 vcc, 8, v8
	v_ffbh_u32_e32 v8, v2
	v_min_u32_e32 v20, 32, v8
	v_subrev_u32_e32 v8, 28, v20
	v_lshlrev_b64 v[8:9], v8, v[10:11]
	v_sub_u32_e32 v9, 29, v20
	v_and_b32_e32 v8, 7, v8
	v_cndmask_b32_e32 v9, v11, v9, vcc
	v_cndmask_b32_e32 v2, v2, v8, vcc
	v_lshlrev_b32_e32 v8, 24, v10
	v_lshlrev_b32_e32 v2, 20, v2
	v_and_b32_e32 v8, 0x80000000, v8
	v_lshl_add_u32 v9, v9, 23, v62
	v_or3_b32 v2, v8, v9, v2
.LBB6_9623:                             ;   in Loop: Header=BB6_9457 Depth=2
	s_or_b64 exec, exec, s[90:91]
.LBB6_9624:                             ;   in Loop: Header=BB6_9457 Depth=2
	s_or_b64 exec, exec, s[88:89]
.LBB6_9625:                             ;   in Loop: Header=BB6_9457 Depth=2
	s_or_b64 exec, exec, s[20:21]
	v_mul_f32_e32 v8, v7, v2
	v_and_b32_e32 v50, 0x7f800000, v8
	v_cmp_ne_u64_e32 vcc, s[46:47], v[50:51]
                                        ; implicit-def: $vgpr33
	s_and_saveexec_b64 s[20:21], vcc
	s_xor_b64 s[88:89], exec, s[20:21]
	s_cbranch_execz .LBB6_9639
; %bb.9626:                             ;   in Loop: Header=BB6_9457 Depth=2
	v_and_b32_e32 v50, 0x7fffffff, v8
	v_cmp_gt_u64_e32 vcc, s[56:57], v[50:51]
	v_and_b32_sdwa v2, v8, s50 dst_sel:DWORD dst_unused:UNUSED_PAD src0_sel:BYTE_3 src1_sel:DWORD
                                        ; implicit-def: $vgpr33
	s_and_saveexec_b64 s[20:21], vcc
	s_xor_b64 s[90:91], exec, s[20:21]
	s_cbranch_execz .LBB6_9636
; %bb.9627:                             ;   in Loop: Header=BB6_9457 Depth=2
	v_mov_b32_e32 v33, 0
	v_cmp_ne_u32_e32 vcc, 0, v8
	s_and_saveexec_b64 s[92:93], vcc
	s_cbranch_execz .LBB6_9635
; %bb.9628:                             ;   in Loop: Header=BB6_9457 Depth=2
	v_and_b32_e32 v10, 0x7fffff, v8
	v_bfe_u32 v8, v8, 23, 8
	v_cmp_gt_u32_e64 s[20:21], s51, v8
	v_sub_u32_e32 v9, 0x79, v8
	v_cmp_eq_u32_e32 vcc, 0, v8
	v_cndmask_b32_e64 v9, 0, v9, s[20:21]
	v_mov_b32_e32 v20, 0x78
	v_or_b32_e32 v11, 0x800000, v10
	v_cndmask_b32_e32 v9, v9, v20, vcc
	v_cndmask_b32_e32 v50, v11, v10, vcc
	v_add_u32_e32 v10, 20, v9
	v_lshlrev_b64 v[10:11], v10, -1
	v_add_u32_e32 v20, 19, v9
	v_lshlrev_b64 v[20:21], v20, 1
	v_bfi_b32 v11, v11, 0, 0
	v_bfi_b32 v10, v10, 0, v50
	v_cmp_eq_u64_e64 s[20:21], v[10:11], v[20:21]
	v_lshrrev_b64 v[10:11], v9, v[50:51]
	v_mov_b32_e32 v21, v11
	v_mov_b32_e32 v20, v10
	s_and_saveexec_b64 s[94:95], s[20:21]
; %bb.9629:                             ;   in Loop: Header=BB6_9457 Depth=2
	v_bfe_u32 v11, v10, 20, 1
	v_add_co_u32_e64 v11, s[20:21], v10, v11
	v_add_co_u32_e64 v20, s[20:21], -1, v11
; %bb.9630:                             ;   in Loop: Header=BB6_9457 Depth=2
	s_or_b64 exec, exec, s[94:95]
	v_add_u32_e32 v8, 0xffffff81, v8
	v_mov_b32_e32 v11, 0xffffff82
	v_cndmask_b32_e32 v8, v8, v11, vcc
	v_lshrrev_b32_e32 v11, 23, v10
	v_add3_u32 v21, v9, v8, v11
	v_add_u32_e32 v9, 6, v21
	v_and_b32_e32 v8, 0xfffff, v20
	v_add_u32_e32 v50, v8, v10
	v_cmp_ne_u32_e32 vcc, 0, v9
                                        ; implicit-def: $vgpr10_vgpr11
                                        ; implicit-def: $vgpr8
	s_and_saveexec_b64 s[20:21], vcc
	s_xor_b64 s[20:21], exec, s[20:21]
; %bb.9631:                             ;   in Loop: Header=BB6_9457 Depth=2
	v_cmp_lt_u64_e32 vcc, s[58:59], v[50:51]
	v_add_u32_e32 v8, 7, v21
	v_cndmask_b32_e32 v8, v9, v8, vcc
	v_cndmask_b32_e64 v9, 0, 1, vcc
	v_lshrrev_b64 v[10:11], v9, v[50:51]
; %bb.9632:                             ;   in Loop: Header=BB6_9457 Depth=2
	s_andn2_saveexec_b64 s[20:21], s[20:21]
; %bb.9633:                             ;   in Loop: Header=BB6_9457 Depth=2
	v_mov_b32_e32 v10, v50
	v_bfe_u32 v8, v50, 23, 1
	v_mov_b32_e32 v11, v51
; %bb.9634:                             ;   in Loop: Header=BB6_9457 Depth=2
	s_or_b64 exec, exec, s[20:21]
	v_lshrrev_b64 v[9:10], 20, v[10:11]
	v_cmp_gt_i32_e32 vcc, 16, v8
	v_cndmask_b32_e32 v10, 0, v10, vcc
	v_cndmask_b32_e32 v9, 7, v9, vcc
	v_cmp_eq_u32_e32 vcc, 0, v8
	v_min_i32_e32 v8, 15, v8
	v_cmp_eq_u64_e64 s[20:21], 0, v[9:10]
	v_lshlrev_b32_e32 v8, 3, v8
	v_and_b32_e32 v8, 0xf8, v8
	v_and_or_b32 v8, v9, 7, v8
	s_and_b64 s[20:21], vcc, s[20:21]
	v_cndmask_b32_e64 v8, v8, 0, s[20:21]
	v_or_b32_e32 v33, v8, v2
.LBB6_9635:                             ;   in Loop: Header=BB6_9457 Depth=2
	s_or_b64 exec, exec, s[92:93]
                                        ; implicit-def: $vgpr2
.LBB6_9636:                             ;   in Loop: Header=BB6_9457 Depth=2
	s_andn2_saveexec_b64 s[20:21], s[90:91]
; %bb.9637:                             ;   in Loop: Header=BB6_9457 Depth=2
	v_or_b32_e32 v33, 0x7e, v2
; %bb.9638:                             ;   in Loop: Header=BB6_9457 Depth=2
	s_or_b64 exec, exec, s[20:21]
                                        ; implicit-def: $vgpr8
.LBB6_9639:                             ;   in Loop: Header=BB6_9457 Depth=2
	s_andn2_saveexec_b64 s[20:21], s[88:89]
; %bb.9640:                             ;   in Loop: Header=BB6_9457 Depth=2
	v_or_b32_sdwa v33, v8, s39 dst_sel:DWORD dst_unused:UNUSED_PAD src0_sel:BYTE_3 src1_sel:DWORD
; %bb.9641:                             ;   in Loop: Header=BB6_9457 Depth=2
	s_or_b64 exec, exec, s[20:21]
	v_cmp_ne_u16_sdwa s[88:89], v12, v51 src0_sel:BYTE_0 src1_sel:DWORD
	v_mov_b32_e32 v2, 0
	s_and_saveexec_b64 s[20:21], s[88:89]
	s_cbranch_execz .LBB6_9647
; %bb.9642:                             ;   in Loop: Header=BB6_9457 Depth=2
	v_cmp_ne_u16_sdwa s[90:91], v12, s50 src0_sel:BYTE_0 src1_sel:DWORD
	v_bfrev_b32_e32 v2, 1
	s_and_saveexec_b64 s[88:89], s[90:91]
	s_cbranch_execz .LBB6_9646
; %bb.9643:                             ;   in Loop: Header=BB6_9457 Depth=2
	v_and_b32_e32 v8, 0x7f, v12
	v_cmp_ne_u32_e32 vcc, s39, v8
	v_mov_b32_e32 v2, 0x7f800001
	s_and_saveexec_b64 s[90:91], vcc
	s_cbranch_execz .LBB6_9645
; %bb.9644:                             ;   in Loop: Header=BB6_9457 Depth=2
	v_and_b32_e32 v2, 7, v12
	v_ffbh_u32_e32 v2, v2
	v_min_u32_e32 v2, 32, v2
	v_lshrrev_b32_e32 v9, 3, v8
	v_cmp_gt_u32_e32 vcc, 8, v8
	v_subrev_u32_e32 v8, 28, v2
	v_sub_u32_e32 v2, 29, v2
	v_cndmask_b32_e32 v8, 0, v8, vcc
	v_cndmask_b32_e32 v2, v9, v2, vcc
	v_lshlrev_b64 v[8:9], v8, v[12:13]
	v_lshlrev_b32_e32 v9, 24, v12
	v_lshlrev_b32_e32 v8, 20, v8
	v_and_b32_e32 v8, 0x700000, v8
	v_and_b32_e32 v9, 0x80000000, v9
	v_lshl_add_u32 v2, v2, 23, v62
	v_or3_b32 v2, v9, v2, v8
.LBB6_9645:                             ;   in Loop: Header=BB6_9457 Depth=2
	s_or_b64 exec, exec, s[90:91]
.LBB6_9646:                             ;   in Loop: Header=BB6_9457 Depth=2
	s_or_b64 exec, exec, s[88:89]
.LBB6_9647:                             ;   in Loop: Header=BB6_9457 Depth=2
	s_or_b64 exec, exec, s[20:21]
	v_mul_f32_e32 v9, v7, v2
	v_and_b32_e32 v50, 0x7f800000, v9
	v_cmp_ne_u64_e32 vcc, s[46:47], v[50:51]
                                        ; implicit-def: $vgpr8
	s_and_saveexec_b64 s[20:21], vcc
	s_xor_b64 s[88:89], exec, s[20:21]
	s_cbranch_execz .LBB6_9661
; %bb.9648:                             ;   in Loop: Header=BB6_9457 Depth=2
	v_and_b32_e32 v50, 0x7fffffff, v9
	v_cmp_gt_u64_e32 vcc, s[56:57], v[50:51]
	v_and_b32_sdwa v2, v9, s50 dst_sel:DWORD dst_unused:UNUSED_PAD src0_sel:BYTE_3 src1_sel:DWORD
                                        ; implicit-def: $vgpr8
	s_and_saveexec_b64 s[20:21], vcc
	s_xor_b64 s[90:91], exec, s[20:21]
	s_cbranch_execz .LBB6_9658
; %bb.9649:                             ;   in Loop: Header=BB6_9457 Depth=2
	v_mov_b32_e32 v8, 0
	v_cmp_ne_u32_e32 vcc, 0, v9
	s_and_saveexec_b64 s[92:93], vcc
	s_cbranch_execz .LBB6_9657
; %bb.9650:                             ;   in Loop: Header=BB6_9457 Depth=2
	v_bfe_u32 v8, v9, 23, 8
	v_and_b32_e32 v10, 0x7fffff, v9
	v_cmp_gt_u32_e64 s[20:21], s51, v8
	v_sub_u32_e32 v9, 0x79, v8
	v_cmp_eq_u32_e32 vcc, 0, v8
	v_cndmask_b32_e64 v9, 0, v9, s[20:21]
	v_mov_b32_e32 v20, 0x78
	v_or_b32_e32 v11, 0x800000, v10
	v_cndmask_b32_e32 v9, v9, v20, vcc
	v_cndmask_b32_e32 v50, v11, v10, vcc
	v_add_u32_e32 v10, 20, v9
	v_lshlrev_b64 v[10:11], v10, -1
	v_add_u32_e32 v20, 19, v9
	v_lshlrev_b64 v[20:21], v20, 1
	v_bfi_b32 v11, v11, 0, 0
	v_bfi_b32 v10, v10, 0, v50
	v_cmp_eq_u64_e64 s[20:21], v[10:11], v[20:21]
	v_lshrrev_b64 v[10:11], v9, v[50:51]
	v_mov_b32_e32 v21, v11
	v_mov_b32_e32 v20, v10
	s_and_saveexec_b64 s[94:95], s[20:21]
; %bb.9651:                             ;   in Loop: Header=BB6_9457 Depth=2
	v_bfe_u32 v11, v10, 20, 1
	v_add_co_u32_e64 v11, s[20:21], v10, v11
	v_add_co_u32_e64 v20, s[20:21], -1, v11
; %bb.9652:                             ;   in Loop: Header=BB6_9457 Depth=2
	s_or_b64 exec, exec, s[94:95]
	v_add_u32_e32 v8, 0xffffff81, v8
	v_mov_b32_e32 v11, 0xffffff82
	v_cndmask_b32_e32 v8, v8, v11, vcc
	v_lshrrev_b32_e32 v11, 23, v10
	v_add3_u32 v21, v9, v8, v11
	v_add_u32_e32 v9, 6, v21
	v_and_b32_e32 v8, 0xfffff, v20
	v_add_u32_e32 v50, v8, v10
	v_cmp_ne_u32_e32 vcc, 0, v9
                                        ; implicit-def: $vgpr10_vgpr11
                                        ; implicit-def: $vgpr8
	s_and_saveexec_b64 s[20:21], vcc
	s_xor_b64 s[20:21], exec, s[20:21]
; %bb.9653:                             ;   in Loop: Header=BB6_9457 Depth=2
	v_cmp_lt_u64_e32 vcc, s[58:59], v[50:51]
	v_add_u32_e32 v8, 7, v21
	v_cndmask_b32_e32 v8, v9, v8, vcc
	v_cndmask_b32_e64 v9, 0, 1, vcc
	v_lshrrev_b64 v[10:11], v9, v[50:51]
; %bb.9654:                             ;   in Loop: Header=BB6_9457 Depth=2
	s_andn2_saveexec_b64 s[20:21], s[20:21]
; %bb.9655:                             ;   in Loop: Header=BB6_9457 Depth=2
	v_mov_b32_e32 v10, v50
	v_bfe_u32 v8, v50, 23, 1
	v_mov_b32_e32 v11, v51
; %bb.9656:                             ;   in Loop: Header=BB6_9457 Depth=2
	s_or_b64 exec, exec, s[20:21]
	v_lshrrev_b64 v[9:10], 20, v[10:11]
	v_cmp_gt_i32_e32 vcc, 16, v8
	v_cndmask_b32_e32 v10, 0, v10, vcc
	v_cndmask_b32_e32 v9, 7, v9, vcc
	v_cmp_eq_u32_e32 vcc, 0, v8
	v_min_i32_e32 v8, 15, v8
	v_cmp_eq_u64_e64 s[20:21], 0, v[9:10]
	v_lshlrev_b32_e32 v8, 3, v8
	v_and_b32_e32 v8, 0xf8, v8
	v_and_or_b32 v8, v9, 7, v8
	s_and_b64 s[20:21], vcc, s[20:21]
	v_cndmask_b32_e64 v8, v8, 0, s[20:21]
	v_or_b32_e32 v8, v8, v2
.LBB6_9657:                             ;   in Loop: Header=BB6_9457 Depth=2
	s_or_b64 exec, exec, s[92:93]
                                        ; implicit-def: $vgpr2
.LBB6_9658:                             ;   in Loop: Header=BB6_9457 Depth=2
	s_andn2_saveexec_b64 s[20:21], s[90:91]
; %bb.9659:                             ;   in Loop: Header=BB6_9457 Depth=2
	v_or_b32_e32 v8, 0x7e, v2
; %bb.9660:                             ;   in Loop: Header=BB6_9457 Depth=2
	s_or_b64 exec, exec, s[20:21]
                                        ; implicit-def: $vgpr9
.LBB6_9661:                             ;   in Loop: Header=BB6_9457 Depth=2
	s_andn2_saveexec_b64 s[20:21], s[88:89]
; %bb.9662:                             ;   in Loop: Header=BB6_9457 Depth=2
	v_or_b32_sdwa v8, v9, s39 dst_sel:DWORD dst_unused:UNUSED_PAD src0_sel:BYTE_3 src1_sel:DWORD
; %bb.9663:                             ;   in Loop: Header=BB6_9457 Depth=2
	s_or_b64 exec, exec, s[20:21]
	v_lshrrev_b16_e32 v10, 8, v12
	v_cmp_ne_u16_e32 vcc, 0, v10
	v_mov_b32_e32 v2, 0
	s_and_saveexec_b64 s[20:21], vcc
	s_cbranch_execz .LBB6_9669
; %bb.9664:                             ;   in Loop: Header=BB6_9457 Depth=2
	v_cmp_ne_u16_e32 vcc, s50, v10
	v_bfrev_b32_e32 v2, 1
	s_and_saveexec_b64 s[88:89], vcc
	s_cbranch_execz .LBB6_9668
; %bb.9665:                             ;   in Loop: Header=BB6_9457 Depth=2
	v_and_b32_e32 v9, 0x7f, v10
	v_cmp_ne_u32_e32 vcc, s39, v9
	v_mov_b32_e32 v2, 0x7f800001
	s_and_saveexec_b64 s[90:91], vcc
	s_cbranch_execz .LBB6_9667
; %bb.9666:                             ;   in Loop: Header=BB6_9457 Depth=2
	v_and_b32_e32 v2, 7, v10
	v_lshrrev_b32_e32 v11, 3, v9
	v_cmp_gt_u32_e32 vcc, 8, v9
	v_ffbh_u32_e32 v9, v2
	v_min_u32_e32 v20, 32, v9
	v_subrev_u32_e32 v9, 28, v20
	v_lshlrev_b64 v[9:10], v9, v[10:11]
	v_sub_u32_e32 v10, 29, v20
	v_and_b32_e32 v9, 7, v9
	v_cndmask_b32_e32 v10, v11, v10, vcc
	v_cndmask_b32_e32 v2, v2, v9, vcc
	v_lshlrev_b32_e32 v9, 16, v12
	v_lshlrev_b32_e32 v2, 20, v2
	v_and_b32_e32 v9, 0x80000000, v9
	v_lshl_add_u32 v10, v10, 23, v62
	v_or3_b32 v2, v9, v10, v2
.LBB6_9667:                             ;   in Loop: Header=BB6_9457 Depth=2
	s_or_b64 exec, exec, s[90:91]
.LBB6_9668:                             ;   in Loop: Header=BB6_9457 Depth=2
	s_or_b64 exec, exec, s[88:89]
.LBB6_9669:                             ;   in Loop: Header=BB6_9457 Depth=2
	s_or_b64 exec, exec, s[20:21]
	v_mul_f32_e32 v9, v7, v2
	v_and_b32_e32 v50, 0x7f800000, v9
	v_cmp_ne_u64_e32 vcc, s[46:47], v[50:51]
                                        ; implicit-def: $vgpr26
	s_and_saveexec_b64 s[20:21], vcc
	s_xor_b64 s[88:89], exec, s[20:21]
	s_cbranch_execz .LBB6_9683
; %bb.9670:                             ;   in Loop: Header=BB6_9457 Depth=2
	v_and_b32_e32 v50, 0x7fffffff, v9
	v_cmp_gt_u64_e32 vcc, s[56:57], v[50:51]
	v_and_b32_sdwa v2, v9, s50 dst_sel:DWORD dst_unused:UNUSED_PAD src0_sel:BYTE_3 src1_sel:DWORD
                                        ; implicit-def: $vgpr26
	s_and_saveexec_b64 s[20:21], vcc
	s_xor_b64 s[90:91], exec, s[20:21]
	s_cbranch_execz .LBB6_9680
; %bb.9671:                             ;   in Loop: Header=BB6_9457 Depth=2
	v_mov_b32_e32 v26, 0
	v_cmp_ne_u32_e32 vcc, 0, v9
	s_and_saveexec_b64 s[92:93], vcc
	s_cbranch_execz .LBB6_9679
; %bb.9672:                             ;   in Loop: Header=BB6_9457 Depth=2
	v_and_b32_e32 v10, 0x7fffff, v9
	v_bfe_u32 v9, v9, 23, 8
	v_cmp_gt_u32_e64 s[20:21], s51, v9
	v_sub_u32_e32 v11, 0x79, v9
	v_cmp_eq_u32_e32 vcc, 0, v9
	v_cndmask_b32_e64 v11, 0, v11, s[20:21]
	v_mov_b32_e32 v21, 0x78
	v_or_b32_e32 v20, 0x800000, v10
	v_cndmask_b32_e32 v22, v11, v21, vcc
	v_cndmask_b32_e32 v50, v20, v10, vcc
	v_add_u32_e32 v10, 20, v22
	v_lshlrev_b64 v[10:11], v10, -1
	v_add_u32_e32 v20, 19, v22
	v_lshlrev_b64 v[20:21], v20, 1
	v_bfi_b32 v11, v11, 0, 0
	v_bfi_b32 v10, v10, 0, v50
	v_cmp_eq_u64_e64 s[20:21], v[10:11], v[20:21]
	v_lshrrev_b64 v[10:11], v22, v[50:51]
	v_mov_b32_e32 v21, v11
	v_mov_b32_e32 v20, v10
	s_and_saveexec_b64 s[94:95], s[20:21]
; %bb.9673:                             ;   in Loop: Header=BB6_9457 Depth=2
	v_bfe_u32 v11, v10, 20, 1
	v_add_co_u32_e64 v11, s[20:21], v10, v11
	v_add_co_u32_e64 v20, s[20:21], -1, v11
; %bb.9674:                             ;   in Loop: Header=BB6_9457 Depth=2
	s_or_b64 exec, exec, s[94:95]
	v_add_u32_e32 v9, 0xffffff81, v9
	v_mov_b32_e32 v11, 0xffffff82
	v_cndmask_b32_e32 v9, v9, v11, vcc
	v_lshrrev_b32_e32 v11, 23, v10
	v_add3_u32 v22, v22, v9, v11
	v_add_u32_e32 v21, 6, v22
	v_and_b32_e32 v9, 0xfffff, v20
	v_add_u32_e32 v50, v9, v10
	v_cmp_ne_u32_e32 vcc, 0, v21
                                        ; implicit-def: $vgpr10_vgpr11
                                        ; implicit-def: $vgpr9
	s_and_saveexec_b64 s[20:21], vcc
	s_xor_b64 s[20:21], exec, s[20:21]
; %bb.9675:                             ;   in Loop: Header=BB6_9457 Depth=2
	v_cmp_lt_u64_e32 vcc, s[58:59], v[50:51]
	v_add_u32_e32 v9, 7, v22
	v_cndmask_b32_e64 v10, 0, 1, vcc
	v_cndmask_b32_e32 v9, v21, v9, vcc
	v_lshrrev_b64 v[10:11], v10, v[50:51]
; %bb.9676:                             ;   in Loop: Header=BB6_9457 Depth=2
	s_andn2_saveexec_b64 s[20:21], s[20:21]
; %bb.9677:                             ;   in Loop: Header=BB6_9457 Depth=2
	v_mov_b32_e32 v10, v50
	v_bfe_u32 v9, v50, 23, 1
	v_mov_b32_e32 v11, v51
; %bb.9678:                             ;   in Loop: Header=BB6_9457 Depth=2
	s_or_b64 exec, exec, s[20:21]
	v_lshrrev_b64 v[10:11], 20, v[10:11]
	v_cmp_gt_i32_e32 vcc, 16, v9
	v_cndmask_b32_e32 v11, 0, v11, vcc
	v_cndmask_b32_e32 v10, 7, v10, vcc
	v_cmp_eq_u32_e32 vcc, 0, v9
	v_min_i32_e32 v9, 15, v9
	v_cmp_eq_u64_e64 s[20:21], 0, v[10:11]
	v_lshlrev_b32_e32 v9, 3, v9
	v_and_b32_e32 v9, 0xf8, v9
	v_and_or_b32 v9, v10, 7, v9
	s_and_b64 s[20:21], vcc, s[20:21]
	v_cndmask_b32_e64 v9, v9, 0, s[20:21]
	v_or_b32_e32 v26, v9, v2
.LBB6_9679:                             ;   in Loop: Header=BB6_9457 Depth=2
	s_or_b64 exec, exec, s[92:93]
                                        ; implicit-def: $vgpr2
.LBB6_9680:                             ;   in Loop: Header=BB6_9457 Depth=2
	s_andn2_saveexec_b64 s[20:21], s[90:91]
; %bb.9681:                             ;   in Loop: Header=BB6_9457 Depth=2
	v_or_b32_e32 v26, 0x7e, v2
; %bb.9682:                             ;   in Loop: Header=BB6_9457 Depth=2
	s_or_b64 exec, exec, s[20:21]
                                        ; implicit-def: $vgpr9
.LBB6_9683:                             ;   in Loop: Header=BB6_9457 Depth=2
	s_andn2_saveexec_b64 s[20:21], s[88:89]
; %bb.9684:                             ;   in Loop: Header=BB6_9457 Depth=2
	v_or_b32_sdwa v26, v9, s39 dst_sel:DWORD dst_unused:UNUSED_PAD src0_sel:BYTE_3 src1_sel:DWORD
; %bb.9685:                             ;   in Loop: Header=BB6_9457 Depth=2
	s_or_b64 exec, exec, s[20:21]
	v_lshrrev_b32_e32 v10, 16, v12
	v_cmp_ne_u16_sdwa s[88:89], v10, v51 src0_sel:BYTE_0 src1_sel:DWORD
	v_mov_b32_e32 v2, 0
	s_and_saveexec_b64 s[20:21], s[88:89]
	s_cbranch_execz .LBB6_9691
; %bb.9686:                             ;   in Loop: Header=BB6_9457 Depth=2
	v_cmp_ne_u16_sdwa s[90:91], v10, s50 src0_sel:BYTE_0 src1_sel:DWORD
	v_bfrev_b32_e32 v2, 1
	s_and_saveexec_b64 s[88:89], s[90:91]
	s_cbranch_execz .LBB6_9690
; %bb.9687:                             ;   in Loop: Header=BB6_9457 Depth=2
	v_bfe_u32 v9, v12, 16, 7
	v_cmp_ne_u32_e32 vcc, s39, v9
	v_mov_b32_e32 v2, 0x7f800001
	s_and_saveexec_b64 s[90:91], vcc
	s_cbranch_execz .LBB6_9689
; %bb.9688:                             ;   in Loop: Header=BB6_9457 Depth=2
	v_and_b32_e32 v2, 7, v10
	v_lshrrev_b32_e32 v11, 3, v9
	v_cmp_gt_u32_e32 vcc, 8, v9
	v_ffbh_u32_e32 v9, v2
	v_min_u32_e32 v9, 32, v9
	v_subrev_u32_e32 v20, 28, v9
	v_lshlrev_b64 v[20:21], v20, v[10:11]
	v_sub_u32_e32 v9, 29, v9
	v_and_b32_e32 v20, 7, v20
	v_cndmask_b32_e32 v9, v11, v9, vcc
	v_cndmask_b32_e32 v2, v2, v20, vcc
	v_lshlrev_b32_e32 v10, 24, v10
	v_lshlrev_b32_e32 v2, 20, v2
	v_and_b32_e32 v10, 0x80000000, v10
	v_lshl_add_u32 v9, v9, 23, v62
	v_or3_b32 v2, v10, v9, v2
.LBB6_9689:                             ;   in Loop: Header=BB6_9457 Depth=2
	s_or_b64 exec, exec, s[90:91]
.LBB6_9690:                             ;   in Loop: Header=BB6_9457 Depth=2
	s_or_b64 exec, exec, s[88:89]
.LBB6_9691:                             ;   in Loop: Header=BB6_9457 Depth=2
	s_or_b64 exec, exec, s[20:21]
	v_mul_f32_e32 v9, v7, v2
	v_and_b32_e32 v50, 0x7f800000, v9
	v_cmp_ne_u64_e32 vcc, s[46:47], v[50:51]
                                        ; implicit-def: $vgpr29
	s_and_saveexec_b64 s[20:21], vcc
	s_xor_b64 s[88:89], exec, s[20:21]
	s_cbranch_execz .LBB6_9705
; %bb.9692:                             ;   in Loop: Header=BB6_9457 Depth=2
	v_and_b32_e32 v50, 0x7fffffff, v9
	v_cmp_gt_u64_e32 vcc, s[56:57], v[50:51]
	v_and_b32_sdwa v2, v9, s50 dst_sel:DWORD dst_unused:UNUSED_PAD src0_sel:BYTE_3 src1_sel:DWORD
                                        ; implicit-def: $vgpr29
	s_and_saveexec_b64 s[20:21], vcc
	s_xor_b64 s[90:91], exec, s[20:21]
	s_cbranch_execz .LBB6_9702
; %bb.9693:                             ;   in Loop: Header=BB6_9457 Depth=2
	v_mov_b32_e32 v29, 0
	v_cmp_ne_u32_e32 vcc, 0, v9
	s_and_saveexec_b64 s[92:93], vcc
	s_cbranch_execz .LBB6_9701
; %bb.9694:                             ;   in Loop: Header=BB6_9457 Depth=2
	v_and_b32_e32 v10, 0x7fffff, v9
	v_bfe_u32 v9, v9, 23, 8
	v_cmp_gt_u32_e64 s[20:21], s51, v9
	v_sub_u32_e32 v11, 0x79, v9
	v_cmp_eq_u32_e32 vcc, 0, v9
	v_cndmask_b32_e64 v11, 0, v11, s[20:21]
	v_mov_b32_e32 v21, 0x78
	v_or_b32_e32 v20, 0x800000, v10
	v_cndmask_b32_e32 v22, v11, v21, vcc
	v_cndmask_b32_e32 v50, v20, v10, vcc
	v_add_u32_e32 v10, 20, v22
	v_lshlrev_b64 v[10:11], v10, -1
	v_add_u32_e32 v20, 19, v22
	v_lshlrev_b64 v[20:21], v20, 1
	v_bfi_b32 v11, v11, 0, 0
	v_bfi_b32 v10, v10, 0, v50
	v_cmp_eq_u64_e64 s[20:21], v[10:11], v[20:21]
	v_lshrrev_b64 v[10:11], v22, v[50:51]
	v_mov_b32_e32 v21, v11
	v_mov_b32_e32 v20, v10
	s_and_saveexec_b64 s[94:95], s[20:21]
; %bb.9695:                             ;   in Loop: Header=BB6_9457 Depth=2
	v_bfe_u32 v11, v10, 20, 1
	v_add_co_u32_e64 v11, s[20:21], v10, v11
	v_add_co_u32_e64 v20, s[20:21], -1, v11
; %bb.9696:                             ;   in Loop: Header=BB6_9457 Depth=2
	s_or_b64 exec, exec, s[94:95]
	v_add_u32_e32 v9, 0xffffff81, v9
	v_mov_b32_e32 v11, 0xffffff82
	v_cndmask_b32_e32 v9, v9, v11, vcc
	v_lshrrev_b32_e32 v11, 23, v10
	v_add3_u32 v22, v22, v9, v11
	v_add_u32_e32 v21, 6, v22
	v_and_b32_e32 v9, 0xfffff, v20
	v_add_u32_e32 v50, v9, v10
	v_cmp_ne_u32_e32 vcc, 0, v21
                                        ; implicit-def: $vgpr10_vgpr11
                                        ; implicit-def: $vgpr9
	s_and_saveexec_b64 s[20:21], vcc
	s_xor_b64 s[20:21], exec, s[20:21]
; %bb.9697:                             ;   in Loop: Header=BB6_9457 Depth=2
	v_cmp_lt_u64_e32 vcc, s[58:59], v[50:51]
	v_add_u32_e32 v9, 7, v22
	v_cndmask_b32_e64 v10, 0, 1, vcc
	v_cndmask_b32_e32 v9, v21, v9, vcc
	v_lshrrev_b64 v[10:11], v10, v[50:51]
; %bb.9698:                             ;   in Loop: Header=BB6_9457 Depth=2
	s_andn2_saveexec_b64 s[20:21], s[20:21]
; %bb.9699:                             ;   in Loop: Header=BB6_9457 Depth=2
	v_mov_b32_e32 v10, v50
	v_bfe_u32 v9, v50, 23, 1
	v_mov_b32_e32 v11, v51
; %bb.9700:                             ;   in Loop: Header=BB6_9457 Depth=2
	s_or_b64 exec, exec, s[20:21]
	v_lshrrev_b64 v[10:11], 20, v[10:11]
	v_cmp_gt_i32_e32 vcc, 16, v9
	v_cndmask_b32_e32 v11, 0, v11, vcc
	v_cndmask_b32_e32 v10, 7, v10, vcc
	v_cmp_eq_u32_e32 vcc, 0, v9
	v_min_i32_e32 v9, 15, v9
	v_cmp_eq_u64_e64 s[20:21], 0, v[10:11]
	v_lshlrev_b32_e32 v9, 3, v9
	v_and_b32_e32 v9, 0xf8, v9
	v_and_or_b32 v9, v10, 7, v9
	s_and_b64 s[20:21], vcc, s[20:21]
	v_cndmask_b32_e64 v9, v9, 0, s[20:21]
	v_or_b32_e32 v29, v9, v2
.LBB6_9701:                             ;   in Loop: Header=BB6_9457 Depth=2
	s_or_b64 exec, exec, s[92:93]
                                        ; implicit-def: $vgpr2
.LBB6_9702:                             ;   in Loop: Header=BB6_9457 Depth=2
	s_andn2_saveexec_b64 s[20:21], s[90:91]
; %bb.9703:                             ;   in Loop: Header=BB6_9457 Depth=2
	v_or_b32_e32 v29, 0x7e, v2
; %bb.9704:                             ;   in Loop: Header=BB6_9457 Depth=2
	s_or_b64 exec, exec, s[20:21]
                                        ; implicit-def: $vgpr9
.LBB6_9705:                             ;   in Loop: Header=BB6_9457 Depth=2
	s_andn2_saveexec_b64 s[20:21], s[88:89]
; %bb.9706:                             ;   in Loop: Header=BB6_9457 Depth=2
	v_or_b32_sdwa v29, v9, s39 dst_sel:DWORD dst_unused:UNUSED_PAD src0_sel:BYTE_3 src1_sel:DWORD
; %bb.9707:                             ;   in Loop: Header=BB6_9457 Depth=2
	s_or_b64 exec, exec, s[20:21]
	v_cmp_lt_u32_e32 vcc, s61, v12
	v_mov_b32_e32 v2, 0
	s_and_saveexec_b64 s[20:21], vcc
	s_cbranch_execz .LBB6_9713
; %bb.9708:                             ;   in Loop: Header=BB6_9457 Depth=2
	v_lshrrev_b32_e32 v10, 24, v12
	v_cmp_ne_u32_e32 vcc, s50, v10
	v_bfrev_b32_e32 v2, 1
	s_and_saveexec_b64 s[88:89], vcc
	s_cbranch_execz .LBB6_9712
; %bb.9709:                             ;   in Loop: Header=BB6_9457 Depth=2
	v_bfe_u32 v9, v12, 24, 7
	v_cmp_ne_u32_e32 vcc, s39, v9
	v_mov_b32_e32 v2, 0x7f800001
	s_and_saveexec_b64 s[90:91], vcc
	s_cbranch_execz .LBB6_9711
; %bb.9710:                             ;   in Loop: Header=BB6_9457 Depth=2
	v_and_b32_e32 v2, 7, v10
	v_lshrrev_b32_e32 v11, 3, v9
	v_cmp_gt_u32_e32 vcc, 8, v9
	v_ffbh_u32_e32 v9, v2
	v_min_u32_e32 v9, 32, v9
	v_subrev_u32_e32 v20, 28, v9
	v_lshlrev_b64 v[20:21], v20, v[10:11]
	v_sub_u32_e32 v9, 29, v9
	v_and_b32_e32 v20, 7, v20
	v_cndmask_b32_e32 v9, v11, v9, vcc
	v_cndmask_b32_e32 v2, v2, v20, vcc
	v_lshlrev_b32_e32 v10, 24, v10
	v_lshlrev_b32_e32 v2, 20, v2
	v_and_b32_e32 v10, 0x80000000, v10
	v_lshl_add_u32 v9, v9, 23, v62
	v_or3_b32 v2, v10, v9, v2
.LBB6_9711:                             ;   in Loop: Header=BB6_9457 Depth=2
	s_or_b64 exec, exec, s[90:91]
.LBB6_9712:                             ;   in Loop: Header=BB6_9457 Depth=2
	s_or_b64 exec, exec, s[88:89]
.LBB6_9713:                             ;   in Loop: Header=BB6_9457 Depth=2
	s_or_b64 exec, exec, s[20:21]
	v_mul_f32_e32 v9, v7, v2
	v_and_b32_e32 v50, 0x7f800000, v9
	v_cmp_ne_u64_e32 vcc, s[46:47], v[50:51]
                                        ; implicit-def: $vgpr31
	s_and_saveexec_b64 s[20:21], vcc
	s_xor_b64 s[88:89], exec, s[20:21]
	s_cbranch_execz .LBB6_9727
; %bb.9714:                             ;   in Loop: Header=BB6_9457 Depth=2
	v_and_b32_e32 v50, 0x7fffffff, v9
	v_cmp_gt_u64_e32 vcc, s[56:57], v[50:51]
	v_and_b32_sdwa v2, v9, s50 dst_sel:DWORD dst_unused:UNUSED_PAD src0_sel:BYTE_3 src1_sel:DWORD
                                        ; implicit-def: $vgpr31
	s_and_saveexec_b64 s[20:21], vcc
	s_xor_b64 s[90:91], exec, s[20:21]
	s_cbranch_execz .LBB6_9724
; %bb.9715:                             ;   in Loop: Header=BB6_9457 Depth=2
	v_mov_b32_e32 v31, 0
	v_cmp_ne_u32_e32 vcc, 0, v9
	s_and_saveexec_b64 s[92:93], vcc
	s_cbranch_execz .LBB6_9723
; %bb.9716:                             ;   in Loop: Header=BB6_9457 Depth=2
	v_and_b32_e32 v10, 0x7fffff, v9
	v_bfe_u32 v9, v9, 23, 8
	v_cmp_gt_u32_e64 s[20:21], s51, v9
	v_sub_u32_e32 v11, 0x79, v9
	v_cmp_eq_u32_e32 vcc, 0, v9
	v_cndmask_b32_e64 v11, 0, v11, s[20:21]
	v_mov_b32_e32 v21, 0x78
	v_or_b32_e32 v20, 0x800000, v10
	v_cndmask_b32_e32 v22, v11, v21, vcc
	v_cndmask_b32_e32 v50, v20, v10, vcc
	v_add_u32_e32 v10, 20, v22
	v_lshlrev_b64 v[10:11], v10, -1
	v_add_u32_e32 v20, 19, v22
	v_lshlrev_b64 v[20:21], v20, 1
	v_bfi_b32 v11, v11, 0, 0
	v_bfi_b32 v10, v10, 0, v50
	v_cmp_eq_u64_e64 s[20:21], v[10:11], v[20:21]
	v_lshrrev_b64 v[10:11], v22, v[50:51]
	v_mov_b32_e32 v21, v11
	v_mov_b32_e32 v20, v10
	s_and_saveexec_b64 s[94:95], s[20:21]
; %bb.9717:                             ;   in Loop: Header=BB6_9457 Depth=2
	v_bfe_u32 v11, v10, 20, 1
	v_add_co_u32_e64 v11, s[20:21], v10, v11
	v_add_co_u32_e64 v20, s[20:21], -1, v11
; %bb.9718:                             ;   in Loop: Header=BB6_9457 Depth=2
	s_or_b64 exec, exec, s[94:95]
	v_add_u32_e32 v9, 0xffffff81, v9
	v_mov_b32_e32 v11, 0xffffff82
	v_cndmask_b32_e32 v9, v9, v11, vcc
	v_lshrrev_b32_e32 v11, 23, v10
	v_add3_u32 v22, v22, v9, v11
	v_add_u32_e32 v21, 6, v22
	v_and_b32_e32 v9, 0xfffff, v20
	v_add_u32_e32 v50, v9, v10
	v_cmp_ne_u32_e32 vcc, 0, v21
                                        ; implicit-def: $vgpr10_vgpr11
                                        ; implicit-def: $vgpr9
	s_and_saveexec_b64 s[20:21], vcc
	s_xor_b64 s[20:21], exec, s[20:21]
; %bb.9719:                             ;   in Loop: Header=BB6_9457 Depth=2
	v_cmp_lt_u64_e32 vcc, s[58:59], v[50:51]
	v_add_u32_e32 v9, 7, v22
	v_cndmask_b32_e64 v10, 0, 1, vcc
	v_cndmask_b32_e32 v9, v21, v9, vcc
	v_lshrrev_b64 v[10:11], v10, v[50:51]
; %bb.9720:                             ;   in Loop: Header=BB6_9457 Depth=2
	s_andn2_saveexec_b64 s[20:21], s[20:21]
; %bb.9721:                             ;   in Loop: Header=BB6_9457 Depth=2
	v_mov_b32_e32 v10, v50
	v_bfe_u32 v9, v50, 23, 1
	v_mov_b32_e32 v11, v51
; %bb.9722:                             ;   in Loop: Header=BB6_9457 Depth=2
	s_or_b64 exec, exec, s[20:21]
	v_lshrrev_b64 v[10:11], 20, v[10:11]
	v_cmp_gt_i32_e32 vcc, 16, v9
	v_cndmask_b32_e32 v11, 0, v11, vcc
	v_cndmask_b32_e32 v10, 7, v10, vcc
	v_cmp_eq_u32_e32 vcc, 0, v9
	v_min_i32_e32 v9, 15, v9
	v_cmp_eq_u64_e64 s[20:21], 0, v[10:11]
	v_lshlrev_b32_e32 v9, 3, v9
	v_and_b32_e32 v9, 0xf8, v9
	v_and_or_b32 v9, v10, 7, v9
	s_and_b64 s[20:21], vcc, s[20:21]
	v_cndmask_b32_e64 v9, v9, 0, s[20:21]
	v_or_b32_e32 v31, v9, v2
.LBB6_9723:                             ;   in Loop: Header=BB6_9457 Depth=2
	s_or_b64 exec, exec, s[92:93]
                                        ; implicit-def: $vgpr2
.LBB6_9724:                             ;   in Loop: Header=BB6_9457 Depth=2
	s_andn2_saveexec_b64 s[20:21], s[90:91]
; %bb.9725:                             ;   in Loop: Header=BB6_9457 Depth=2
	v_or_b32_e32 v31, 0x7e, v2
; %bb.9726:                             ;   in Loop: Header=BB6_9457 Depth=2
	s_or_b64 exec, exec, s[20:21]
                                        ; implicit-def: $vgpr9
.LBB6_9727:                             ;   in Loop: Header=BB6_9457 Depth=2
	s_andn2_saveexec_b64 s[20:21], s[88:89]
; %bb.9728:                             ;   in Loop: Header=BB6_9457 Depth=2
	v_or_b32_sdwa v31, v9, s39 dst_sel:DWORD dst_unused:UNUSED_PAD src0_sel:BYTE_3 src1_sel:DWORD
; %bb.9729:                             ;   in Loop: Header=BB6_9457 Depth=2
	s_or_b64 exec, exec, s[20:21]
	v_mov_b32_e32 v50, v13
	v_cmp_ne_u16_sdwa s[88:89], v13, v51 src0_sel:BYTE_0 src1_sel:DWORD
	v_mov_b32_e32 v2, 0
	s_and_saveexec_b64 s[20:21], s[88:89]
	s_cbranch_execz .LBB6_9735
; %bb.9730:                             ;   in Loop: Header=BB6_9457 Depth=2
	v_cmp_ne_u16_sdwa s[90:91], v13, s50 src0_sel:BYTE_0 src1_sel:DWORD
	v_bfrev_b32_e32 v2, 1
	s_and_saveexec_b64 s[88:89], s[90:91]
	s_cbranch_execz .LBB6_9734
; %bb.9731:                             ;   in Loop: Header=BB6_9457 Depth=2
	v_and_b32_e32 v9, 0x7f, v13
	v_cmp_ne_u32_e32 vcc, s39, v9
	v_mov_b32_e32 v2, 0x7f800001
	s_and_saveexec_b64 s[90:91], vcc
	s_cbranch_execz .LBB6_9733
; %bb.9732:                             ;   in Loop: Header=BB6_9457 Depth=2
	v_and_b32_e32 v2, 7, v13
	v_ffbh_u32_e32 v2, v2
	v_min_u32_e32 v2, 32, v2
	v_lshrrev_b32_e32 v10, 3, v9
	v_cmp_gt_u32_e32 vcc, 8, v9
	v_subrev_u32_e32 v9, 28, v2
	v_sub_u32_e32 v2, 29, v2
	v_cndmask_b32_e32 v9, 0, v9, vcc
	v_cndmask_b32_e32 v2, v10, v2, vcc
	v_lshlrev_b64 v[9:10], v9, v[50:51]
	v_lshlrev_b32_e32 v10, 24, v50
	v_lshlrev_b32_e32 v9, 20, v9
	v_and_b32_e32 v9, 0x700000, v9
	v_and_b32_e32 v10, 0x80000000, v10
	v_lshl_add_u32 v2, v2, 23, v62
	v_or3_b32 v2, v10, v2, v9
.LBB6_9733:                             ;   in Loop: Header=BB6_9457 Depth=2
	s_or_b64 exec, exec, s[90:91]
.LBB6_9734:                             ;   in Loop: Header=BB6_9457 Depth=2
	s_or_b64 exec, exec, s[88:89]
.LBB6_9735:                             ;   in Loop: Header=BB6_9457 Depth=2
	s_or_b64 exec, exec, s[20:21]
	v_mul_f32_e32 v10, v7, v2
	v_and_b32_e32 v20, 0x7f800000, v10
	v_mov_b32_e32 v21, v51
	v_cmp_ne_u64_e32 vcc, s[46:47], v[20:21]
                                        ; implicit-def: $vgpr2
	s_and_saveexec_b64 s[20:21], vcc
	s_xor_b64 s[88:89], exec, s[20:21]
	s_cbranch_execz .LBB6_9749
; %bb.9736:                             ;   in Loop: Header=BB6_9457 Depth=2
	v_and_b32_e32 v20, 0x7fffffff, v10
	v_mov_b32_e32 v21, v51
	v_cmp_gt_u64_e32 vcc, s[56:57], v[20:21]
	v_and_b32_sdwa v9, v10, s50 dst_sel:DWORD dst_unused:UNUSED_PAD src0_sel:BYTE_3 src1_sel:DWORD
                                        ; implicit-def: $vgpr2
	s_and_saveexec_b64 s[20:21], vcc
	s_xor_b64 s[90:91], exec, s[20:21]
	s_cbranch_execz .LBB6_9746
; %bb.9737:                             ;   in Loop: Header=BB6_9457 Depth=2
	v_mov_b32_e32 v2, 0
	v_cmp_ne_u32_e32 vcc, 0, v10
	s_and_saveexec_b64 s[92:93], vcc
	s_cbranch_execz .LBB6_9745
; %bb.9738:                             ;   in Loop: Header=BB6_9457 Depth=2
	v_bfe_u32 v2, v10, 23, 8
	v_and_b32_e32 v11, 0x7fffff, v10
	v_cmp_gt_u32_e64 s[20:21], s51, v2
	v_sub_u32_e32 v10, 0x79, v2
	v_cmp_eq_u32_e32 vcc, 0, v2
	v_cndmask_b32_e64 v10, 0, v10, s[20:21]
	v_mov_b32_e32 v21, 0x78
	v_or_b32_e32 v20, 0x800000, v11
	v_cndmask_b32_e32 v22, v10, v21, vcc
	v_cndmask_b32_e32 v10, v20, v11, vcc
	v_add_u32_e32 v20, 20, v22
	v_lshlrev_b64 v[20:21], v20, -1
	v_mov_b32_e32 v11, v51
	v_add_u32_e32 v25, 19, v22
	v_bfi_b32 v20, v20, 0, v10
	v_lshlrev_b64 v[35:36], v25, 1
	v_lshrrev_b64 v[10:11], v22, v[10:11]
	v_bfi_b32 v21, v21, 0, 0
	v_cmp_eq_u64_e64 s[20:21], v[20:21], v[35:36]
	v_mov_b32_e32 v21, v11
	v_mov_b32_e32 v20, v10
	s_and_saveexec_b64 s[94:95], s[20:21]
; %bb.9739:                             ;   in Loop: Header=BB6_9457 Depth=2
	v_bfe_u32 v11, v10, 20, 1
	v_add_co_u32_e64 v11, s[20:21], v10, v11
	v_add_co_u32_e64 v20, s[20:21], -1, v11
; %bb.9740:                             ;   in Loop: Header=BB6_9457 Depth=2
	s_or_b64 exec, exec, s[94:95]
	v_add_u32_e32 v2, 0xffffff81, v2
	v_mov_b32_e32 v11, 0xffffff82
	v_cndmask_b32_e32 v2, v2, v11, vcc
	v_lshrrev_b32_e32 v11, 23, v10
	v_add3_u32 v22, v22, v2, v11
	v_add_u32_e32 v21, 6, v22
	v_and_b32_e32 v2, 0xfffff, v20
	v_add_u32_e32 v10, v2, v10
	v_mov_b32_e32 v11, v51
	v_cmp_ne_u32_e32 vcc, 0, v21
                                        ; implicit-def: $vgpr2
	s_and_saveexec_b64 s[20:21], vcc
	s_xor_b64 s[20:21], exec, s[20:21]
; %bb.9741:                             ;   in Loop: Header=BB6_9457 Depth=2
	v_cmp_lt_u64_e32 vcc, s[58:59], v[10:11]
	v_add_u32_e32 v2, 7, v22
	v_cndmask_b32_e64 v20, 0, 1, vcc
	v_cndmask_b32_e32 v2, v21, v2, vcc
	v_lshrrev_b64 v[10:11], v20, v[10:11]
; %bb.9742:                             ;   in Loop: Header=BB6_9457 Depth=2
	s_andn2_saveexec_b64 s[20:21], s[20:21]
; %bb.9743:                             ;   in Loop: Header=BB6_9457 Depth=2
	v_bfe_u32 v2, v10, 23, 1
; %bb.9744:                             ;   in Loop: Header=BB6_9457 Depth=2
	s_or_b64 exec, exec, s[20:21]
	v_lshrrev_b64 v[10:11], 20, v[10:11]
	v_cmp_gt_i32_e32 vcc, 16, v2
	v_cndmask_b32_e32 v11, 0, v11, vcc
	v_cndmask_b32_e32 v10, 7, v10, vcc
	v_cmp_eq_u32_e32 vcc, 0, v2
	v_min_i32_e32 v2, 15, v2
	v_cmp_eq_u64_e64 s[20:21], 0, v[10:11]
	v_lshlrev_b32_e32 v2, 3, v2
	v_and_b32_e32 v2, 0xf8, v2
	v_and_or_b32 v2, v10, 7, v2
	s_and_b64 s[20:21], vcc, s[20:21]
	v_cndmask_b32_e64 v2, v2, 0, s[20:21]
	v_or_b32_e32 v2, v2, v9
.LBB6_9745:                             ;   in Loop: Header=BB6_9457 Depth=2
	s_or_b64 exec, exec, s[92:93]
                                        ; implicit-def: $vgpr9
.LBB6_9746:                             ;   in Loop: Header=BB6_9457 Depth=2
	s_andn2_saveexec_b64 s[20:21], s[90:91]
; %bb.9747:                             ;   in Loop: Header=BB6_9457 Depth=2
	v_or_b32_e32 v2, 0x7e, v9
; %bb.9748:                             ;   in Loop: Header=BB6_9457 Depth=2
	s_or_b64 exec, exec, s[20:21]
                                        ; implicit-def: $vgpr10
.LBB6_9749:                             ;   in Loop: Header=BB6_9457 Depth=2
	s_andn2_saveexec_b64 s[20:21], s[88:89]
; %bb.9750:                             ;   in Loop: Header=BB6_9457 Depth=2
	v_or_b32_sdwa v2, v10, s39 dst_sel:DWORD dst_unused:UNUSED_PAD src0_sel:BYTE_3 src1_sel:DWORD
; %bb.9751:                             ;   in Loop: Header=BB6_9457 Depth=2
	s_or_b64 exec, exec, s[20:21]
	v_lshrrev_b16_e32 v10, 8, v50
	v_cmp_ne_u16_e32 vcc, 0, v10
	v_mov_b32_e32 v9, 0
	s_and_saveexec_b64 s[20:21], vcc
	s_cbranch_execz .LBB6_9757
; %bb.9752:                             ;   in Loop: Header=BB6_9457 Depth=2
	v_cmp_ne_u16_e32 vcc, s50, v10
	v_bfrev_b32_e32 v9, 1
	s_and_saveexec_b64 s[88:89], vcc
	s_cbranch_execz .LBB6_9756
; %bb.9753:                             ;   in Loop: Header=BB6_9457 Depth=2
	v_and_b32_e32 v11, 0x7f, v10
	v_cmp_ne_u32_e32 vcc, s39, v11
	v_mov_b32_e32 v9, 0x7f800001
	s_and_saveexec_b64 s[90:91], vcc
	s_cbranch_execz .LBB6_9755
; %bb.9754:                             ;   in Loop: Header=BB6_9457 Depth=2
	v_and_b32_e32 v20, 7, v10
	v_ffbh_u32_e32 v9, v20
	v_lshrrev_b32_e32 v21, 3, v11
	v_cmp_gt_u32_e32 vcc, 8, v11
	v_min_u32_e32 v11, 32, v9
	v_subrev_u32_e32 v9, 28, v11
	v_lshlrev_b64 v[9:10], v9, v[10:11]
	v_sub_u32_e32 v10, 29, v11
	v_and_b32_e32 v9, 7, v9
	v_cndmask_b32_e32 v10, v21, v10, vcc
	v_cndmask_b32_e32 v9, v20, v9, vcc
	v_lshlrev_b32_e32 v11, 16, v50
	v_lshlrev_b32_e32 v9, 20, v9
	v_and_b32_e32 v11, 0x80000000, v11
	v_lshl_add_u32 v10, v10, 23, v62
	v_or3_b32 v9, v11, v10, v9
.LBB6_9755:                             ;   in Loop: Header=BB6_9457 Depth=2
	s_or_b64 exec, exec, s[90:91]
.LBB6_9756:                             ;   in Loop: Header=BB6_9457 Depth=2
	s_or_b64 exec, exec, s[88:89]
.LBB6_9757:                             ;   in Loop: Header=BB6_9457 Depth=2
	s_or_b64 exec, exec, s[20:21]
	v_mul_f32_e32 v10, v7, v9
	v_and_b32_e32 v50, 0x7f800000, v10
	v_cmp_ne_u64_e32 vcc, s[46:47], v[50:51]
                                        ; implicit-def: $vgpr9
	s_and_saveexec_b64 s[20:21], vcc
	s_xor_b64 s[88:89], exec, s[20:21]
	s_cbranch_execz .LBB6_9771
; %bb.9758:                             ;   in Loop: Header=BB6_9457 Depth=2
	v_and_b32_e32 v50, 0x7fffffff, v10
	v_cmp_gt_u64_e32 vcc, s[56:57], v[50:51]
	v_and_b32_sdwa v22, v10, s50 dst_sel:DWORD dst_unused:UNUSED_PAD src0_sel:BYTE_3 src1_sel:DWORD
                                        ; implicit-def: $vgpr9
	s_and_saveexec_b64 s[20:21], vcc
	s_xor_b64 s[90:91], exec, s[20:21]
	s_cbranch_execz .LBB6_9768
; %bb.9759:                             ;   in Loop: Header=BB6_9457 Depth=2
	v_mov_b32_e32 v9, 0
	v_cmp_ne_u32_e32 vcc, 0, v10
	s_and_saveexec_b64 s[92:93], vcc
	s_cbranch_execz .LBB6_9767
; %bb.9760:                             ;   in Loop: Header=BB6_9457 Depth=2
	v_bfe_u32 v9, v10, 23, 8
	v_and_b32_e32 v11, 0x7fffff, v10
	v_cmp_gt_u32_e64 s[20:21], s51, v9
	v_sub_u32_e32 v10, 0x79, v9
	v_cmp_eq_u32_e32 vcc, 0, v9
	v_cndmask_b32_e64 v10, 0, v10, s[20:21]
	v_mov_b32_e32 v21, 0x78
	v_cndmask_b32_e32 v25, v10, v21, vcc
	v_or_b32_e32 v20, 0x800000, v11
	v_add_u32_e32 v10, 20, v25
	v_cndmask_b32_e32 v50, v20, v11, vcc
	v_lshlrev_b64 v[10:11], v10, -1
	v_add_u32_e32 v20, 19, v25
	v_lshlrev_b64 v[20:21], v20, 1
	v_bfi_b32 v11, v11, 0, 0
	v_bfi_b32 v10, v10, 0, v50
	v_cmp_eq_u64_e64 s[20:21], v[10:11], v[20:21]
	v_lshrrev_b64 v[10:11], v25, v[50:51]
	v_mov_b32_e32 v21, v11
	v_mov_b32_e32 v20, v10
	s_and_saveexec_b64 s[94:95], s[20:21]
; %bb.9761:                             ;   in Loop: Header=BB6_9457 Depth=2
	v_bfe_u32 v11, v10, 20, 1
	v_add_co_u32_e64 v11, s[20:21], v10, v11
	v_add_co_u32_e64 v20, s[20:21], -1, v11
; %bb.9762:                             ;   in Loop: Header=BB6_9457 Depth=2
	s_or_b64 exec, exec, s[94:95]
	v_add_u32_e32 v9, 0xffffff81, v9
	v_mov_b32_e32 v11, 0xffffff82
	v_cndmask_b32_e32 v9, v9, v11, vcc
	v_lshrrev_b32_e32 v11, 23, v10
	v_add3_u32 v25, v25, v9, v11
	v_add_u32_e32 v21, 6, v25
	v_and_b32_e32 v9, 0xfffff, v20
	v_add_u32_e32 v50, v9, v10
	v_cmp_ne_u32_e32 vcc, 0, v21
                                        ; implicit-def: $vgpr10_vgpr11
                                        ; implicit-def: $vgpr9
	s_and_saveexec_b64 s[20:21], vcc
	s_xor_b64 s[20:21], exec, s[20:21]
; %bb.9763:                             ;   in Loop: Header=BB6_9457 Depth=2
	v_cmp_lt_u64_e32 vcc, s[58:59], v[50:51]
	v_add_u32_e32 v9, 7, v25
	v_cndmask_b32_e64 v10, 0, 1, vcc
	v_cndmask_b32_e32 v9, v21, v9, vcc
	v_lshrrev_b64 v[10:11], v10, v[50:51]
; %bb.9764:                             ;   in Loop: Header=BB6_9457 Depth=2
	s_andn2_saveexec_b64 s[20:21], s[20:21]
; %bb.9765:                             ;   in Loop: Header=BB6_9457 Depth=2
	v_mov_b32_e32 v10, v50
	v_bfe_u32 v9, v50, 23, 1
	v_mov_b32_e32 v11, v51
; %bb.9766:                             ;   in Loop: Header=BB6_9457 Depth=2
	s_or_b64 exec, exec, s[20:21]
	v_lshrrev_b64 v[10:11], 20, v[10:11]
	v_cmp_gt_i32_e32 vcc, 16, v9
	v_cndmask_b32_e32 v11, 0, v11, vcc
	v_cndmask_b32_e32 v10, 7, v10, vcc
	v_cmp_eq_u32_e32 vcc, 0, v9
	v_min_i32_e32 v9, 15, v9
	v_cmp_eq_u64_e64 s[20:21], 0, v[10:11]
	v_lshlrev_b32_e32 v9, 3, v9
	v_and_b32_e32 v9, 0xf8, v9
	v_and_or_b32 v9, v10, 7, v9
	s_and_b64 s[20:21], vcc, s[20:21]
	v_cndmask_b32_e64 v9, v9, 0, s[20:21]
	v_or_b32_e32 v9, v9, v22
.LBB6_9767:                             ;   in Loop: Header=BB6_9457 Depth=2
	s_or_b64 exec, exec, s[92:93]
                                        ; implicit-def: $vgpr22
.LBB6_9768:                             ;   in Loop: Header=BB6_9457 Depth=2
	s_andn2_saveexec_b64 s[20:21], s[90:91]
; %bb.9769:                             ;   in Loop: Header=BB6_9457 Depth=2
	v_or_b32_e32 v9, 0x7e, v22
; %bb.9770:                             ;   in Loop: Header=BB6_9457 Depth=2
	s_or_b64 exec, exec, s[20:21]
                                        ; implicit-def: $vgpr10
.LBB6_9771:                             ;   in Loop: Header=BB6_9457 Depth=2
	s_andn2_saveexec_b64 s[20:21], s[88:89]
; %bb.9772:                             ;   in Loop: Header=BB6_9457 Depth=2
	v_or_b32_sdwa v9, v10, s39 dst_sel:DWORD dst_unused:UNUSED_PAD src0_sel:BYTE_3 src1_sel:DWORD
; %bb.9773:                             ;   in Loop: Header=BB6_9457 Depth=2
	s_or_b64 exec, exec, s[20:21]
	v_lshrrev_b32_e32 v10, 16, v13
	v_cmp_ne_u16_sdwa s[88:89], v10, v51 src0_sel:BYTE_0 src1_sel:DWORD
	v_mov_b32_e32 v11, 0
	s_and_saveexec_b64 s[20:21], s[88:89]
	s_cbranch_execz .LBB6_9779
; %bb.9774:                             ;   in Loop: Header=BB6_9457 Depth=2
	v_cmp_ne_u16_sdwa s[90:91], v10, s50 src0_sel:BYTE_0 src1_sel:DWORD
	v_bfrev_b32_e32 v11, 1
	s_and_saveexec_b64 s[88:89], s[90:91]
	s_cbranch_execz .LBB6_9778
; %bb.9775:                             ;   in Loop: Header=BB6_9457 Depth=2
	v_bfe_u32 v20, v13, 16, 7
	v_cmp_ne_u32_e32 vcc, s39, v20
	v_mov_b32_e32 v11, 0x7f800001
	s_and_saveexec_b64 s[90:91], vcc
	s_cbranch_execz .LBB6_9777
; %bb.9776:                             ;   in Loop: Header=BB6_9457 Depth=2
	v_and_b32_e32 v11, 7, v10
	v_lshrrev_b32_e32 v22, 3, v20
	v_cmp_gt_u32_e32 vcc, 8, v20
	v_ffbh_u32_e32 v20, v11
	v_min_u32_e32 v25, 32, v20
	v_subrev_u32_e32 v20, 28, v25
	v_lshlrev_b64 v[20:21], v20, v[10:11]
	v_sub_u32_e32 v21, 29, v25
	v_and_b32_e32 v20, 7, v20
	v_cndmask_b32_e32 v21, v22, v21, vcc
	v_cndmask_b32_e32 v11, v11, v20, vcc
	v_lshlrev_b32_e32 v10, 24, v10
	v_lshlrev_b32_e32 v11, 20, v11
	v_and_b32_e32 v10, 0x80000000, v10
	v_lshl_add_u32 v20, v21, 23, v62
	v_or3_b32 v11, v10, v20, v11
.LBB6_9777:                             ;   in Loop: Header=BB6_9457 Depth=2
	s_or_b64 exec, exec, s[90:91]
.LBB6_9778:                             ;   in Loop: Header=BB6_9457 Depth=2
	s_or_b64 exec, exec, s[88:89]
.LBB6_9779:                             ;   in Loop: Header=BB6_9457 Depth=2
	s_or_b64 exec, exec, s[20:21]
	v_mul_f32_e32 v10, v7, v11
	v_and_b32_e32 v50, 0x7f800000, v10
	v_cmp_ne_u64_e32 vcc, s[46:47], v[50:51]
                                        ; implicit-def: $vgpr25
	s_and_saveexec_b64 s[20:21], vcc
	s_xor_b64 s[88:89], exec, s[20:21]
	s_cbranch_execz .LBB6_9793
; %bb.9780:                             ;   in Loop: Header=BB6_9457 Depth=2
	v_and_b32_e32 v50, 0x7fffffff, v10
	v_cmp_gt_u64_e32 vcc, s[56:57], v[50:51]
	v_and_b32_sdwa v22, v10, s50 dst_sel:DWORD dst_unused:UNUSED_PAD src0_sel:BYTE_3 src1_sel:DWORD
                                        ; implicit-def: $vgpr25
	s_and_saveexec_b64 s[20:21], vcc
	s_xor_b64 s[90:91], exec, s[20:21]
	s_cbranch_execz .LBB6_9790
; %bb.9781:                             ;   in Loop: Header=BB6_9457 Depth=2
	v_mov_b32_e32 v25, 0
	v_cmp_ne_u32_e32 vcc, 0, v10
	s_and_saveexec_b64 s[92:93], vcc
	s_cbranch_execz .LBB6_9789
; %bb.9782:                             ;   in Loop: Header=BB6_9457 Depth=2
	v_bfe_u32 v25, v10, 23, 8
	v_and_b32_e32 v11, 0x7fffff, v10
	v_cmp_gt_u32_e64 s[20:21], s51, v25
	v_sub_u32_e32 v10, 0x79, v25
	v_cmp_eq_u32_e32 vcc, 0, v25
	v_cndmask_b32_e64 v10, 0, v10, s[20:21]
	v_mov_b32_e32 v21, 0x78
	v_cndmask_b32_e32 v27, v10, v21, vcc
	v_or_b32_e32 v20, 0x800000, v11
	v_add_u32_e32 v10, 20, v27
	v_cndmask_b32_e32 v50, v20, v11, vcc
	v_lshlrev_b64 v[10:11], v10, -1
	v_add_u32_e32 v20, 19, v27
	v_lshlrev_b64 v[20:21], v20, 1
	v_bfi_b32 v11, v11, 0, 0
	v_bfi_b32 v10, v10, 0, v50
	v_cmp_eq_u64_e64 s[20:21], v[10:11], v[20:21]
	v_lshrrev_b64 v[10:11], v27, v[50:51]
	v_mov_b32_e32 v21, v11
	v_mov_b32_e32 v20, v10
	s_and_saveexec_b64 s[94:95], s[20:21]
; %bb.9783:                             ;   in Loop: Header=BB6_9457 Depth=2
	v_bfe_u32 v11, v10, 20, 1
	v_add_co_u32_e64 v11, s[20:21], v10, v11
	v_add_co_u32_e64 v20, s[20:21], -1, v11
; %bb.9784:                             ;   in Loop: Header=BB6_9457 Depth=2
	s_or_b64 exec, exec, s[94:95]
	v_add_u32_e32 v11, 0xffffff81, v25
	v_mov_b32_e32 v21, 0xffffff82
	v_cndmask_b32_e32 v11, v11, v21, vcc
	v_lshrrev_b32_e32 v21, 23, v10
	v_add3_u32 v25, v27, v11, v21
	v_add_u32_e32 v21, 6, v25
	v_and_b32_e32 v11, 0xfffff, v20
	v_add_u32_e32 v50, v11, v10
	v_cmp_ne_u32_e32 vcc, 0, v21
                                        ; implicit-def: $vgpr10_vgpr11
                                        ; implicit-def: $vgpr20
	s_and_saveexec_b64 s[20:21], vcc
	s_xor_b64 s[20:21], exec, s[20:21]
; %bb.9785:                             ;   in Loop: Header=BB6_9457 Depth=2
	v_cmp_lt_u64_e32 vcc, s[58:59], v[50:51]
	v_add_u32_e32 v10, 7, v25
	v_cndmask_b32_e32 v20, v21, v10, vcc
	v_cndmask_b32_e64 v10, 0, 1, vcc
	v_lshrrev_b64 v[10:11], v10, v[50:51]
; %bb.9786:                             ;   in Loop: Header=BB6_9457 Depth=2
	s_andn2_saveexec_b64 s[20:21], s[20:21]
; %bb.9787:                             ;   in Loop: Header=BB6_9457 Depth=2
	v_mov_b32_e32 v10, v50
	v_bfe_u32 v20, v50, 23, 1
	v_mov_b32_e32 v11, v51
; %bb.9788:                             ;   in Loop: Header=BB6_9457 Depth=2
	s_or_b64 exec, exec, s[20:21]
	v_lshrrev_b64 v[10:11], 20, v[10:11]
	v_cmp_gt_i32_e32 vcc, 16, v20
	v_cndmask_b32_e32 v11, 0, v11, vcc
	v_cndmask_b32_e32 v10, 7, v10, vcc
	v_cmp_eq_u64_e64 s[20:21], 0, v[10:11]
	v_min_i32_e32 v11, 15, v20
	v_lshlrev_b32_e32 v11, 3, v11
	v_cmp_eq_u32_e32 vcc, 0, v20
	v_and_b32_e32 v11, 0xf8, v11
	v_and_or_b32 v10, v10, 7, v11
	s_and_b64 s[20:21], vcc, s[20:21]
	v_cndmask_b32_e64 v10, v10, 0, s[20:21]
	v_or_b32_e32 v25, v10, v22
.LBB6_9789:                             ;   in Loop: Header=BB6_9457 Depth=2
	s_or_b64 exec, exec, s[92:93]
                                        ; implicit-def: $vgpr22
.LBB6_9790:                             ;   in Loop: Header=BB6_9457 Depth=2
	s_andn2_saveexec_b64 s[20:21], s[90:91]
; %bb.9791:                             ;   in Loop: Header=BB6_9457 Depth=2
	v_or_b32_e32 v25, 0x7e, v22
; %bb.9792:                             ;   in Loop: Header=BB6_9457 Depth=2
	s_or_b64 exec, exec, s[20:21]
                                        ; implicit-def: $vgpr10
.LBB6_9793:                             ;   in Loop: Header=BB6_9457 Depth=2
	s_andn2_saveexec_b64 s[20:21], s[88:89]
; %bb.9794:                             ;   in Loop: Header=BB6_9457 Depth=2
	v_or_b32_sdwa v25, v10, s39 dst_sel:DWORD dst_unused:UNUSED_PAD src0_sel:BYTE_3 src1_sel:DWORD
; %bb.9795:                             ;   in Loop: Header=BB6_9457 Depth=2
	s_or_b64 exec, exec, s[20:21]
	v_cmp_lt_u64_e32 vcc, s[60:61], v[12:13]
	v_mov_b32_e32 v11, 0
	s_and_saveexec_b64 s[20:21], vcc
	s_cbranch_execz .LBB6_9801
; %bb.9796:                             ;   in Loop: Header=BB6_9457 Depth=2
	v_lshrrev_b32_e32 v10, 24, v13
	v_cmp_ne_u32_e32 vcc, s50, v10
	v_bfrev_b32_e32 v11, 1
	s_and_saveexec_b64 s[88:89], vcc
	s_cbranch_execz .LBB6_9800
; %bb.9797:                             ;   in Loop: Header=BB6_9457 Depth=2
	v_bfe_u32 v12, v13, 24, 7
	v_cmp_ne_u32_e32 vcc, s39, v12
	v_mov_b32_e32 v11, 0x7f800001
	s_and_saveexec_b64 s[90:91], vcc
	s_cbranch_execz .LBB6_9799
; %bb.9798:                             ;   in Loop: Header=BB6_9457 Depth=2
	v_and_b32_e32 v13, 7, v10
	v_ffbh_u32_e32 v11, v13
	v_min_u32_e32 v21, 32, v11
	v_subrev_u32_e32 v11, 28, v21
	v_lshrrev_b32_e32 v20, 3, v12
	v_cmp_gt_u32_e32 vcc, 8, v12
	v_lshlrev_b64 v[11:12], v11, v[10:11]
	v_sub_u32_e32 v12, 29, v21
	v_and_b32_e32 v11, 7, v11
	v_cndmask_b32_e32 v12, v20, v12, vcc
	v_cndmask_b32_e32 v11, v13, v11, vcc
	v_lshlrev_b32_e32 v10, 24, v10
	v_lshlrev_b32_e32 v11, 20, v11
	v_and_b32_e32 v10, 0x80000000, v10
	v_lshl_add_u32 v12, v12, 23, v62
	v_or3_b32 v11, v10, v12, v11
.LBB6_9799:                             ;   in Loop: Header=BB6_9457 Depth=2
	s_or_b64 exec, exec, s[90:91]
.LBB6_9800:                             ;   in Loop: Header=BB6_9457 Depth=2
	s_or_b64 exec, exec, s[88:89]
.LBB6_9801:                             ;   in Loop: Header=BB6_9457 Depth=2
	s_or_b64 exec, exec, s[20:21]
	v_mul_f32_e32 v10, v7, v11
	v_and_b32_e32 v50, 0x7f800000, v10
	v_cmp_ne_u64_e32 vcc, s[46:47], v[50:51]
                                        ; implicit-def: $vgpr27
	s_and_saveexec_b64 s[20:21], vcc
	s_xor_b64 s[88:89], exec, s[20:21]
	s_cbranch_execz .LBB6_9815
; %bb.9802:                             ;   in Loop: Header=BB6_9457 Depth=2
	v_and_b32_e32 v50, 0x7fffffff, v10
	v_cmp_gt_u64_e32 vcc, s[56:57], v[50:51]
	v_and_b32_sdwa v7, v10, s50 dst_sel:DWORD dst_unused:UNUSED_PAD src0_sel:BYTE_3 src1_sel:DWORD
                                        ; implicit-def: $vgpr27
	s_and_saveexec_b64 s[20:21], vcc
	s_xor_b64 s[90:91], exec, s[20:21]
	s_cbranch_execz .LBB6_9812
; %bb.9803:                             ;   in Loop: Header=BB6_9457 Depth=2
	v_mov_b32_e32 v27, 0
	v_cmp_ne_u32_e32 vcc, 0, v10
	s_and_saveexec_b64 s[92:93], vcc
	s_cbranch_execz .LBB6_9811
; %bb.9804:                             ;   in Loop: Header=BB6_9457 Depth=2
	v_bfe_u32 v13, v10, 23, 8
	v_and_b32_e32 v11, 0x7fffff, v10
	v_cmp_gt_u32_e64 s[20:21], s51, v13
	v_sub_u32_e32 v10, 0x79, v13
	v_cmp_eq_u32_e32 vcc, 0, v13
	v_cndmask_b32_e64 v10, 0, v10, s[20:21]
	v_mov_b32_e32 v20, 0x78
	v_cndmask_b32_e32 v20, v10, v20, vcc
	v_or_b32_e32 v12, 0x800000, v11
	v_add_u32_e32 v10, 20, v20
	v_cndmask_b32_e32 v50, v12, v11, vcc
	v_lshlrev_b64 v[10:11], v10, -1
	v_add_u32_e32 v12, 19, v20
	v_lshlrev_b64 v[21:22], v12, 1
	v_bfi_b32 v11, v11, 0, 0
	v_bfi_b32 v10, v10, 0, v50
	v_cmp_eq_u64_e64 s[20:21], v[10:11], v[21:22]
	v_lshrrev_b64 v[10:11], v20, v[50:51]
	v_mov_b32_e32 v12, v11
	v_mov_b32_e32 v11, v10
	s_and_saveexec_b64 s[94:95], s[20:21]
; %bb.9805:                             ;   in Loop: Header=BB6_9457 Depth=2
	v_bfe_u32 v11, v10, 20, 1
	v_add_co_u32_e64 v11, s[20:21], v10, v11
	v_add_co_u32_e64 v11, s[20:21], -1, v11
; %bb.9806:                             ;   in Loop: Header=BB6_9457 Depth=2
	s_or_b64 exec, exec, s[94:95]
	v_add_u32_e32 v12, 0xffffff81, v13
	v_mov_b32_e32 v13, 0xffffff82
	v_cndmask_b32_e32 v12, v12, v13, vcc
	v_lshrrev_b32_e32 v13, 23, v10
	v_add3_u32 v20, v20, v12, v13
	v_add_u32_e32 v13, 6, v20
	v_and_b32_e32 v11, 0xfffff, v11
	v_add_u32_e32 v50, v11, v10
	v_cmp_ne_u32_e32 vcc, 0, v13
                                        ; implicit-def: $vgpr10_vgpr11
                                        ; implicit-def: $vgpr12
	s_and_saveexec_b64 s[20:21], vcc
	s_xor_b64 s[20:21], exec, s[20:21]
; %bb.9807:                             ;   in Loop: Header=BB6_9457 Depth=2
	v_cmp_lt_u64_e32 vcc, s[58:59], v[50:51]
	v_add_u32_e32 v10, 7, v20
	v_cndmask_b32_e32 v12, v13, v10, vcc
	v_cndmask_b32_e64 v10, 0, 1, vcc
	v_lshrrev_b64 v[10:11], v10, v[50:51]
; %bb.9808:                             ;   in Loop: Header=BB6_9457 Depth=2
	s_andn2_saveexec_b64 s[20:21], s[20:21]
; %bb.9809:                             ;   in Loop: Header=BB6_9457 Depth=2
	v_mov_b32_e32 v10, v50
	v_bfe_u32 v12, v50, 23, 1
	v_mov_b32_e32 v11, v51
; %bb.9810:                             ;   in Loop: Header=BB6_9457 Depth=2
	s_or_b64 exec, exec, s[20:21]
	v_lshrrev_b64 v[10:11], 20, v[10:11]
	v_cmp_gt_i32_e32 vcc, 16, v12
	v_cndmask_b32_e32 v11, 0, v11, vcc
	v_cndmask_b32_e32 v10, 7, v10, vcc
	v_cmp_eq_u64_e64 s[20:21], 0, v[10:11]
	v_min_i32_e32 v11, 15, v12
	v_lshlrev_b32_e32 v11, 3, v11
	v_cmp_eq_u32_e32 vcc, 0, v12
	v_and_b32_e32 v11, 0xf8, v11
	v_and_or_b32 v10, v10, 7, v11
	s_and_b64 s[20:21], vcc, s[20:21]
	v_cndmask_b32_e64 v10, v10, 0, s[20:21]
	v_or_b32_e32 v27, v10, v7
.LBB6_9811:                             ;   in Loop: Header=BB6_9457 Depth=2
	s_or_b64 exec, exec, s[92:93]
                                        ; implicit-def: $vgpr7
.LBB6_9812:                             ;   in Loop: Header=BB6_9457 Depth=2
	s_andn2_saveexec_b64 s[20:21], s[90:91]
; %bb.9813:                             ;   in Loop: Header=BB6_9457 Depth=2
	v_or_b32_e32 v27, 0x7e, v7
; %bb.9814:                             ;   in Loop: Header=BB6_9457 Depth=2
	s_or_b64 exec, exec, s[20:21]
                                        ; implicit-def: $vgpr10
.LBB6_9815:                             ;   in Loop: Header=BB6_9457 Depth=2
	s_andn2_saveexec_b64 s[20:21], s[88:89]
; %bb.9816:                             ;   in Loop: Header=BB6_9457 Depth=2
	v_or_b32_sdwa v27, v10, s39 dst_sel:DWORD dst_unused:UNUSED_PAD src0_sel:BYTE_3 src1_sel:DWORD
; %bb.9817:                             ;   in Loop: Header=BB6_9457 Depth=2
	s_or_b64 exec, exec, s[20:21]
	v_lshl_or_b32 v7, v24, 8, v6
	v_lshlrev_b32_e32 v10, 16, v28
	v_lshlrev_b32_e32 v11, 24, v34
	v_or3_b32 v50, v10, v11, v7
	global_load_dwordx4 v[10:13], v[16:17], off glc slc
	v_cmp_ne_u32_e32 vcc, 0, v6
	v_mov_b32_e32 v20, 0
	s_and_saveexec_b64 s[20:21], vcc
	s_cbranch_execz .LBB6_9823
; %bb.9818:                             ;   in Loop: Header=BB6_9457 Depth=2
	v_cmp_ne_u32_e32 vcc, s50, v6
	v_bfrev_b32_e32 v20, 1
	s_and_saveexec_b64 s[88:89], vcc
	s_cbranch_execz .LBB6_9822
; %bb.9819:                             ;   in Loop: Header=BB6_9457 Depth=2
	v_and_b32_e32 v21, 0x7f, v6
	v_cmp_ne_u32_e32 vcc, s39, v21
	v_mov_b32_e32 v20, 0x7f800001
	s_and_saveexec_b64 s[90:91], vcc
	s_cbranch_execz .LBB6_9821
; %bb.9820:                             ;   in Loop: Header=BB6_9457 Depth=2
	v_and_b32_e32 v6, 7, v6
	v_ffbh_u32_e32 v6, v6
	v_min_u32_e32 v6, 32, v6
	v_lshrrev_b32_e32 v20, 3, v21
	v_cmp_gt_u32_e32 vcc, 8, v21
	v_subrev_u32_e32 v21, 28, v6
	v_sub_u32_e32 v6, 29, v6
	v_cndmask_b32_e32 v6, v20, v6, vcc
	v_cndmask_b32_e32 v20, 0, v21, vcc
	v_lshlrev_b64 v[20:21], v20, v[50:51]
	v_lshlrev_b32_e32 v21, 24, v50
	v_lshlrev_b32_e32 v20, 20, v20
	v_and_b32_e32 v20, 0x700000, v20
	v_and_b32_e32 v21, 0x80000000, v21
	v_lshl_add_u32 v6, v6, 23, v62
	v_or3_b32 v20, v21, v6, v20
.LBB6_9821:                             ;   in Loop: Header=BB6_9457 Depth=2
	s_or_b64 exec, exec, s[90:91]
.LBB6_9822:                             ;   in Loop: Header=BB6_9457 Depth=2
	s_or_b64 exec, exec, s[88:89]
.LBB6_9823:                             ;   in Loop: Header=BB6_9457 Depth=2
	s_or_b64 exec, exec, s[20:21]
	s_waitcnt vmcnt(0)
	v_cmp_gt_i16_sdwa s[88:89], v10, s39 src0_sel:BYTE_0 src1_sel:DWORD
	s_mov_b64 s[20:21], 0
	s_and_saveexec_b64 s[90:91], s[88:89]
	s_xor_b64 s[88:89], exec, s[90:91]
	s_cbranch_execnz .LBB6_10225
; %bb.9824:                             ;   in Loop: Header=BB6_9457 Depth=2
	s_or_saveexec_b64 s[88:89], s[88:89]
	v_bfrev_b32_e32 v6, 1
	s_xor_b64 exec, exec, s[88:89]
	s_cbranch_execnz .LBB6_10228
.LBB6_9825:                             ;   in Loop: Header=BB6_9457 Depth=2
	s_or_b64 exec, exec, s[88:89]
	s_and_saveexec_b64 s[88:89], s[20:21]
	s_cbranch_execz .LBB6_9827
.LBB6_9826:                             ;   in Loop: Header=BB6_9457 Depth=2
	v_and_b32_e32 v6, 7, v10
	v_ffbh_u32_e32 v6, v6
	v_and_b32_e32 v24, 0x7f, v10
	v_min_u32_e32 v6, 32, v6
	v_bfe_u32 v21, v10, 3, 4
	v_subrev_u32_e32 v22, 28, v6
	v_sub_u32_e32 v6, 29, v6
	v_cmp_gt_u32_e32 vcc, 8, v24
	v_cndmask_b32_e32 v6, v21, v6, vcc
	v_cndmask_b32_e32 v21, 0, v22, vcc
	v_lshlrev_b64 v[21:22], v21, v[10:11]
	v_lshlrev_b32_e32 v22, 24, v10
	v_lshlrev_b32_e32 v21, 20, v21
	v_and_b32_e32 v21, 0x700000, v21
	v_and_b32_e32 v22, 0x80000000, v22
	v_lshl_add_u32 v6, v6, 23, v62
	v_or3_b32 v6, v22, v6, v21
	v_cmp_ne_u32_e32 vcc, s39, v24
	v_mov_b32_e32 v21, 0x7f800001
	v_cndmask_b32_e32 v6, v21, v6, vcc
.LBB6_9827:                             ;   in Loop: Header=BB6_9457 Depth=2
	s_or_b64 exec, exec, s[88:89]
	v_add_f32_e32 v20, v20, v6
	v_and_b32_e32 v21, 0x7f800000, v20
	v_mov_b32_e32 v22, v51
	v_cmp_ne_u64_e32 vcc, s[46:47], v[21:22]
                                        ; implicit-def: $vgpr6
	s_and_saveexec_b64 s[20:21], vcc
	s_xor_b64 s[88:89], exec, s[20:21]
	s_cbranch_execz .LBB6_9841
; %bb.9828:                             ;   in Loop: Header=BB6_9457 Depth=2
	v_and_b32_e32 v21, 0x7fffffff, v20
	v_mov_b32_e32 v22, v51
	v_cmp_gt_u64_e32 vcc, s[56:57], v[21:22]
	v_and_b32_sdwa v24, v20, s50 dst_sel:DWORD dst_unused:UNUSED_PAD src0_sel:BYTE_3 src1_sel:DWORD
                                        ; implicit-def: $vgpr6
	s_and_saveexec_b64 s[20:21], vcc
	s_xor_b64 s[90:91], exec, s[20:21]
	s_cbranch_execz .LBB6_9838
; %bb.9829:                             ;   in Loop: Header=BB6_9457 Depth=2
	v_mov_b32_e32 v6, 0
	v_cmp_ne_u32_e32 vcc, 0, v20
	s_and_saveexec_b64 s[92:93], vcc
	s_cbranch_execz .LBB6_9837
; %bb.9830:                             ;   in Loop: Header=BB6_9457 Depth=2
	v_bfe_u32 v6, v20, 23, 8
	v_and_b32_e32 v21, 0x7fffff, v20
	v_cmp_gt_u32_e64 s[20:21], s51, v6
	v_sub_u32_e32 v20, 0x79, v6
	v_cmp_eq_u32_e32 vcc, 0, v6
	v_cndmask_b32_e64 v20, 0, v20, s[20:21]
	v_mov_b32_e32 v28, 0x78
	v_or_b32_e32 v22, 0x800000, v21
	v_cndmask_b32_e32 v28, v20, v28, vcc
	v_cndmask_b32_e32 v20, v22, v21, vcc
	v_add_u32_e32 v22, 20, v28
	v_lshlrev_b64 v[34:35], v22, -1
	v_mov_b32_e32 v21, v51
	v_add_u32_e32 v22, 19, v28
	v_bfi_b32 v34, v34, 0, v20
	v_lshlrev_b64 v[36:37], v22, 1
	v_lshrrev_b64 v[20:21], v28, v[20:21]
	v_bfi_b32 v35, v35, 0, 0
	v_cmp_eq_u64_e64 s[20:21], v[34:35], v[36:37]
	v_mov_b32_e32 v22, v21
	v_mov_b32_e32 v21, v20
	s_and_saveexec_b64 s[94:95], s[20:21]
; %bb.9831:                             ;   in Loop: Header=BB6_9457 Depth=2
	v_bfe_u32 v21, v20, 20, 1
	v_add_co_u32_e64 v21, s[20:21], v20, v21
	v_add_co_u32_e64 v21, s[20:21], -1, v21
; %bb.9832:                             ;   in Loop: Header=BB6_9457 Depth=2
	s_or_b64 exec, exec, s[94:95]
	v_add_u32_e32 v6, 0xffffff81, v6
	v_mov_b32_e32 v22, 0xffffff82
	v_cndmask_b32_e32 v6, v6, v22, vcc
	v_lshrrev_b32_e32 v22, 23, v20
	v_add3_u32 v28, v28, v6, v22
	v_add_u32_e32 v22, 6, v28
	v_and_b32_e32 v6, 0xfffff, v21
	v_add_u32_e32 v20, v6, v20
	v_mov_b32_e32 v21, v51
	v_cmp_ne_u32_e32 vcc, 0, v22
                                        ; implicit-def: $vgpr6
	s_and_saveexec_b64 s[20:21], vcc
	s_xor_b64 s[20:21], exec, s[20:21]
; %bb.9833:                             ;   in Loop: Header=BB6_9457 Depth=2
	v_cmp_lt_u64_e32 vcc, s[58:59], v[20:21]
	v_add_u32_e32 v6, 7, v28
	v_cndmask_b32_e32 v6, v22, v6, vcc
	v_cndmask_b32_e64 v22, 0, 1, vcc
	v_lshrrev_b64 v[20:21], v22, v[20:21]
; %bb.9834:                             ;   in Loop: Header=BB6_9457 Depth=2
	s_andn2_saveexec_b64 s[20:21], s[20:21]
; %bb.9835:                             ;   in Loop: Header=BB6_9457 Depth=2
	v_bfe_u32 v6, v20, 23, 1
; %bb.9836:                             ;   in Loop: Header=BB6_9457 Depth=2
	s_or_b64 exec, exec, s[20:21]
	v_lshrrev_b64 v[20:21], 20, v[20:21]
	v_cmp_gt_i32_e32 vcc, 16, v6
	v_cndmask_b32_e32 v21, 0, v21, vcc
	v_cndmask_b32_e32 v20, 7, v20, vcc
	v_cmp_eq_u32_e32 vcc, 0, v6
	v_min_i32_e32 v6, 15, v6
	v_cmp_eq_u64_e64 s[20:21], 0, v[20:21]
	v_lshlrev_b32_e32 v6, 3, v6
	v_and_b32_e32 v6, 0xf8, v6
	v_and_or_b32 v6, v20, 7, v6
	s_and_b64 s[20:21], vcc, s[20:21]
	v_cndmask_b32_e64 v6, v6, 0, s[20:21]
	v_or_b32_e32 v6, v6, v24
.LBB6_9837:                             ;   in Loop: Header=BB6_9457 Depth=2
	s_or_b64 exec, exec, s[92:93]
                                        ; implicit-def: $vgpr24
.LBB6_9838:                             ;   in Loop: Header=BB6_9457 Depth=2
	s_andn2_saveexec_b64 s[20:21], s[90:91]
; %bb.9839:                             ;   in Loop: Header=BB6_9457 Depth=2
	v_or_b32_e32 v6, 0x7e, v24
; %bb.9840:                             ;   in Loop: Header=BB6_9457 Depth=2
	s_or_b64 exec, exec, s[20:21]
                                        ; implicit-def: $vgpr20
.LBB6_9841:                             ;   in Loop: Header=BB6_9457 Depth=2
	s_andn2_saveexec_b64 s[20:21], s[88:89]
; %bb.9842:                             ;   in Loop: Header=BB6_9457 Depth=2
	v_or_b32_sdwa v6, v20, s39 dst_sel:DWORD dst_unused:UNUSED_PAD src0_sel:BYTE_3 src1_sel:DWORD
; %bb.9843:                             ;   in Loop: Header=BB6_9457 Depth=2
	s_or_b64 exec, exec, s[20:21]
	v_lshrrev_b16_e32 v20, 8, v7
	v_cmp_ne_u16_e32 vcc, 0, v20
	v_mov_b32_e32 v22, 0
	s_and_saveexec_b64 s[20:21], vcc
	s_cbranch_execz .LBB6_9849
; %bb.9844:                             ;   in Loop: Header=BB6_9457 Depth=2
	v_cmp_ne_u16_e32 vcc, s50, v20
	v_bfrev_b32_e32 v22, 1
	s_and_saveexec_b64 s[88:89], vcc
	s_cbranch_execz .LBB6_9848
; %bb.9845:                             ;   in Loop: Header=BB6_9457 Depth=2
	v_and_b32_e32 v21, 0x7f, v20
	v_cmp_ne_u32_e32 vcc, s39, v21
	v_mov_b32_e32 v22, 0x7f800001
	s_and_saveexec_b64 s[90:91], vcc
	s_cbranch_execz .LBB6_9847
; %bb.9846:                             ;   in Loop: Header=BB6_9457 Depth=2
	v_and_b32_e32 v22, 7, v20
	v_lshrrev_b32_e32 v24, 3, v21
	v_cmp_gt_u32_e32 vcc, 8, v21
	v_ffbh_u32_e32 v21, v22
	v_min_u32_e32 v28, 32, v21
	v_subrev_u32_e32 v21, 28, v28
	v_lshlrev_b64 v[20:21], v21, v[20:21]
	v_sub_u32_e32 v21, 29, v28
	v_and_b32_e32 v20, 7, v20
	v_cndmask_b32_e32 v21, v24, v21, vcc
	v_cndmask_b32_e32 v20, v22, v20, vcc
	v_lshlrev_b32_e32 v7, 16, v7
	v_lshlrev_b32_e32 v20, 20, v20
	v_and_b32_e32 v7, 0x80000000, v7
	v_lshl_add_u32 v21, v21, 23, v62
	v_or3_b32 v22, v7, v21, v20
.LBB6_9847:                             ;   in Loop: Header=BB6_9457 Depth=2
	s_or_b64 exec, exec, s[90:91]
.LBB6_9848:                             ;   in Loop: Header=BB6_9457 Depth=2
	s_or_b64 exec, exec, s[88:89]
.LBB6_9849:                             ;   in Loop: Header=BB6_9457 Depth=2
	s_or_b64 exec, exec, s[20:21]
	v_lshrrev_b16_e32 v20, 8, v10
	v_cmp_lt_i16_e32 vcc, s39, v20
	s_mov_b64 s[20:21], 0
	s_and_saveexec_b64 s[88:89], vcc
	s_xor_b64 s[88:89], exec, s[88:89]
	s_cbranch_execnz .LBB6_10229
; %bb.9850:                             ;   in Loop: Header=BB6_9457 Depth=2
	s_or_saveexec_b64 s[88:89], s[88:89]
	v_bfrev_b32_e32 v7, 1
	s_xor_b64 exec, exec, s[88:89]
	s_cbranch_execnz .LBB6_10232
.LBB6_9851:                             ;   in Loop: Header=BB6_9457 Depth=2
	s_or_b64 exec, exec, s[88:89]
	s_and_saveexec_b64 s[88:89], s[20:21]
	s_cbranch_execz .LBB6_9853
.LBB6_9852:                             ;   in Loop: Header=BB6_9457 Depth=2
	v_and_b32_e32 v7, 7, v20
	v_ffbh_u32_e32 v34, v7
	v_min_u32_e32 v36, 32, v34
	v_mov_b32_e32 v21, v51
	v_subrev_u32_e32 v34, 28, v36
	v_lshlrev_b64 v[34:35], v34, v[20:21]
	v_and_b32_e32 v24, 0x7f, v20
	v_bfe_u32 v28, v20, 3, 4
	v_sub_u32_e32 v21, 29, v36
	v_and_b32_e32 v34, 7, v34
	v_cmp_gt_u32_e32 vcc, 8, v24
	v_cndmask_b32_e32 v21, v28, v21, vcc
	v_cndmask_b32_e32 v7, v7, v34, vcc
	v_lshlrev_b32_e32 v20, 24, v20
	v_lshlrev_b32_e32 v7, 20, v7
	v_and_b32_e32 v20, 0x80000000, v20
	v_lshl_add_u32 v21, v21, 23, v62
	v_or3_b32 v7, v20, v21, v7
	v_cmp_ne_u32_e32 vcc, s39, v24
	v_mov_b32_e32 v20, 0x7f800001
	v_cndmask_b32_e32 v7, v20, v7, vcc
.LBB6_9853:                             ;   in Loop: Header=BB6_9457 Depth=2
	s_or_b64 exec, exec, s[88:89]
	v_add_f32_e32 v20, v22, v7
	v_and_b32_e32 v21, 0x7f800000, v20
	v_mov_b32_e32 v22, v51
	v_cmp_ne_u64_e32 vcc, s[46:47], v[21:22]
                                        ; implicit-def: $vgpr7
	s_and_saveexec_b64 s[20:21], vcc
	s_xor_b64 s[88:89], exec, s[20:21]
	s_cbranch_execz .LBB6_9867
; %bb.9854:                             ;   in Loop: Header=BB6_9457 Depth=2
	v_and_b32_e32 v21, 0x7fffffff, v20
	v_mov_b32_e32 v22, v51
	v_cmp_gt_u64_e32 vcc, s[56:57], v[21:22]
	v_and_b32_sdwa v24, v20, s50 dst_sel:DWORD dst_unused:UNUSED_PAD src0_sel:BYTE_3 src1_sel:DWORD
                                        ; implicit-def: $vgpr7
	s_and_saveexec_b64 s[20:21], vcc
	s_xor_b64 s[90:91], exec, s[20:21]
	s_cbranch_execz .LBB6_9864
; %bb.9855:                             ;   in Loop: Header=BB6_9457 Depth=2
	v_mov_b32_e32 v7, 0
	v_cmp_ne_u32_e32 vcc, 0, v20
	s_and_saveexec_b64 s[92:93], vcc
	s_cbranch_execz .LBB6_9863
; %bb.9856:                             ;   in Loop: Header=BB6_9457 Depth=2
	v_bfe_u32 v7, v20, 23, 8
	v_and_b32_e32 v21, 0x7fffff, v20
	v_cmp_gt_u32_e64 s[20:21], s51, v7
	v_sub_u32_e32 v20, 0x79, v7
	v_cmp_eq_u32_e32 vcc, 0, v7
	v_cndmask_b32_e64 v20, 0, v20, s[20:21]
	v_mov_b32_e32 v28, 0x78
	v_or_b32_e32 v22, 0x800000, v21
	v_cndmask_b32_e32 v28, v20, v28, vcc
	v_cndmask_b32_e32 v20, v22, v21, vcc
	v_add_u32_e32 v22, 20, v28
	v_lshlrev_b64 v[34:35], v22, -1
	v_mov_b32_e32 v21, v51
	v_add_u32_e32 v22, 19, v28
	v_bfi_b32 v34, v34, 0, v20
	v_lshlrev_b64 v[36:37], v22, 1
	v_lshrrev_b64 v[20:21], v28, v[20:21]
	v_bfi_b32 v35, v35, 0, 0
	v_cmp_eq_u64_e64 s[20:21], v[34:35], v[36:37]
	v_mov_b32_e32 v22, v21
	v_mov_b32_e32 v21, v20
	s_and_saveexec_b64 s[94:95], s[20:21]
; %bb.9857:                             ;   in Loop: Header=BB6_9457 Depth=2
	v_bfe_u32 v21, v20, 20, 1
	v_add_co_u32_e64 v21, s[20:21], v20, v21
	v_add_co_u32_e64 v21, s[20:21], -1, v21
; %bb.9858:                             ;   in Loop: Header=BB6_9457 Depth=2
	s_or_b64 exec, exec, s[94:95]
	v_add_u32_e32 v7, 0xffffff81, v7
	v_mov_b32_e32 v22, 0xffffff82
	v_cndmask_b32_e32 v7, v7, v22, vcc
	v_lshrrev_b32_e32 v22, 23, v20
	v_add3_u32 v28, v28, v7, v22
	v_add_u32_e32 v22, 6, v28
	v_and_b32_e32 v7, 0xfffff, v21
	v_add_u32_e32 v20, v7, v20
	v_mov_b32_e32 v21, v51
	v_cmp_ne_u32_e32 vcc, 0, v22
                                        ; implicit-def: $vgpr7
	s_and_saveexec_b64 s[20:21], vcc
	s_xor_b64 s[20:21], exec, s[20:21]
; %bb.9859:                             ;   in Loop: Header=BB6_9457 Depth=2
	v_cmp_lt_u64_e32 vcc, s[58:59], v[20:21]
	v_add_u32_e32 v7, 7, v28
	v_cndmask_b32_e32 v7, v22, v7, vcc
	v_cndmask_b32_e64 v22, 0, 1, vcc
	v_lshrrev_b64 v[20:21], v22, v[20:21]
; %bb.9860:                             ;   in Loop: Header=BB6_9457 Depth=2
	s_andn2_saveexec_b64 s[20:21], s[20:21]
; %bb.9861:                             ;   in Loop: Header=BB6_9457 Depth=2
	v_bfe_u32 v7, v20, 23, 1
; %bb.9862:                             ;   in Loop: Header=BB6_9457 Depth=2
	s_or_b64 exec, exec, s[20:21]
	v_lshrrev_b64 v[20:21], 20, v[20:21]
	v_cmp_gt_i32_e32 vcc, 16, v7
	v_cndmask_b32_e32 v21, 0, v21, vcc
	v_cndmask_b32_e32 v20, 7, v20, vcc
	v_cmp_eq_u32_e32 vcc, 0, v7
	v_min_i32_e32 v7, 15, v7
	v_cmp_eq_u64_e64 s[20:21], 0, v[20:21]
	v_lshlrev_b32_e32 v7, 3, v7
	v_and_b32_e32 v7, 0xf8, v7
	v_and_or_b32 v7, v20, 7, v7
	s_and_b64 s[20:21], vcc, s[20:21]
	v_cndmask_b32_e64 v7, v7, 0, s[20:21]
	v_or_b32_e32 v7, v7, v24
.LBB6_9863:                             ;   in Loop: Header=BB6_9457 Depth=2
	s_or_b64 exec, exec, s[92:93]
                                        ; implicit-def: $vgpr24
.LBB6_9864:                             ;   in Loop: Header=BB6_9457 Depth=2
	s_andn2_saveexec_b64 s[20:21], s[90:91]
; %bb.9865:                             ;   in Loop: Header=BB6_9457 Depth=2
	v_or_b32_e32 v7, 0x7e, v24
; %bb.9866:                             ;   in Loop: Header=BB6_9457 Depth=2
	s_or_b64 exec, exec, s[20:21]
                                        ; implicit-def: $vgpr20
.LBB6_9867:                             ;   in Loop: Header=BB6_9457 Depth=2
	s_andn2_saveexec_b64 s[20:21], s[88:89]
; %bb.9868:                             ;   in Loop: Header=BB6_9457 Depth=2
	v_or_b32_sdwa v7, v20, s39 dst_sel:DWORD dst_unused:UNUSED_PAD src0_sel:BYTE_3 src1_sel:DWORD
; %bb.9869:                             ;   in Loop: Header=BB6_9457 Depth=2
	s_or_b64 exec, exec, s[20:21]
	v_and_b32_sdwa v22, v50, s49 dst_sel:DWORD dst_unused:UNUSED_PAD src0_sel:WORD_1 src1_sel:DWORD
	v_lshrrev_b32_e32 v20, 16, v50
	v_cmp_ne_u16_e32 vcc, 0, v22
	v_mov_b32_e32 v21, 0
	s_and_saveexec_b64 s[20:21], vcc
	s_cbranch_execz .LBB6_9875
; %bb.9870:                             ;   in Loop: Header=BB6_9457 Depth=2
	v_cmp_ne_u16_e32 vcc, s50, v22
	v_bfrev_b32_e32 v21, 1
	s_and_saveexec_b64 s[88:89], vcc
	s_cbranch_execz .LBB6_9874
; %bb.9871:                             ;   in Loop: Header=BB6_9457 Depth=2
	v_bfe_u32 v22, v50, 16, 7
	v_cmp_ne_u32_e32 vcc, s39, v22
	v_mov_b32_e32 v21, 0x7f800001
	s_and_saveexec_b64 s[90:91], vcc
	s_cbranch_execz .LBB6_9873
; %bb.9872:                             ;   in Loop: Header=BB6_9457 Depth=2
	v_and_b32_e32 v24, 7, v20
	v_ffbh_u32_e32 v21, v24
	v_lshrrev_b32_e32 v28, 3, v22
	v_cmp_gt_u32_e32 vcc, 8, v22
	v_min_u32_e32 v22, 32, v21
	v_subrev_u32_e32 v21, 28, v22
	v_lshlrev_b64 v[20:21], v21, v[20:21]
	v_sub_u32_e32 v21, 29, v22
	v_and_b32_e32 v20, 7, v20
	v_mov_b32_e32 v22, 24
	v_cndmask_b32_e32 v21, v28, v21, vcc
	v_cndmask_b32_e32 v20, v24, v20, vcc
	v_lshlrev_b32_sdwa v22, v22, v50 dst_sel:DWORD dst_unused:UNUSED_PAD src0_sel:DWORD src1_sel:WORD_1
	v_lshlrev_b32_e32 v20, 20, v20
	v_and_b32_e32 v22, 0x80000000, v22
	v_lshl_add_u32 v21, v21, 23, v62
	v_or3_b32 v21, v22, v21, v20
.LBB6_9873:                             ;   in Loop: Header=BB6_9457 Depth=2
	s_or_b64 exec, exec, s[90:91]
.LBB6_9874:                             ;   in Loop: Header=BB6_9457 Depth=2
	s_or_b64 exec, exec, s[88:89]
.LBB6_9875:                             ;   in Loop: Header=BB6_9457 Depth=2
	s_or_b64 exec, exec, s[20:21]
	v_lshrrev_b32_e32 v20, 16, v10
	v_cmp_gt_i16_sdwa s[88:89], v20, s39 src0_sel:BYTE_0 src1_sel:DWORD
	s_mov_b64 s[20:21], 0
	s_and_saveexec_b64 s[90:91], s[88:89]
	s_xor_b64 s[88:89], exec, s[90:91]
	s_cbranch_execnz .LBB6_10233
; %bb.9876:                             ;   in Loop: Header=BB6_9457 Depth=2
	s_or_saveexec_b64 s[88:89], s[88:89]
	v_bfrev_b32_e32 v22, 1
	s_xor_b64 exec, exec, s[88:89]
	s_cbranch_execnz .LBB6_10236
.LBB6_9877:                             ;   in Loop: Header=BB6_9457 Depth=2
	s_or_b64 exec, exec, s[88:89]
	s_and_saveexec_b64 s[88:89], s[20:21]
	s_cbranch_execz .LBB6_9879
.LBB6_9878:                             ;   in Loop: Header=BB6_9457 Depth=2
	v_and_b32_e32 v22, 7, v20
	v_ffbh_u32_e32 v34, v22
	v_min_u32_e32 v36, 32, v34
	v_subrev_u32_e32 v34, 28, v36
	v_lshlrev_b64 v[34:35], v34, v[20:21]
	v_and_b32_e32 v24, 0x7f, v20
	v_bfe_u32 v28, v20, 3, 4
	v_sub_u32_e32 v35, 29, v36
	v_and_b32_e32 v34, 7, v34
	v_cmp_gt_u32_e32 vcc, 8, v24
	v_cndmask_b32_e32 v28, v28, v35, vcc
	v_cndmask_b32_e32 v22, v22, v34, vcc
	v_lshlrev_b32_e32 v20, 24, v20
	v_lshlrev_b32_e32 v22, 20, v22
	v_and_b32_e32 v20, 0x80000000, v20
	v_lshl_add_u32 v28, v28, 23, v62
	v_or3_b32 v20, v20, v28, v22
	v_cmp_ne_u32_e32 vcc, s39, v24
	v_mov_b32_e32 v22, 0x7f800001
	v_cndmask_b32_e32 v22, v22, v20, vcc
.LBB6_9879:                             ;   in Loop: Header=BB6_9457 Depth=2
	s_or_b64 exec, exec, s[88:89]
	v_add_f32_e32 v20, v21, v22
	v_and_b32_e32 v21, 0x7f800000, v20
	v_mov_b32_e32 v22, v51
	v_cmp_ne_u64_e32 vcc, s[46:47], v[21:22]
                                        ; implicit-def: $vgpr24
	s_and_saveexec_b64 s[20:21], vcc
	s_xor_b64 s[88:89], exec, s[20:21]
	s_cbranch_execz .LBB6_9893
; %bb.9880:                             ;   in Loop: Header=BB6_9457 Depth=2
	v_and_b32_e32 v21, 0x7fffffff, v20
	v_mov_b32_e32 v22, v51
	v_cmp_gt_u64_e32 vcc, s[56:57], v[21:22]
	v_and_b32_sdwa v28, v20, s50 dst_sel:DWORD dst_unused:UNUSED_PAD src0_sel:BYTE_3 src1_sel:DWORD
                                        ; implicit-def: $vgpr24
	s_and_saveexec_b64 s[20:21], vcc
	s_xor_b64 s[90:91], exec, s[20:21]
	s_cbranch_execz .LBB6_9890
; %bb.9881:                             ;   in Loop: Header=BB6_9457 Depth=2
	v_mov_b32_e32 v24, 0
	v_cmp_ne_u32_e32 vcc, 0, v20
	s_and_saveexec_b64 s[92:93], vcc
	s_cbranch_execz .LBB6_9889
; %bb.9882:                             ;   in Loop: Header=BB6_9457 Depth=2
	v_bfe_u32 v24, v20, 23, 8
	v_and_b32_e32 v21, 0x7fffff, v20
	v_cmp_gt_u32_e64 s[20:21], s51, v24
	v_sub_u32_e32 v20, 0x79, v24
	v_cmp_eq_u32_e32 vcc, 0, v24
	v_cndmask_b32_e64 v20, 0, v20, s[20:21]
	v_mov_b32_e32 v34, 0x78
	v_or_b32_e32 v22, 0x800000, v21
	v_cndmask_b32_e32 v34, v20, v34, vcc
	v_cndmask_b32_e32 v20, v22, v21, vcc
	v_add_u32_e32 v22, 20, v34
	v_lshlrev_b64 v[35:36], v22, -1
	v_mov_b32_e32 v21, v51
	v_add_u32_e32 v22, 19, v34
	v_bfi_b32 v35, v35, 0, v20
	v_lshlrev_b64 v[37:38], v22, 1
	v_lshrrev_b64 v[20:21], v34, v[20:21]
	v_bfi_b32 v36, v36, 0, 0
	v_cmp_eq_u64_e64 s[20:21], v[35:36], v[37:38]
	v_mov_b32_e32 v22, v21
	v_mov_b32_e32 v21, v20
	s_and_saveexec_b64 s[94:95], s[20:21]
; %bb.9883:                             ;   in Loop: Header=BB6_9457 Depth=2
	v_bfe_u32 v21, v20, 20, 1
	v_add_co_u32_e64 v21, s[20:21], v20, v21
	v_add_co_u32_e64 v21, s[20:21], -1, v21
; %bb.9884:                             ;   in Loop: Header=BB6_9457 Depth=2
	s_or_b64 exec, exec, s[94:95]
	v_add_u32_e32 v22, 0xffffff81, v24
	v_mov_b32_e32 v24, 0xffffff82
	v_cndmask_b32_e32 v22, v22, v24, vcc
	v_lshrrev_b32_e32 v24, 23, v20
	v_add3_u32 v34, v34, v22, v24
	v_add_u32_e32 v24, 6, v34
	v_and_b32_e32 v21, 0xfffff, v21
	v_add_u32_e32 v20, v21, v20
	v_mov_b32_e32 v21, v51
	v_cmp_ne_u32_e32 vcc, 0, v24
                                        ; implicit-def: $vgpr22
	s_and_saveexec_b64 s[20:21], vcc
	s_xor_b64 s[20:21], exec, s[20:21]
; %bb.9885:                             ;   in Loop: Header=BB6_9457 Depth=2
	v_cmp_lt_u64_e32 vcc, s[58:59], v[20:21]
	v_add_u32_e32 v22, 7, v34
	v_cndmask_b32_e32 v22, v24, v22, vcc
	v_cndmask_b32_e64 v24, 0, 1, vcc
	v_lshrrev_b64 v[20:21], v24, v[20:21]
; %bb.9886:                             ;   in Loop: Header=BB6_9457 Depth=2
	s_andn2_saveexec_b64 s[20:21], s[20:21]
; %bb.9887:                             ;   in Loop: Header=BB6_9457 Depth=2
	v_bfe_u32 v22, v20, 23, 1
; %bb.9888:                             ;   in Loop: Header=BB6_9457 Depth=2
	s_or_b64 exec, exec, s[20:21]
	v_lshrrev_b64 v[20:21], 20, v[20:21]
	v_cmp_gt_i32_e32 vcc, 16, v22
	v_cndmask_b32_e32 v21, 0, v21, vcc
	v_cndmask_b32_e32 v20, 7, v20, vcc
	v_cmp_eq_u64_e64 s[20:21], 0, v[20:21]
	v_min_i32_e32 v21, 15, v22
	v_lshlrev_b32_e32 v21, 3, v21
	v_cmp_eq_u32_e32 vcc, 0, v22
	v_and_b32_e32 v21, 0xf8, v21
	v_and_or_b32 v20, v20, 7, v21
	s_and_b64 s[20:21], vcc, s[20:21]
	v_cndmask_b32_e64 v20, v20, 0, s[20:21]
	v_or_b32_e32 v24, v20, v28
.LBB6_9889:                             ;   in Loop: Header=BB6_9457 Depth=2
	s_or_b64 exec, exec, s[92:93]
                                        ; implicit-def: $vgpr28
.LBB6_9890:                             ;   in Loop: Header=BB6_9457 Depth=2
	s_andn2_saveexec_b64 s[20:21], s[90:91]
; %bb.9891:                             ;   in Loop: Header=BB6_9457 Depth=2
	v_or_b32_e32 v24, 0x7e, v28
; %bb.9892:                             ;   in Loop: Header=BB6_9457 Depth=2
	s_or_b64 exec, exec, s[20:21]
                                        ; implicit-def: $vgpr20
.LBB6_9893:                             ;   in Loop: Header=BB6_9457 Depth=2
	s_andn2_saveexec_b64 s[20:21], s[88:89]
; %bb.9894:                             ;   in Loop: Header=BB6_9457 Depth=2
	v_or_b32_sdwa v24, v20, s39 dst_sel:DWORD dst_unused:UNUSED_PAD src0_sel:BYTE_3 src1_sel:DWORD
; %bb.9895:                             ;   in Loop: Header=BB6_9457 Depth=2
	s_or_b64 exec, exec, s[20:21]
	v_cmp_lt_u32_e32 vcc, s61, v50
	v_mov_b32_e32 v21, 0
	s_and_saveexec_b64 s[20:21], vcc
	s_cbranch_execz .LBB6_9901
; %bb.9896:                             ;   in Loop: Header=BB6_9457 Depth=2
	v_lshrrev_b32_e32 v20, 24, v50
	v_cmp_ne_u32_e32 vcc, s50, v20
	v_bfrev_b32_e32 v21, 1
	s_and_saveexec_b64 s[88:89], vcc
	s_cbranch_execz .LBB6_9900
; %bb.9897:                             ;   in Loop: Header=BB6_9457 Depth=2
	v_bfe_u32 v22, v50, 24, 7
	v_cmp_ne_u32_e32 vcc, s39, v22
	v_mov_b32_e32 v21, 0x7f800001
	s_and_saveexec_b64 s[90:91], vcc
	s_cbranch_execz .LBB6_9899
; %bb.9898:                             ;   in Loop: Header=BB6_9457 Depth=2
	v_and_b32_e32 v28, 7, v20
	v_ffbh_u32_e32 v21, v28
	v_min_u32_e32 v35, 32, v21
	v_subrev_u32_e32 v21, 28, v35
	v_lshrrev_b32_e32 v34, 3, v22
	v_cmp_gt_u32_e32 vcc, 8, v22
	v_lshlrev_b64 v[21:22], v21, v[20:21]
	v_sub_u32_e32 v22, 29, v35
	v_and_b32_e32 v21, 7, v21
	v_cndmask_b32_e32 v22, v34, v22, vcc
	v_cndmask_b32_e32 v21, v28, v21, vcc
	v_lshlrev_b32_e32 v20, 24, v20
	v_lshlrev_b32_e32 v21, 20, v21
	v_and_b32_e32 v20, 0x80000000, v20
	v_lshl_add_u32 v22, v22, 23, v62
	v_or3_b32 v21, v20, v22, v21
.LBB6_9899:                             ;   in Loop: Header=BB6_9457 Depth=2
	s_or_b64 exec, exec, s[90:91]
.LBB6_9900:                             ;   in Loop: Header=BB6_9457 Depth=2
	s_or_b64 exec, exec, s[88:89]
.LBB6_9901:                             ;   in Loop: Header=BB6_9457 Depth=2
	s_or_b64 exec, exec, s[20:21]
	v_bfe_u32 v22, v10, 24, 3
	v_ffbh_u32_e32 v34, v22
	v_min_u32_e32 v37, 32, v34
	v_lshrrev_b32_e32 v20, 24, v10
	v_subrev_u32_e32 v34, 28, v37
	v_lshlrev_b64 v[34:35], v34, v[20:21]
	v_bfe_u32 v28, v10, 24, 7
	v_bfe_u32 v36, v20, 3, 4
	v_sub_u32_e32 v35, 29, v37
	v_and_b32_e32 v34, 7, v34
	v_cmp_gt_u32_e32 vcc, 8, v28
	v_cndmask_b32_e32 v35, v36, v35, vcc
	v_cndmask_b32_e32 v22, v22, v34, vcc
	v_lshlrev_b32_e32 v22, 20, v22
	v_and_b32_e32 v34, 0x80000000, v10
	v_lshl_add_u32 v35, v35, 23, v62
	v_or3_b32 v22, v34, v35, v22
	v_cmp_ne_u32_e32 vcc, s39, v28
	v_mov_b32_e32 v28, 0x7f800001
	v_cndmask_b32_e32 v22, v28, v22, vcc
	v_cmp_ne_u32_e32 vcc, s50, v20
	v_bfrev_b32_e32 v20, 1
	v_cndmask_b32_e32 v20, v20, v22, vcc
	v_cmp_lt_u32_e32 vcc, s61, v10
	v_cndmask_b32_e32 v20, 0, v20, vcc
	v_add_f32_e32 v20, v20, v21
	v_and_b32_e32 v50, 0x7f800000, v20
	v_cmp_ne_u64_e32 vcc, s[46:47], v[50:51]
                                        ; implicit-def: $vgpr28
	s_and_saveexec_b64 s[20:21], vcc
	s_xor_b64 s[88:89], exec, s[20:21]
	s_cbranch_execz .LBB6_9915
; %bb.9902:                             ;   in Loop: Header=BB6_9457 Depth=2
	v_and_b32_e32 v50, 0x7fffffff, v20
	v_cmp_gt_u64_e32 vcc, s[56:57], v[50:51]
	v_and_b32_sdwa v34, v20, s50 dst_sel:DWORD dst_unused:UNUSED_PAD src0_sel:BYTE_3 src1_sel:DWORD
                                        ; implicit-def: $vgpr28
	s_and_saveexec_b64 s[20:21], vcc
	s_xor_b64 s[90:91], exec, s[20:21]
	s_cbranch_execz .LBB6_9912
; %bb.9903:                             ;   in Loop: Header=BB6_9457 Depth=2
	v_mov_b32_e32 v28, 0
	v_cmp_ne_u32_e32 vcc, 0, v20
	s_and_saveexec_b64 s[92:93], vcc
	s_cbranch_execz .LBB6_9911
; %bb.9904:                             ;   in Loop: Header=BB6_9457 Depth=2
	v_bfe_u32 v28, v20, 23, 8
	v_and_b32_e32 v21, 0x7fffff, v20
	v_cmp_gt_u32_e64 s[20:21], s51, v28
	v_sub_u32_e32 v20, 0x79, v28
	v_cmp_eq_u32_e32 vcc, 0, v28
	v_cndmask_b32_e64 v20, 0, v20, s[20:21]
	v_mov_b32_e32 v35, 0x78
	v_cndmask_b32_e32 v35, v20, v35, vcc
	v_or_b32_e32 v22, 0x800000, v21
	v_add_u32_e32 v20, 20, v35
	v_cndmask_b32_e32 v50, v22, v21, vcc
	v_lshlrev_b64 v[20:21], v20, -1
	v_add_u32_e32 v22, 19, v35
	v_lshlrev_b64 v[36:37], v22, 1
	v_bfi_b32 v21, v21, 0, 0
	v_bfi_b32 v20, v20, 0, v50
	v_cmp_eq_u64_e64 s[20:21], v[20:21], v[36:37]
	v_lshrrev_b64 v[20:21], v35, v[50:51]
	v_mov_b32_e32 v22, v21
	v_mov_b32_e32 v21, v20
	s_and_saveexec_b64 s[94:95], s[20:21]
; %bb.9905:                             ;   in Loop: Header=BB6_9457 Depth=2
	v_bfe_u32 v21, v20, 20, 1
	v_add_co_u32_e64 v21, s[20:21], v20, v21
	v_add_co_u32_e64 v21, s[20:21], -1, v21
; %bb.9906:                             ;   in Loop: Header=BB6_9457 Depth=2
	s_or_b64 exec, exec, s[94:95]
	v_add_u32_e32 v22, 0xffffff81, v28
	v_mov_b32_e32 v28, 0xffffff82
	v_cndmask_b32_e32 v22, v22, v28, vcc
	v_lshrrev_b32_e32 v28, 23, v20
	v_add3_u32 v35, v35, v22, v28
	v_add_u32_e32 v28, 6, v35
	v_and_b32_e32 v21, 0xfffff, v21
	v_add_u32_e32 v50, v21, v20
	v_cmp_ne_u32_e32 vcc, 0, v28
                                        ; implicit-def: $vgpr20_vgpr21
                                        ; implicit-def: $vgpr22
	s_and_saveexec_b64 s[20:21], vcc
	s_xor_b64 s[20:21], exec, s[20:21]
; %bb.9907:                             ;   in Loop: Header=BB6_9457 Depth=2
	v_cmp_lt_u64_e32 vcc, s[58:59], v[50:51]
	v_add_u32_e32 v20, 7, v35
	v_cndmask_b32_e32 v22, v28, v20, vcc
	v_cndmask_b32_e64 v20, 0, 1, vcc
	v_lshrrev_b64 v[20:21], v20, v[50:51]
; %bb.9908:                             ;   in Loop: Header=BB6_9457 Depth=2
	s_andn2_saveexec_b64 s[20:21], s[20:21]
; %bb.9909:                             ;   in Loop: Header=BB6_9457 Depth=2
	v_mov_b32_e32 v20, v50
	v_bfe_u32 v22, v50, 23, 1
	v_mov_b32_e32 v21, v51
; %bb.9910:                             ;   in Loop: Header=BB6_9457 Depth=2
	s_or_b64 exec, exec, s[20:21]
	v_lshrrev_b64 v[20:21], 20, v[20:21]
	v_cmp_gt_i32_e32 vcc, 16, v22
	v_cndmask_b32_e32 v21, 0, v21, vcc
	v_cndmask_b32_e32 v20, 7, v20, vcc
	v_cmp_eq_u64_e64 s[20:21], 0, v[20:21]
	v_min_i32_e32 v21, 15, v22
	v_lshlrev_b32_e32 v21, 3, v21
	v_cmp_eq_u32_e32 vcc, 0, v22
	v_and_b32_e32 v21, 0xf8, v21
	v_and_or_b32 v20, v20, 7, v21
	s_and_b64 s[20:21], vcc, s[20:21]
	v_cndmask_b32_e64 v20, v20, 0, s[20:21]
	v_or_b32_e32 v28, v20, v34
.LBB6_9911:                             ;   in Loop: Header=BB6_9457 Depth=2
	s_or_b64 exec, exec, s[92:93]
                                        ; implicit-def: $vgpr34
.LBB6_9912:                             ;   in Loop: Header=BB6_9457 Depth=2
	s_andn2_saveexec_b64 s[20:21], s[90:91]
; %bb.9913:                             ;   in Loop: Header=BB6_9457 Depth=2
	v_or_b32_e32 v28, 0x7e, v34
; %bb.9914:                             ;   in Loop: Header=BB6_9457 Depth=2
	s_or_b64 exec, exec, s[20:21]
                                        ; implicit-def: $vgpr20
.LBB6_9915:                             ;   in Loop: Header=BB6_9457 Depth=2
	s_andn2_saveexec_b64 s[20:21], s[88:89]
; %bb.9916:                             ;   in Loop: Header=BB6_9457 Depth=2
	v_or_b32_sdwa v28, v20, s39 dst_sel:DWORD dst_unused:UNUSED_PAD src0_sel:BYTE_3 src1_sel:DWORD
; %bb.9917:                             ;   in Loop: Header=BB6_9457 Depth=2
	s_or_b64 exec, exec, s[20:21]
	v_lshl_or_b32 v30, v30, 8, v23
	v_lshlrev_b32_e32 v20, 16, v32
	v_lshlrev_b32_e32 v21, 24, v33
	v_or3_b32 v50, v20, v21, v30
	v_cmp_ne_u32_e32 vcc, 0, v23
	v_mov_b32_e32 v22, 0
	s_and_saveexec_b64 s[20:21], vcc
	s_cbranch_execz .LBB6_9923
; %bb.9918:                             ;   in Loop: Header=BB6_9457 Depth=2
	v_cmp_ne_u32_e32 vcc, s50, v23
	v_bfrev_b32_e32 v22, 1
	s_and_saveexec_b64 s[88:89], vcc
	s_cbranch_execz .LBB6_9922
; %bb.9919:                             ;   in Loop: Header=BB6_9457 Depth=2
	v_and_b32_e32 v20, 0x7f, v23
	v_cmp_ne_u32_e32 vcc, s39, v20
	v_mov_b32_e32 v22, 0x7f800001
	s_and_saveexec_b64 s[90:91], vcc
	s_cbranch_execz .LBB6_9921
; %bb.9920:                             ;   in Loop: Header=BB6_9457 Depth=2
	v_and_b32_e32 v21, 7, v23
	v_lshrrev_b32_e32 v22, 3, v20
	v_cmp_gt_u32_e32 vcc, 8, v20
	v_ffbh_u32_e32 v20, v21
	v_min_u32_e32 v20, 32, v20
	v_subrev_u32_e32 v21, 28, v20
	v_sub_u32_e32 v20, 29, v20
	v_cndmask_b32_e32 v22, v22, v20, vcc
	v_cndmask_b32_e32 v20, 0, v21, vcc
	v_lshlrev_b64 v[20:21], v20, v[50:51]
	v_lshlrev_b32_e32 v21, 24, v50
	v_lshlrev_b32_e32 v20, 20, v20
	v_and_b32_e32 v20, 0x700000, v20
	v_and_b32_e32 v21, 0x80000000, v21
	v_lshl_add_u32 v22, v22, 23, v62
	v_or3_b32 v22, v21, v22, v20
.LBB6_9921:                             ;   in Loop: Header=BB6_9457 Depth=2
	s_or_b64 exec, exec, s[90:91]
.LBB6_9922:                             ;   in Loop: Header=BB6_9457 Depth=2
	s_or_b64 exec, exec, s[88:89]
.LBB6_9923:                             ;   in Loop: Header=BB6_9457 Depth=2
	s_or_b64 exec, exec, s[20:21]
	v_cmp_gt_i16_sdwa s[88:89], v11, s39 src0_sel:BYTE_0 src1_sel:DWORD
	s_mov_b64 s[20:21], 0
	s_and_saveexec_b64 s[90:91], s[88:89]
	s_xor_b64 s[88:89], exec, s[90:91]
	s_cbranch_execz .LBB6_9927
; %bb.9924:                             ;   in Loop: Header=BB6_9457 Depth=2
	v_cmp_eq_u16_sdwa s[92:93], v11, s50 src0_sel:BYTE_0 src1_sel:DWORD
	s_mov_b64 s[20:21], -1
	s_and_saveexec_b64 s[90:91], s[92:93]
; %bb.9925:                             ;   in Loop: Header=BB6_9457 Depth=2
	s_xor_b64 s[20:21], exec, -1
; %bb.9926:                             ;   in Loop: Header=BB6_9457 Depth=2
	s_or_b64 exec, exec, s[90:91]
	s_and_b64 s[20:21], s[20:21], exec
.LBB6_9927:                             ;   in Loop: Header=BB6_9457 Depth=2
	s_or_saveexec_b64 s[88:89], s[88:89]
	v_bfrev_b32_e32 v23, 1
	s_xor_b64 exec, exec, s[88:89]
; %bb.9928:                             ;   in Loop: Header=BB6_9457 Depth=2
	v_cmp_ne_u16_sdwa s[90:91], v11, v51 src0_sel:BYTE_0 src1_sel:DWORD
	s_andn2_b64 s[20:21], s[20:21], exec
	s_and_b64 s[90:91], s[90:91], exec
	v_mov_b32_e32 v23, 0
	s_or_b64 s[20:21], s[20:21], s[90:91]
; %bb.9929:                             ;   in Loop: Header=BB6_9457 Depth=2
	s_or_b64 exec, exec, s[88:89]
	v_mov_b32_e32 v20, v11
	v_mov_b32_e32 v21, v51
	s_and_saveexec_b64 s[88:89], s[20:21]
	s_cbranch_execz .LBB6_9931
; %bb.9930:                             ;   in Loop: Header=BB6_9457 Depth=2
	v_and_b32_e32 v23, 7, v11
	v_ffbh_u32_e32 v23, v23
	v_and_b32_e32 v34, 0x7f, v11
	v_min_u32_e32 v23, 32, v23
	v_bfe_u32 v32, v11, 3, 4
	v_subrev_u32_e32 v33, 28, v23
	v_sub_u32_e32 v23, 29, v23
	v_cmp_gt_u32_e32 vcc, 8, v34
	v_cndmask_b32_e32 v23, v32, v23, vcc
	v_cndmask_b32_e32 v32, 0, v33, vcc
	v_lshlrev_b64 v[32:33], v32, v[20:21]
	v_lshl_add_u32 v23, v23, 23, v62
	v_lshlrev_b32_e32 v21, 20, v32
	v_lshlrev_b32_e32 v32, 24, v20
	v_and_b32_e32 v21, 0x700000, v21
	v_and_b32_e32 v32, 0x80000000, v32
	v_or3_b32 v21, v32, v23, v21
	v_cmp_ne_u32_e32 vcc, s39, v34
	v_mov_b32_e32 v23, 0x7f800001
	v_cndmask_b32_e32 v23, v23, v21, vcc
.LBB6_9931:                             ;   in Loop: Header=BB6_9457 Depth=2
	s_or_b64 exec, exec, s[88:89]
	v_add_f32_e32 v21, v22, v23
	v_and_b32_e32 v22, 0x7f800000, v21
	v_mov_b32_e32 v23, v51
	v_cmp_ne_u64_e32 vcc, s[46:47], v[22:23]
                                        ; implicit-def: $vgpr23
	s_and_saveexec_b64 s[20:21], vcc
	s_xor_b64 s[88:89], exec, s[20:21]
	s_cbranch_execz .LBB6_9945
; %bb.9932:                             ;   in Loop: Header=BB6_9457 Depth=2
	v_and_b32_e32 v22, 0x7fffffff, v21
	v_mov_b32_e32 v23, v51
	v_cmp_gt_u64_e32 vcc, s[56:57], v[22:23]
	v_and_b32_sdwa v32, v21, s50 dst_sel:DWORD dst_unused:UNUSED_PAD src0_sel:BYTE_3 src1_sel:DWORD
                                        ; implicit-def: $vgpr23
	s_and_saveexec_b64 s[20:21], vcc
	s_xor_b64 s[90:91], exec, s[20:21]
	s_cbranch_execz .LBB6_9942
; %bb.9933:                             ;   in Loop: Header=BB6_9457 Depth=2
	v_mov_b32_e32 v23, 0
	v_cmp_ne_u32_e32 vcc, 0, v21
	s_and_saveexec_b64 s[92:93], vcc
	s_cbranch_execz .LBB6_9941
; %bb.9934:                             ;   in Loop: Header=BB6_9457 Depth=2
	v_bfe_u32 v33, v21, 23, 8
	v_and_b32_e32 v22, 0x7fffff, v21
	v_cmp_gt_u32_e64 s[20:21], s51, v33
	v_sub_u32_e32 v21, 0x79, v33
	v_cmp_eq_u32_e32 vcc, 0, v33
	v_cndmask_b32_e64 v21, 0, v21, s[20:21]
	v_mov_b32_e32 v34, 0x78
	v_or_b32_e32 v23, 0x800000, v22
	v_cndmask_b32_e32 v34, v21, v34, vcc
	v_cndmask_b32_e32 v21, v23, v22, vcc
	v_add_u32_e32 v23, 20, v34
	v_lshlrev_b64 v[35:36], v23, -1
	v_mov_b32_e32 v22, v51
	v_add_u32_e32 v23, 19, v34
	v_bfi_b32 v35, v35, 0, v21
	v_lshlrev_b64 v[37:38], v23, 1
	v_lshrrev_b64 v[21:22], v34, v[21:22]
	v_bfi_b32 v36, v36, 0, 0
	v_cmp_eq_u64_e64 s[20:21], v[35:36], v[37:38]
	v_mov_b32_e32 v23, v22
	v_mov_b32_e32 v22, v21
	s_and_saveexec_b64 s[94:95], s[20:21]
; %bb.9935:                             ;   in Loop: Header=BB6_9457 Depth=2
	v_bfe_u32 v22, v21, 20, 1
	v_add_co_u32_e64 v22, s[20:21], v21, v22
	v_add_co_u32_e64 v22, s[20:21], -1, v22
; %bb.9936:                             ;   in Loop: Header=BB6_9457 Depth=2
	s_or_b64 exec, exec, s[94:95]
	v_add_u32_e32 v23, 0xffffff81, v33
	v_mov_b32_e32 v33, 0xffffff82
	v_cndmask_b32_e32 v23, v23, v33, vcc
	v_lshrrev_b32_e32 v33, 23, v21
	v_add3_u32 v34, v34, v23, v33
	v_add_u32_e32 v33, 6, v34
	v_and_b32_e32 v22, 0xfffff, v22
	v_add_u32_e32 v21, v22, v21
	v_mov_b32_e32 v22, v51
	v_cmp_ne_u32_e32 vcc, 0, v33
                                        ; implicit-def: $vgpr23
	s_and_saveexec_b64 s[20:21], vcc
	s_xor_b64 s[20:21], exec, s[20:21]
; %bb.9937:                             ;   in Loop: Header=BB6_9457 Depth=2
	v_cmp_lt_u64_e32 vcc, s[58:59], v[21:22]
	v_add_u32_e32 v23, 7, v34
	v_cndmask_b32_e32 v23, v33, v23, vcc
	v_cndmask_b32_e64 v33, 0, 1, vcc
	v_lshrrev_b64 v[21:22], v33, v[21:22]
; %bb.9938:                             ;   in Loop: Header=BB6_9457 Depth=2
	s_andn2_saveexec_b64 s[20:21], s[20:21]
; %bb.9939:                             ;   in Loop: Header=BB6_9457 Depth=2
	v_bfe_u32 v23, v21, 23, 1
; %bb.9940:                             ;   in Loop: Header=BB6_9457 Depth=2
	s_or_b64 exec, exec, s[20:21]
	v_lshrrev_b64 v[21:22], 20, v[21:22]
	v_cmp_gt_i32_e32 vcc, 16, v23
	v_cndmask_b32_e32 v22, 0, v22, vcc
	v_cndmask_b32_e32 v21, 7, v21, vcc
	v_cmp_eq_u64_e64 s[20:21], 0, v[21:22]
	v_min_i32_e32 v22, 15, v23
	v_lshlrev_b32_e32 v22, 3, v22
	v_cmp_eq_u32_e32 vcc, 0, v23
	v_and_b32_e32 v22, 0xf8, v22
	v_and_or_b32 v21, v21, 7, v22
	s_and_b64 s[20:21], vcc, s[20:21]
	v_cndmask_b32_e64 v21, v21, 0, s[20:21]
	v_or_b32_e32 v23, v21, v32
.LBB6_9941:                             ;   in Loop: Header=BB6_9457 Depth=2
	s_or_b64 exec, exec, s[92:93]
                                        ; implicit-def: $vgpr32
.LBB6_9942:                             ;   in Loop: Header=BB6_9457 Depth=2
	s_andn2_saveexec_b64 s[20:21], s[90:91]
; %bb.9943:                             ;   in Loop: Header=BB6_9457 Depth=2
	v_or_b32_e32 v23, 0x7e, v32
; %bb.9944:                             ;   in Loop: Header=BB6_9457 Depth=2
	s_or_b64 exec, exec, s[20:21]
                                        ; implicit-def: $vgpr21
.LBB6_9945:                             ;   in Loop: Header=BB6_9457 Depth=2
	s_andn2_saveexec_b64 s[20:21], s[88:89]
; %bb.9946:                             ;   in Loop: Header=BB6_9457 Depth=2
	v_or_b32_sdwa v23, v21, s39 dst_sel:DWORD dst_unused:UNUSED_PAD src0_sel:BYTE_3 src1_sel:DWORD
; %bb.9947:                             ;   in Loop: Header=BB6_9457 Depth=2
	s_or_b64 exec, exec, s[20:21]
	v_lshrrev_b16_e32 v21, 8, v30
	v_cmp_ne_u16_e32 vcc, 0, v21
	v_mov_b32_e32 v22, 0
	s_and_saveexec_b64 s[20:21], vcc
	s_cbranch_execz .LBB6_9953
; %bb.9948:                             ;   in Loop: Header=BB6_9457 Depth=2
	v_cmp_ne_u16_e32 vcc, s50, v21
	v_bfrev_b32_e32 v22, 1
	s_and_saveexec_b64 s[88:89], vcc
	s_cbranch_execz .LBB6_9952
; %bb.9949:                             ;   in Loop: Header=BB6_9457 Depth=2
	v_and_b32_e32 v32, 0x7f, v21
	v_cmp_ne_u32_e32 vcc, s39, v32
	v_mov_b32_e32 v22, 0x7f800001
	s_and_saveexec_b64 s[90:91], vcc
	s_cbranch_execz .LBB6_9951
; %bb.9950:                             ;   in Loop: Header=BB6_9457 Depth=2
	v_and_b32_e32 v33, 7, v21
	v_ffbh_u32_e32 v22, v33
	v_lshrrev_b32_e32 v34, 3, v32
	v_cmp_gt_u32_e32 vcc, 8, v32
	v_min_u32_e32 v32, 32, v22
	v_subrev_u32_e32 v22, 28, v32
	v_lshlrev_b64 v[21:22], v22, v[21:22]
	v_sub_u32_e32 v22, 29, v32
	v_and_b32_e32 v21, 7, v21
	v_cndmask_b32_e32 v22, v34, v22, vcc
	v_cndmask_b32_e32 v21, v33, v21, vcc
	v_lshlrev_b32_e32 v30, 16, v30
	v_lshlrev_b32_e32 v21, 20, v21
	v_and_b32_e32 v30, 0x80000000, v30
	v_lshl_add_u32 v22, v22, 23, v62
	v_or3_b32 v22, v30, v22, v21
.LBB6_9951:                             ;   in Loop: Header=BB6_9457 Depth=2
	s_or_b64 exec, exec, s[90:91]
.LBB6_9952:                             ;   in Loop: Header=BB6_9457 Depth=2
	s_or_b64 exec, exec, s[88:89]
.LBB6_9953:                             ;   in Loop: Header=BB6_9457 Depth=2
	s_or_b64 exec, exec, s[20:21]
	v_lshrrev_b16_e32 v20, 8, v20
	v_cmp_lt_i16_e32 vcc, s39, v20
	s_mov_b64 s[20:21], 0
	s_and_saveexec_b64 s[88:89], vcc
	s_xor_b64 s[88:89], exec, s[88:89]
	s_cbranch_execnz .LBB6_10237
; %bb.9954:                             ;   in Loop: Header=BB6_9457 Depth=2
	s_or_saveexec_b64 s[88:89], s[88:89]
	v_bfrev_b32_e32 v21, 1
	s_xor_b64 exec, exec, s[88:89]
	s_cbranch_execnz .LBB6_10240
.LBB6_9955:                             ;   in Loop: Header=BB6_9457 Depth=2
	s_or_b64 exec, exec, s[88:89]
	s_and_saveexec_b64 s[88:89], s[20:21]
	s_cbranch_execz .LBB6_9957
.LBB6_9956:                             ;   in Loop: Header=BB6_9457 Depth=2
	v_and_b32_e32 v30, 7, v20
	v_ffbh_u32_e32 v32, v30
	v_min_u32_e32 v36, 32, v32
	v_mov_b32_e32 v21, v51
	v_subrev_u32_e32 v32, 28, v36
	v_lshlrev_b64 v[32:33], v32, v[20:21]
	v_and_b32_e32 v34, 0x7f, v20
	v_bfe_u32 v35, v20, 3, 4
	v_sub_u32_e32 v21, 29, v36
	v_and_b32_e32 v32, 7, v32
	v_cmp_gt_u32_e32 vcc, 8, v34
	v_cndmask_b32_e32 v21, v35, v21, vcc
	v_cndmask_b32_e32 v30, v30, v32, vcc
	v_lshlrev_b32_e32 v20, 24, v20
	v_lshlrev_b32_e32 v30, 20, v30
	v_and_b32_e32 v20, 0x80000000, v20
	v_lshl_add_u32 v21, v21, 23, v62
	v_or3_b32 v20, v20, v21, v30
	v_cmp_ne_u32_e32 vcc, s39, v34
	v_mov_b32_e32 v21, 0x7f800001
	v_cndmask_b32_e32 v21, v21, v20, vcc
.LBB6_9957:                             ;   in Loop: Header=BB6_9457 Depth=2
	s_or_b64 exec, exec, s[88:89]
	v_add_f32_e32 v20, v22, v21
	v_and_b32_e32 v21, 0x7f800000, v20
	v_mov_b32_e32 v22, v51
	v_cmp_ne_u64_e32 vcc, s[46:47], v[21:22]
                                        ; implicit-def: $vgpr30
	s_and_saveexec_b64 s[20:21], vcc
	s_xor_b64 s[88:89], exec, s[20:21]
	s_cbranch_execz .LBB6_9971
; %bb.9958:                             ;   in Loop: Header=BB6_9457 Depth=2
	v_and_b32_e32 v21, 0x7fffffff, v20
	v_mov_b32_e32 v22, v51
	v_cmp_gt_u64_e32 vcc, s[56:57], v[21:22]
	v_and_b32_sdwa v32, v20, s50 dst_sel:DWORD dst_unused:UNUSED_PAD src0_sel:BYTE_3 src1_sel:DWORD
                                        ; implicit-def: $vgpr30
	s_and_saveexec_b64 s[20:21], vcc
	s_xor_b64 s[90:91], exec, s[20:21]
	s_cbranch_execz .LBB6_9968
; %bb.9959:                             ;   in Loop: Header=BB6_9457 Depth=2
	v_mov_b32_e32 v30, 0
	v_cmp_ne_u32_e32 vcc, 0, v20
	s_and_saveexec_b64 s[92:93], vcc
	s_cbranch_execz .LBB6_9967
; %bb.9960:                             ;   in Loop: Header=BB6_9457 Depth=2
	v_bfe_u32 v30, v20, 23, 8
	v_and_b32_e32 v21, 0x7fffff, v20
	v_cmp_gt_u32_e64 s[20:21], s51, v30
	v_sub_u32_e32 v20, 0x79, v30
	v_cmp_eq_u32_e32 vcc, 0, v30
	v_cndmask_b32_e64 v20, 0, v20, s[20:21]
	v_mov_b32_e32 v33, 0x78
	v_or_b32_e32 v22, 0x800000, v21
	v_cndmask_b32_e32 v33, v20, v33, vcc
	v_cndmask_b32_e32 v20, v22, v21, vcc
	v_add_u32_e32 v22, 20, v33
	v_lshlrev_b64 v[34:35], v22, -1
	v_mov_b32_e32 v21, v51
	v_add_u32_e32 v22, 19, v33
	v_bfi_b32 v34, v34, 0, v20
	v_lshlrev_b64 v[36:37], v22, 1
	v_lshrrev_b64 v[20:21], v33, v[20:21]
	v_bfi_b32 v35, v35, 0, 0
	v_cmp_eq_u64_e64 s[20:21], v[34:35], v[36:37]
	v_mov_b32_e32 v22, v21
	v_mov_b32_e32 v21, v20
	s_and_saveexec_b64 s[94:95], s[20:21]
; %bb.9961:                             ;   in Loop: Header=BB6_9457 Depth=2
	v_bfe_u32 v21, v20, 20, 1
	v_add_co_u32_e64 v21, s[20:21], v20, v21
	v_add_co_u32_e64 v21, s[20:21], -1, v21
; %bb.9962:                             ;   in Loop: Header=BB6_9457 Depth=2
	s_or_b64 exec, exec, s[94:95]
	v_add_u32_e32 v22, 0xffffff81, v30
	v_mov_b32_e32 v30, 0xffffff82
	v_cndmask_b32_e32 v22, v22, v30, vcc
	v_lshrrev_b32_e32 v30, 23, v20
	v_add3_u32 v33, v33, v22, v30
	v_add_u32_e32 v30, 6, v33
	v_and_b32_e32 v21, 0xfffff, v21
	v_add_u32_e32 v20, v21, v20
	v_mov_b32_e32 v21, v51
	v_cmp_ne_u32_e32 vcc, 0, v30
                                        ; implicit-def: $vgpr22
	s_and_saveexec_b64 s[20:21], vcc
	s_xor_b64 s[20:21], exec, s[20:21]
; %bb.9963:                             ;   in Loop: Header=BB6_9457 Depth=2
	v_cmp_lt_u64_e32 vcc, s[58:59], v[20:21]
	v_add_u32_e32 v22, 7, v33
	v_cndmask_b32_e32 v22, v30, v22, vcc
	v_cndmask_b32_e64 v30, 0, 1, vcc
	v_lshrrev_b64 v[20:21], v30, v[20:21]
; %bb.9964:                             ;   in Loop: Header=BB6_9457 Depth=2
	s_andn2_saveexec_b64 s[20:21], s[20:21]
; %bb.9965:                             ;   in Loop: Header=BB6_9457 Depth=2
	v_bfe_u32 v22, v20, 23, 1
; %bb.9966:                             ;   in Loop: Header=BB6_9457 Depth=2
	s_or_b64 exec, exec, s[20:21]
	v_lshrrev_b64 v[20:21], 20, v[20:21]
	v_cmp_gt_i32_e32 vcc, 16, v22
	v_cndmask_b32_e32 v21, 0, v21, vcc
	v_cndmask_b32_e32 v20, 7, v20, vcc
	v_cmp_eq_u64_e64 s[20:21], 0, v[20:21]
	v_min_i32_e32 v21, 15, v22
	v_lshlrev_b32_e32 v21, 3, v21
	v_cmp_eq_u32_e32 vcc, 0, v22
	v_and_b32_e32 v21, 0xf8, v21
	v_and_or_b32 v20, v20, 7, v21
	s_and_b64 s[20:21], vcc, s[20:21]
	v_cndmask_b32_e64 v20, v20, 0, s[20:21]
	v_or_b32_e32 v30, v20, v32
.LBB6_9967:                             ;   in Loop: Header=BB6_9457 Depth=2
	s_or_b64 exec, exec, s[92:93]
                                        ; implicit-def: $vgpr32
.LBB6_9968:                             ;   in Loop: Header=BB6_9457 Depth=2
	s_andn2_saveexec_b64 s[20:21], s[90:91]
; %bb.9969:                             ;   in Loop: Header=BB6_9457 Depth=2
	v_or_b32_e32 v30, 0x7e, v32
; %bb.9970:                             ;   in Loop: Header=BB6_9457 Depth=2
	s_or_b64 exec, exec, s[20:21]
                                        ; implicit-def: $vgpr20
.LBB6_9971:                             ;   in Loop: Header=BB6_9457 Depth=2
	s_andn2_saveexec_b64 s[20:21], s[88:89]
; %bb.9972:                             ;   in Loop: Header=BB6_9457 Depth=2
	v_or_b32_sdwa v30, v20, s39 dst_sel:DWORD dst_unused:UNUSED_PAD src0_sel:BYTE_3 src1_sel:DWORD
; %bb.9973:                             ;   in Loop: Header=BB6_9457 Depth=2
	s_or_b64 exec, exec, s[20:21]
	v_lshrrev_b32_e32 v20, 16, v50
	v_cmp_ne_u16_sdwa s[88:89], v20, v51 src0_sel:BYTE_0 src1_sel:DWORD
	v_mov_b32_e32 v21, 0
	s_and_saveexec_b64 s[20:21], s[88:89]
	s_cbranch_execz .LBB6_9979
; %bb.9974:                             ;   in Loop: Header=BB6_9457 Depth=2
	v_cmp_ne_u16_sdwa s[90:91], v20, s50 src0_sel:BYTE_0 src1_sel:DWORD
	v_bfrev_b32_e32 v21, 1
	s_and_saveexec_b64 s[88:89], s[90:91]
	s_cbranch_execz .LBB6_9978
; %bb.9975:                             ;   in Loop: Header=BB6_9457 Depth=2
	v_bfe_u32 v22, v50, 16, 7
	v_cmp_ne_u32_e32 vcc, s39, v22
	v_mov_b32_e32 v21, 0x7f800001
	s_and_saveexec_b64 s[90:91], vcc
	s_cbranch_execz .LBB6_9977
; %bb.9976:                             ;   in Loop: Header=BB6_9457 Depth=2
	v_and_b32_e32 v32, 7, v20
	v_ffbh_u32_e32 v21, v32
	v_min_u32_e32 v34, 32, v21
	v_subrev_u32_e32 v21, 28, v34
	v_lshrrev_b32_e32 v33, 3, v22
	v_cmp_gt_u32_e32 vcc, 8, v22
	v_lshlrev_b64 v[21:22], v21, v[20:21]
	v_sub_u32_e32 v22, 29, v34
	v_and_b32_e32 v21, 7, v21
	v_cndmask_b32_e32 v22, v33, v22, vcc
	v_cndmask_b32_e32 v21, v32, v21, vcc
	v_lshlrev_b32_e32 v20, 24, v20
	v_lshlrev_b32_e32 v21, 20, v21
	v_and_b32_e32 v20, 0x80000000, v20
	v_lshl_add_u32 v22, v22, 23, v62
	v_or3_b32 v21, v20, v22, v21
.LBB6_9977:                             ;   in Loop: Header=BB6_9457 Depth=2
	s_or_b64 exec, exec, s[90:91]
.LBB6_9978:                             ;   in Loop: Header=BB6_9457 Depth=2
	s_or_b64 exec, exec, s[88:89]
.LBB6_9979:                             ;   in Loop: Header=BB6_9457 Depth=2
	s_or_b64 exec, exec, s[20:21]
	v_lshrrev_b32_e32 v20, 16, v11
	v_cmp_gt_i16_sdwa s[88:89], v20, s39 src0_sel:BYTE_0 src1_sel:DWORD
	s_mov_b64 s[20:21], 0
	s_and_saveexec_b64 s[90:91], s[88:89]
	s_xor_b64 s[88:89], exec, s[90:91]
	s_cbranch_execnz .LBB6_10241
; %bb.9980:                             ;   in Loop: Header=BB6_9457 Depth=2
	s_or_saveexec_b64 s[88:89], s[88:89]
	v_bfrev_b32_e32 v22, 1
	s_xor_b64 exec, exec, s[88:89]
	s_cbranch_execnz .LBB6_10244
.LBB6_9981:                             ;   in Loop: Header=BB6_9457 Depth=2
	s_or_b64 exec, exec, s[88:89]
	s_and_saveexec_b64 s[88:89], s[20:21]
	s_cbranch_execz .LBB6_9983
.LBB6_9982:                             ;   in Loop: Header=BB6_9457 Depth=2
	v_and_b32_e32 v22, 7, v20
	v_ffbh_u32_e32 v32, v22
	v_min_u32_e32 v36, 32, v32
	v_subrev_u32_e32 v32, 28, v36
	v_lshlrev_b64 v[32:33], v32, v[20:21]
	v_and_b32_e32 v34, 0x7f, v20
	v_bfe_u32 v35, v20, 3, 4
	v_sub_u32_e32 v33, 29, v36
	v_and_b32_e32 v32, 7, v32
	v_cmp_gt_u32_e32 vcc, 8, v34
	v_cndmask_b32_e32 v33, v35, v33, vcc
	v_cndmask_b32_e32 v22, v22, v32, vcc
	v_lshlrev_b32_e32 v20, 24, v20
	v_lshlrev_b32_e32 v22, 20, v22
	v_and_b32_e32 v20, 0x80000000, v20
	v_lshl_add_u32 v32, v33, 23, v62
	v_or3_b32 v20, v20, v32, v22
	v_cmp_ne_u32_e32 vcc, s39, v34
	v_mov_b32_e32 v22, 0x7f800001
	v_cndmask_b32_e32 v22, v22, v20, vcc
.LBB6_9983:                             ;   in Loop: Header=BB6_9457 Depth=2
	s_or_b64 exec, exec, s[88:89]
	v_add_f32_e32 v20, v21, v22
	v_and_b32_e32 v21, 0x7f800000, v20
	v_mov_b32_e32 v22, v51
	v_cmp_ne_u64_e32 vcc, s[46:47], v[21:22]
                                        ; implicit-def: $vgpr32
	s_and_saveexec_b64 s[20:21], vcc
	s_xor_b64 s[88:89], exec, s[20:21]
	s_cbranch_execz .LBB6_9997
; %bb.9984:                             ;   in Loop: Header=BB6_9457 Depth=2
	v_and_b32_e32 v21, 0x7fffffff, v20
	v_mov_b32_e32 v22, v51
	v_cmp_gt_u64_e32 vcc, s[56:57], v[21:22]
	v_and_b32_sdwa v33, v20, s50 dst_sel:DWORD dst_unused:UNUSED_PAD src0_sel:BYTE_3 src1_sel:DWORD
                                        ; implicit-def: $vgpr32
	s_and_saveexec_b64 s[20:21], vcc
	s_xor_b64 s[90:91], exec, s[20:21]
	s_cbranch_execz .LBB6_9994
; %bb.9985:                             ;   in Loop: Header=BB6_9457 Depth=2
	v_mov_b32_e32 v32, 0
	v_cmp_ne_u32_e32 vcc, 0, v20
	s_and_saveexec_b64 s[92:93], vcc
	s_cbranch_execz .LBB6_9993
; %bb.9986:                             ;   in Loop: Header=BB6_9457 Depth=2
	v_bfe_u32 v32, v20, 23, 8
	v_and_b32_e32 v21, 0x7fffff, v20
	v_cmp_gt_u32_e64 s[20:21], s51, v32
	v_sub_u32_e32 v20, 0x79, v32
	v_cmp_eq_u32_e32 vcc, 0, v32
	v_cndmask_b32_e64 v20, 0, v20, s[20:21]
	v_mov_b32_e32 v34, 0x78
	v_or_b32_e32 v22, 0x800000, v21
	v_cndmask_b32_e32 v34, v20, v34, vcc
	v_cndmask_b32_e32 v20, v22, v21, vcc
	v_add_u32_e32 v22, 20, v34
	v_lshlrev_b64 v[35:36], v22, -1
	v_mov_b32_e32 v21, v51
	v_add_u32_e32 v22, 19, v34
	v_bfi_b32 v35, v35, 0, v20
	v_lshlrev_b64 v[37:38], v22, 1
	v_lshrrev_b64 v[20:21], v34, v[20:21]
	v_bfi_b32 v36, v36, 0, 0
	v_cmp_eq_u64_e64 s[20:21], v[35:36], v[37:38]
	v_mov_b32_e32 v22, v21
	v_mov_b32_e32 v21, v20
	s_and_saveexec_b64 s[94:95], s[20:21]
; %bb.9987:                             ;   in Loop: Header=BB6_9457 Depth=2
	v_bfe_u32 v21, v20, 20, 1
	v_add_co_u32_e64 v21, s[20:21], v20, v21
	v_add_co_u32_e64 v21, s[20:21], -1, v21
; %bb.9988:                             ;   in Loop: Header=BB6_9457 Depth=2
	s_or_b64 exec, exec, s[94:95]
	v_add_u32_e32 v22, 0xffffff81, v32
	v_mov_b32_e32 v32, 0xffffff82
	v_cndmask_b32_e32 v22, v22, v32, vcc
	v_lshrrev_b32_e32 v32, 23, v20
	v_add3_u32 v34, v34, v22, v32
	v_add_u32_e32 v32, 6, v34
	v_and_b32_e32 v21, 0xfffff, v21
	v_add_u32_e32 v20, v21, v20
	v_mov_b32_e32 v21, v51
	v_cmp_ne_u32_e32 vcc, 0, v32
                                        ; implicit-def: $vgpr22
	s_and_saveexec_b64 s[20:21], vcc
	s_xor_b64 s[20:21], exec, s[20:21]
; %bb.9989:                             ;   in Loop: Header=BB6_9457 Depth=2
	v_cmp_lt_u64_e32 vcc, s[58:59], v[20:21]
	v_add_u32_e32 v22, 7, v34
	v_cndmask_b32_e32 v22, v32, v22, vcc
	v_cndmask_b32_e64 v32, 0, 1, vcc
	v_lshrrev_b64 v[20:21], v32, v[20:21]
; %bb.9990:                             ;   in Loop: Header=BB6_9457 Depth=2
	s_andn2_saveexec_b64 s[20:21], s[20:21]
; %bb.9991:                             ;   in Loop: Header=BB6_9457 Depth=2
	v_bfe_u32 v22, v20, 23, 1
; %bb.9992:                             ;   in Loop: Header=BB6_9457 Depth=2
	s_or_b64 exec, exec, s[20:21]
	v_lshrrev_b64 v[20:21], 20, v[20:21]
	v_cmp_gt_i32_e32 vcc, 16, v22
	v_cndmask_b32_e32 v21, 0, v21, vcc
	v_cndmask_b32_e32 v20, 7, v20, vcc
	v_cmp_eq_u64_e64 s[20:21], 0, v[20:21]
	v_min_i32_e32 v21, 15, v22
	v_lshlrev_b32_e32 v21, 3, v21
	v_cmp_eq_u32_e32 vcc, 0, v22
	v_and_b32_e32 v21, 0xf8, v21
	v_and_or_b32 v20, v20, 7, v21
	s_and_b64 s[20:21], vcc, s[20:21]
	v_cndmask_b32_e64 v20, v20, 0, s[20:21]
	v_or_b32_e32 v32, v20, v33
.LBB6_9993:                             ;   in Loop: Header=BB6_9457 Depth=2
	s_or_b64 exec, exec, s[92:93]
                                        ; implicit-def: $vgpr33
.LBB6_9994:                             ;   in Loop: Header=BB6_9457 Depth=2
	s_andn2_saveexec_b64 s[20:21], s[90:91]
; %bb.9995:                             ;   in Loop: Header=BB6_9457 Depth=2
	v_or_b32_e32 v32, 0x7e, v33
; %bb.9996:                             ;   in Loop: Header=BB6_9457 Depth=2
	s_or_b64 exec, exec, s[20:21]
                                        ; implicit-def: $vgpr20
.LBB6_9997:                             ;   in Loop: Header=BB6_9457 Depth=2
	s_andn2_saveexec_b64 s[20:21], s[88:89]
; %bb.9998:                             ;   in Loop: Header=BB6_9457 Depth=2
	v_or_b32_sdwa v32, v20, s39 dst_sel:DWORD dst_unused:UNUSED_PAD src0_sel:BYTE_3 src1_sel:DWORD
; %bb.9999:                             ;   in Loop: Header=BB6_9457 Depth=2
	s_or_b64 exec, exec, s[20:21]
	v_cmp_lt_u32_e32 vcc, s61, v50
	v_mov_b32_e32 v21, 0
	s_and_saveexec_b64 s[20:21], vcc
	s_cbranch_execz .LBB6_10005
; %bb.10000:                            ;   in Loop: Header=BB6_9457 Depth=2
	v_lshrrev_b32_e32 v20, 24, v50
	v_cmp_ne_u32_sdwa s[90:91], v50, s50 src0_sel:BYTE_3 src1_sel:DWORD
	v_bfrev_b32_e32 v21, 1
	s_and_saveexec_b64 s[88:89], s[90:91]
	s_cbranch_execz .LBB6_10004
; %bb.10001:                            ;   in Loop: Header=BB6_9457 Depth=2
	v_bfe_u32 v22, v50, 24, 7
	v_cmp_ne_u32_e32 vcc, s39, v22
	v_mov_b32_e32 v21, 0x7f800001
	s_and_saveexec_b64 s[90:91], vcc
	s_cbranch_execz .LBB6_10003
; %bb.10002:                            ;   in Loop: Header=BB6_9457 Depth=2
	v_and_b32_e32 v33, 7, v20
	v_ffbh_u32_e32 v21, v33
	v_lshrrev_b32_e32 v34, 3, v22
	v_cmp_gt_u32_e32 vcc, 8, v22
	v_min_u32_e32 v22, 32, v21
	v_subrev_u32_e32 v21, 28, v22
	v_lshlrev_b64 v[20:21], v21, v[20:21]
	v_sub_u32_e32 v21, 29, v22
	v_and_b32_e32 v20, 7, v20
	v_mov_b32_e32 v22, 24
	v_cndmask_b32_e32 v21, v34, v21, vcc
	v_cndmask_b32_e32 v20, v33, v20, vcc
	v_lshlrev_b32_sdwa v22, v22, v50 dst_sel:DWORD dst_unused:UNUSED_PAD src0_sel:DWORD src1_sel:BYTE_3
	v_lshlrev_b32_e32 v20, 20, v20
	v_and_b32_e32 v22, 0x80000000, v22
	v_lshl_add_u32 v21, v21, 23, v62
	v_or3_b32 v21, v22, v21, v20
.LBB6_10003:                            ;   in Loop: Header=BB6_9457 Depth=2
	s_or_b64 exec, exec, s[90:91]
.LBB6_10004:                            ;   in Loop: Header=BB6_9457 Depth=2
	s_or_b64 exec, exec, s[88:89]
.LBB6_10005:                            ;   in Loop: Header=BB6_9457 Depth=2
	s_or_b64 exec, exec, s[20:21]
	v_bfe_u32 v22, v11, 24, 3
	v_ffbh_u32_e32 v33, v22
	v_min_u32_e32 v37, 32, v33
	v_lshrrev_b32_e32 v20, 24, v11
	v_subrev_u32_e32 v33, 28, v37
	v_lshlrev_b64 v[33:34], v33, v[20:21]
	v_bfe_u32 v35, v11, 24, 7
	v_bfe_u32 v36, v20, 3, 4
	v_sub_u32_e32 v34, 29, v37
	v_and_b32_e32 v33, 7, v33
	v_cmp_gt_u32_e32 vcc, 8, v35
	v_cndmask_b32_e32 v34, v36, v34, vcc
	v_cndmask_b32_e32 v22, v22, v33, vcc
	v_lshlrev_b32_e32 v22, 20, v22
	v_and_b32_e32 v33, 0x80000000, v11
	v_lshl_add_u32 v34, v34, 23, v62
	v_or3_b32 v22, v33, v34, v22
	v_cmp_ne_u32_e32 vcc, s39, v35
	v_mov_b32_e32 v33, 0x7f800001
	v_cndmask_b32_e32 v22, v33, v22, vcc
	v_cmp_ne_u32_e32 vcc, s50, v20
	v_bfrev_b32_e32 v20, 1
	v_cndmask_b32_e32 v20, v20, v22, vcc
	v_cmp_lt_u64_e32 vcc, s[60:61], v[10:11]
                                        ; implicit-def: $vgpr33
	v_cndmask_b32_e32 v10, 0, v20, vcc
	v_add_f32_e32 v10, v10, v21
	v_and_b32_e32 v50, 0x7f800000, v10
	v_cmp_ne_u64_e32 vcc, s[46:47], v[50:51]
	s_and_saveexec_b64 s[20:21], vcc
	s_xor_b64 s[88:89], exec, s[20:21]
	s_cbranch_execz .LBB6_10019
; %bb.10006:                            ;   in Loop: Header=BB6_9457 Depth=2
	v_and_b32_e32 v50, 0x7fffffff, v10
	v_cmp_gt_u64_e32 vcc, s[56:57], v[50:51]
	v_and_b32_sdwa v22, v10, s50 dst_sel:DWORD dst_unused:UNUSED_PAD src0_sel:BYTE_3 src1_sel:DWORD
                                        ; implicit-def: $vgpr33
	s_and_saveexec_b64 s[20:21], vcc
	s_xor_b64 s[90:91], exec, s[20:21]
	s_cbranch_execz .LBB6_10016
; %bb.10007:                            ;   in Loop: Header=BB6_9457 Depth=2
	v_mov_b32_e32 v33, 0
	v_cmp_ne_u32_e32 vcc, 0, v10
	s_and_saveexec_b64 s[92:93], vcc
	s_cbranch_execz .LBB6_10015
; %bb.10008:                            ;   in Loop: Header=BB6_9457 Depth=2
	v_bfe_u32 v33, v10, 23, 8
	v_and_b32_e32 v11, 0x7fffff, v10
	v_cmp_gt_u32_e64 s[20:21], s51, v33
	v_sub_u32_e32 v10, 0x79, v33
	v_cmp_eq_u32_e32 vcc, 0, v33
	v_cndmask_b32_e64 v10, 0, v10, s[20:21]
	v_mov_b32_e32 v21, 0x78
	v_cndmask_b32_e32 v34, v10, v21, vcc
	v_or_b32_e32 v20, 0x800000, v11
	v_add_u32_e32 v10, 20, v34
	v_cndmask_b32_e32 v50, v20, v11, vcc
	v_lshlrev_b64 v[10:11], v10, -1
	v_add_u32_e32 v20, 19, v34
	v_lshlrev_b64 v[20:21], v20, 1
	v_bfi_b32 v11, v11, 0, 0
	v_bfi_b32 v10, v10, 0, v50
	v_cmp_eq_u64_e64 s[20:21], v[10:11], v[20:21]
	v_lshrrev_b64 v[10:11], v34, v[50:51]
	v_mov_b32_e32 v21, v11
	v_mov_b32_e32 v20, v10
	s_and_saveexec_b64 s[94:95], s[20:21]
; %bb.10009:                            ;   in Loop: Header=BB6_9457 Depth=2
	v_bfe_u32 v11, v10, 20, 1
	v_add_co_u32_e64 v11, s[20:21], v10, v11
	v_add_co_u32_e64 v20, s[20:21], -1, v11
; %bb.10010:                            ;   in Loop: Header=BB6_9457 Depth=2
	s_or_b64 exec, exec, s[94:95]
	v_add_u32_e32 v11, 0xffffff81, v33
	v_mov_b32_e32 v21, 0xffffff82
	v_cndmask_b32_e32 v11, v11, v21, vcc
	v_lshrrev_b32_e32 v21, 23, v10
	v_add3_u32 v33, v34, v11, v21
	v_add_u32_e32 v21, 6, v33
	v_and_b32_e32 v11, 0xfffff, v20
	v_add_u32_e32 v50, v11, v10
	v_cmp_ne_u32_e32 vcc, 0, v21
                                        ; implicit-def: $vgpr10_vgpr11
                                        ; implicit-def: $vgpr20
	s_and_saveexec_b64 s[20:21], vcc
	s_xor_b64 s[20:21], exec, s[20:21]
; %bb.10011:                            ;   in Loop: Header=BB6_9457 Depth=2
	v_cmp_lt_u64_e32 vcc, s[58:59], v[50:51]
	v_add_u32_e32 v10, 7, v33
	v_cndmask_b32_e32 v20, v21, v10, vcc
	v_cndmask_b32_e64 v10, 0, 1, vcc
	v_lshrrev_b64 v[10:11], v10, v[50:51]
; %bb.10012:                            ;   in Loop: Header=BB6_9457 Depth=2
	s_andn2_saveexec_b64 s[20:21], s[20:21]
; %bb.10013:                            ;   in Loop: Header=BB6_9457 Depth=2
	v_mov_b32_e32 v10, v50
	v_bfe_u32 v20, v50, 23, 1
	v_mov_b32_e32 v11, v51
; %bb.10014:                            ;   in Loop: Header=BB6_9457 Depth=2
	s_or_b64 exec, exec, s[20:21]
	v_lshrrev_b64 v[10:11], 20, v[10:11]
	v_cmp_gt_i32_e32 vcc, 16, v20
	v_cndmask_b32_e32 v11, 0, v11, vcc
	v_cndmask_b32_e32 v10, 7, v10, vcc
	v_cmp_eq_u64_e64 s[20:21], 0, v[10:11]
	v_min_i32_e32 v11, 15, v20
	v_lshlrev_b32_e32 v11, 3, v11
	v_cmp_eq_u32_e32 vcc, 0, v20
	v_and_b32_e32 v11, 0xf8, v11
	v_and_or_b32 v10, v10, 7, v11
	s_and_b64 s[20:21], vcc, s[20:21]
	v_cndmask_b32_e64 v10, v10, 0, s[20:21]
	v_or_b32_e32 v33, v10, v22
.LBB6_10015:                            ;   in Loop: Header=BB6_9457 Depth=2
	s_or_b64 exec, exec, s[92:93]
                                        ; implicit-def: $vgpr22
.LBB6_10016:                            ;   in Loop: Header=BB6_9457 Depth=2
	s_andn2_saveexec_b64 s[20:21], s[90:91]
; %bb.10017:                            ;   in Loop: Header=BB6_9457 Depth=2
	v_or_b32_e32 v33, 0x7e, v22
; %bb.10018:                            ;   in Loop: Header=BB6_9457 Depth=2
	s_or_b64 exec, exec, s[20:21]
                                        ; implicit-def: $vgpr10
.LBB6_10019:                            ;   in Loop: Header=BB6_9457 Depth=2
	s_andn2_saveexec_b64 s[20:21], s[88:89]
; %bb.10020:                            ;   in Loop: Header=BB6_9457 Depth=2
	v_or_b32_sdwa v33, v10, s39 dst_sel:DWORD dst_unused:UNUSED_PAD src0_sel:BYTE_3 src1_sel:DWORD
; %bb.10021:                            ;   in Loop: Header=BB6_9457 Depth=2
	s_or_b64 exec, exec, s[20:21]
	v_lshl_or_b32 v22, v26, 8, v8
	v_lshlrev_b32_e32 v10, 16, v29
	v_lshlrev_b32_e32 v11, 24, v31
	v_or3_b32 v50, v10, v11, v22
	v_cmp_ne_u32_e32 vcc, 0, v8
	v_mov_b32_e32 v10, 0
	s_and_saveexec_b64 s[20:21], vcc
	s_cbranch_execz .LBB6_10027
; %bb.10022:                            ;   in Loop: Header=BB6_9457 Depth=2
	v_cmp_ne_u32_e32 vcc, s50, v8
	v_bfrev_b32_e32 v10, 1
	s_and_saveexec_b64 s[88:89], vcc
	s_cbranch_execz .LBB6_10026
; %bb.10023:                            ;   in Loop: Header=BB6_9457 Depth=2
	v_and_b32_e32 v11, 0x7f, v8
	v_cmp_ne_u32_e32 vcc, s39, v11
	v_mov_b32_e32 v10, 0x7f800001
	s_and_saveexec_b64 s[90:91], vcc
	s_cbranch_execz .LBB6_10025
; %bb.10024:                            ;   in Loop: Header=BB6_9457 Depth=2
	v_and_b32_e32 v8, 7, v8
	v_ffbh_u32_e32 v8, v8
	v_min_u32_e32 v8, 32, v8
	v_lshrrev_b32_e32 v10, 3, v11
	v_cmp_gt_u32_e32 vcc, 8, v11
	v_subrev_u32_e32 v11, 28, v8
	v_sub_u32_e32 v8, 29, v8
	v_cndmask_b32_e32 v8, v10, v8, vcc
	v_cndmask_b32_e32 v10, 0, v11, vcc
	v_lshlrev_b64 v[10:11], v10, v[50:51]
	v_lshlrev_b32_e32 v11, 24, v50
	v_lshlrev_b32_e32 v10, 20, v10
	v_and_b32_e32 v10, 0x700000, v10
	v_and_b32_e32 v11, 0x80000000, v11
	v_lshl_add_u32 v8, v8, 23, v62
	v_or3_b32 v10, v11, v8, v10
.LBB6_10025:                            ;   in Loop: Header=BB6_9457 Depth=2
	s_or_b64 exec, exec, s[90:91]
.LBB6_10026:                            ;   in Loop: Header=BB6_9457 Depth=2
	s_or_b64 exec, exec, s[88:89]
.LBB6_10027:                            ;   in Loop: Header=BB6_9457 Depth=2
	s_or_b64 exec, exec, s[20:21]
	v_cmp_gt_i16_sdwa s[88:89], v12, s39 src0_sel:BYTE_0 src1_sel:DWORD
	s_mov_b64 s[20:21], 0
	s_and_saveexec_b64 s[90:91], s[88:89]
	s_xor_b64 s[88:89], exec, s[90:91]
	s_cbranch_execnz .LBB6_10245
; %bb.10028:                            ;   in Loop: Header=BB6_9457 Depth=2
	s_or_saveexec_b64 s[88:89], s[88:89]
	v_bfrev_b32_e32 v8, 1
	s_xor_b64 exec, exec, s[88:89]
	s_cbranch_execnz .LBB6_10248
.LBB6_10029:                            ;   in Loop: Header=BB6_9457 Depth=2
	s_or_b64 exec, exec, s[88:89]
	s_and_saveexec_b64 s[88:89], s[20:21]
	s_cbranch_execz .LBB6_10031
.LBB6_10030:                            ;   in Loop: Header=BB6_9457 Depth=2
	v_and_b32_e32 v8, 7, v12
	v_ffbh_u32_e32 v8, v8
	v_and_b32_e32 v11, 0x7f, v12
	v_min_u32_e32 v8, 32, v8
	v_bfe_u32 v20, v12, 3, 4
	v_subrev_u32_e32 v21, 28, v8
	v_sub_u32_e32 v8, 29, v8
	v_cmp_gt_u32_e32 vcc, 8, v11
	v_cndmask_b32_e32 v8, v20, v8, vcc
	v_cndmask_b32_e32 v20, 0, v21, vcc
	v_lshlrev_b64 v[20:21], v20, v[12:13]
	v_lshlrev_b32_e32 v21, 24, v12
	v_lshlrev_b32_e32 v20, 20, v20
	v_and_b32_e32 v20, 0x700000, v20
	v_and_b32_e32 v21, 0x80000000, v21
	v_lshl_add_u32 v8, v8, 23, v62
	v_or3_b32 v8, v21, v8, v20
	v_cmp_ne_u32_e32 vcc, s39, v11
	v_mov_b32_e32 v11, 0x7f800001
	v_cndmask_b32_e32 v8, v11, v8, vcc
.LBB6_10031:                            ;   in Loop: Header=BB6_9457 Depth=2
	s_or_b64 exec, exec, s[88:89]
	v_add_f32_e32 v10, v10, v8
	v_and_b32_e32 v20, 0x7f800000, v10
	v_mov_b32_e32 v21, v51
	v_cmp_ne_u64_e32 vcc, s[46:47], v[20:21]
                                        ; implicit-def: $vgpr8
	s_and_saveexec_b64 s[20:21], vcc
	s_xor_b64 s[88:89], exec, s[20:21]
	s_cbranch_execz .LBB6_10045
; %bb.10032:                            ;   in Loop: Header=BB6_9457 Depth=2
	v_and_b32_e32 v20, 0x7fffffff, v10
	v_mov_b32_e32 v21, v51
	v_cmp_gt_u64_e32 vcc, s[56:57], v[20:21]
	v_and_b32_sdwa v26, v10, s50 dst_sel:DWORD dst_unused:UNUSED_PAD src0_sel:BYTE_3 src1_sel:DWORD
                                        ; implicit-def: $vgpr8
	s_and_saveexec_b64 s[20:21], vcc
	s_xor_b64 s[90:91], exec, s[20:21]
	s_cbranch_execz .LBB6_10042
; %bb.10033:                            ;   in Loop: Header=BB6_9457 Depth=2
	v_mov_b32_e32 v8, 0
	v_cmp_ne_u32_e32 vcc, 0, v10
	s_and_saveexec_b64 s[92:93], vcc
	s_cbranch_execz .LBB6_10041
; %bb.10034:                            ;   in Loop: Header=BB6_9457 Depth=2
	v_bfe_u32 v8, v10, 23, 8
	v_and_b32_e32 v11, 0x7fffff, v10
	v_cmp_gt_u32_e64 s[20:21], s51, v8
	v_sub_u32_e32 v10, 0x79, v8
	v_cmp_eq_u32_e32 vcc, 0, v8
	v_cndmask_b32_e64 v10, 0, v10, s[20:21]
	v_mov_b32_e32 v21, 0x78
	v_or_b32_e32 v20, 0x800000, v11
	v_cndmask_b32_e32 v29, v10, v21, vcc
	v_cndmask_b32_e32 v10, v20, v11, vcc
	v_add_u32_e32 v20, 20, v29
	v_lshlrev_b64 v[20:21], v20, -1
	v_mov_b32_e32 v11, v51
	v_add_u32_e32 v31, 19, v29
	v_bfi_b32 v20, v20, 0, v10
	v_lshlrev_b64 v[34:35], v31, 1
	v_lshrrev_b64 v[10:11], v29, v[10:11]
	v_bfi_b32 v21, v21, 0, 0
	v_cmp_eq_u64_e64 s[20:21], v[20:21], v[34:35]
	v_mov_b32_e32 v21, v11
	v_mov_b32_e32 v20, v10
	s_and_saveexec_b64 s[94:95], s[20:21]
; %bb.10035:                            ;   in Loop: Header=BB6_9457 Depth=2
	v_bfe_u32 v11, v10, 20, 1
	v_add_co_u32_e64 v11, s[20:21], v10, v11
	v_add_co_u32_e64 v20, s[20:21], -1, v11
; %bb.10036:                            ;   in Loop: Header=BB6_9457 Depth=2
	s_or_b64 exec, exec, s[94:95]
	v_add_u32_e32 v8, 0xffffff81, v8
	v_mov_b32_e32 v11, 0xffffff82
	v_cndmask_b32_e32 v8, v8, v11, vcc
	v_lshrrev_b32_e32 v11, 23, v10
	v_add3_u32 v29, v29, v8, v11
	v_add_u32_e32 v21, 6, v29
	v_and_b32_e32 v8, 0xfffff, v20
	v_add_u32_e32 v10, v8, v10
	v_mov_b32_e32 v11, v51
	v_cmp_ne_u32_e32 vcc, 0, v21
                                        ; implicit-def: $vgpr8
	s_and_saveexec_b64 s[20:21], vcc
	s_xor_b64 s[20:21], exec, s[20:21]
; %bb.10037:                            ;   in Loop: Header=BB6_9457 Depth=2
	v_cmp_lt_u64_e32 vcc, s[58:59], v[10:11]
	v_add_u32_e32 v8, 7, v29
	v_cndmask_b32_e64 v20, 0, 1, vcc
	v_cndmask_b32_e32 v8, v21, v8, vcc
	v_lshrrev_b64 v[10:11], v20, v[10:11]
; %bb.10038:                            ;   in Loop: Header=BB6_9457 Depth=2
	s_andn2_saveexec_b64 s[20:21], s[20:21]
; %bb.10039:                            ;   in Loop: Header=BB6_9457 Depth=2
	v_bfe_u32 v8, v10, 23, 1
; %bb.10040:                            ;   in Loop: Header=BB6_9457 Depth=2
	s_or_b64 exec, exec, s[20:21]
	v_lshrrev_b64 v[10:11], 20, v[10:11]
	v_cmp_gt_i32_e32 vcc, 16, v8
	v_cndmask_b32_e32 v11, 0, v11, vcc
	v_cndmask_b32_e32 v10, 7, v10, vcc
	v_cmp_eq_u32_e32 vcc, 0, v8
	v_min_i32_e32 v8, 15, v8
	v_cmp_eq_u64_e64 s[20:21], 0, v[10:11]
	v_lshlrev_b32_e32 v8, 3, v8
	v_and_b32_e32 v8, 0xf8, v8
	v_and_or_b32 v8, v10, 7, v8
	s_and_b64 s[20:21], vcc, s[20:21]
	v_cndmask_b32_e64 v8, v8, 0, s[20:21]
	v_or_b32_e32 v8, v8, v26
.LBB6_10041:                            ;   in Loop: Header=BB6_9457 Depth=2
	s_or_b64 exec, exec, s[92:93]
                                        ; implicit-def: $vgpr26
.LBB6_10042:                            ;   in Loop: Header=BB6_9457 Depth=2
	s_andn2_saveexec_b64 s[20:21], s[90:91]
; %bb.10043:                            ;   in Loop: Header=BB6_9457 Depth=2
	v_or_b32_e32 v8, 0x7e, v26
; %bb.10044:                            ;   in Loop: Header=BB6_9457 Depth=2
	s_or_b64 exec, exec, s[20:21]
                                        ; implicit-def: $vgpr10
.LBB6_10045:                            ;   in Loop: Header=BB6_9457 Depth=2
	s_andn2_saveexec_b64 s[20:21], s[88:89]
; %bb.10046:                            ;   in Loop: Header=BB6_9457 Depth=2
	v_or_b32_sdwa v8, v10, s39 dst_sel:DWORD dst_unused:UNUSED_PAD src0_sel:BYTE_3 src1_sel:DWORD
; %bb.10047:                            ;   in Loop: Header=BB6_9457 Depth=2
	s_or_b64 exec, exec, s[20:21]
	v_lshrrev_b16_e32 v10, 8, v22
	v_cmp_ne_u16_e32 vcc, 0, v10
	v_mov_b32_e32 v20, 0
	s_and_saveexec_b64 s[20:21], vcc
	s_cbranch_execz .LBB6_10053
; %bb.10048:                            ;   in Loop: Header=BB6_9457 Depth=2
	v_cmp_ne_u16_e32 vcc, s50, v10
	v_bfrev_b32_e32 v20, 1
	s_and_saveexec_b64 s[88:89], vcc
	s_cbranch_execz .LBB6_10052
; %bb.10049:                            ;   in Loop: Header=BB6_9457 Depth=2
	v_and_b32_e32 v11, 0x7f, v10
	v_cmp_ne_u32_e32 vcc, s39, v11
	v_mov_b32_e32 v20, 0x7f800001
	s_and_saveexec_b64 s[90:91], vcc
	s_cbranch_execz .LBB6_10051
; %bb.10050:                            ;   in Loop: Header=BB6_9457 Depth=2
	v_and_b32_e32 v20, 7, v10
	v_lshrrev_b32_e32 v21, 3, v11
	v_cmp_gt_u32_e32 vcc, 8, v11
	v_ffbh_u32_e32 v11, v20
	v_min_u32_e32 v26, 32, v11
	v_subrev_u32_e32 v11, 28, v26
	v_lshlrev_b64 v[10:11], v11, v[10:11]
	v_sub_u32_e32 v11, 29, v26
	v_and_b32_e32 v10, 7, v10
	v_cndmask_b32_e32 v11, v21, v11, vcc
	v_cndmask_b32_e32 v10, v20, v10, vcc
	v_lshlrev_b32_e32 v20, 16, v22
	v_lshlrev_b32_e32 v10, 20, v10
	v_and_b32_e32 v20, 0x80000000, v20
	v_lshl_add_u32 v11, v11, 23, v62
	v_or3_b32 v20, v20, v11, v10
.LBB6_10051:                            ;   in Loop: Header=BB6_9457 Depth=2
	s_or_b64 exec, exec, s[90:91]
.LBB6_10052:                            ;   in Loop: Header=BB6_9457 Depth=2
	s_or_b64 exec, exec, s[88:89]
.LBB6_10053:                            ;   in Loop: Header=BB6_9457 Depth=2
	s_or_b64 exec, exec, s[20:21]
	v_lshrrev_b16_e32 v10, 8, v12
	v_cmp_lt_i16_e32 vcc, s39, v10
	s_mov_b64 s[20:21], 0
	s_and_saveexec_b64 s[88:89], vcc
	s_xor_b64 s[88:89], exec, s[88:89]
	s_cbranch_execnz .LBB6_10249
; %bb.10054:                            ;   in Loop: Header=BB6_9457 Depth=2
	s_or_saveexec_b64 s[88:89], s[88:89]
	v_bfrev_b32_e32 v11, 1
	s_xor_b64 exec, exec, s[88:89]
	s_cbranch_execnz .LBB6_10252
.LBB6_10055:                            ;   in Loop: Header=BB6_9457 Depth=2
	s_or_b64 exec, exec, s[88:89]
	s_and_saveexec_b64 s[88:89], s[20:21]
	s_cbranch_execz .LBB6_10057
.LBB6_10056:                            ;   in Loop: Header=BB6_9457 Depth=2
	v_and_b32_e32 v26, 7, v10
	v_ffbh_u32_e32 v21, v26
	v_min_u32_e32 v34, 32, v21
	v_mov_b32_e32 v11, v51
	v_subrev_u32_e32 v21, 28, v34
	v_lshlrev_b64 v[21:22], v21, v[10:11]
	v_and_b32_e32 v29, 0x7f, v10
	v_bfe_u32 v31, v10, 3, 4
	v_sub_u32_e32 v11, 29, v34
	v_and_b32_e32 v21, 7, v21
	v_cmp_gt_u32_e32 vcc, 8, v29
	v_cndmask_b32_e32 v11, v31, v11, vcc
	v_cndmask_b32_e32 v21, v26, v21, vcc
	v_lshlrev_b32_e32 v10, 24, v10
	v_lshlrev_b32_e32 v21, 20, v21
	v_and_b32_e32 v10, 0x80000000, v10
	v_lshl_add_u32 v11, v11, 23, v62
	v_or3_b32 v10, v10, v11, v21
	v_cmp_ne_u32_e32 vcc, s39, v29
	v_mov_b32_e32 v11, 0x7f800001
	v_cndmask_b32_e32 v11, v11, v10, vcc
.LBB6_10057:                            ;   in Loop: Header=BB6_9457 Depth=2
	s_or_b64 exec, exec, s[88:89]
	v_add_f32_e32 v10, v20, v11
	v_and_b32_e32 v20, 0x7f800000, v10
	v_mov_b32_e32 v21, v51
	v_cmp_ne_u64_e32 vcc, s[46:47], v[20:21]
                                        ; implicit-def: $vgpr26
	s_and_saveexec_b64 s[20:21], vcc
	s_xor_b64 s[88:89], exec, s[20:21]
	s_cbranch_execz .LBB6_10071
; %bb.10058:                            ;   in Loop: Header=BB6_9457 Depth=2
	v_and_b32_e32 v20, 0x7fffffff, v10
	v_mov_b32_e32 v21, v51
	v_cmp_gt_u64_e32 vcc, s[56:57], v[20:21]
	v_and_b32_sdwa v22, v10, s50 dst_sel:DWORD dst_unused:UNUSED_PAD src0_sel:BYTE_3 src1_sel:DWORD
                                        ; implicit-def: $vgpr26
	s_and_saveexec_b64 s[20:21], vcc
	s_xor_b64 s[90:91], exec, s[20:21]
	s_cbranch_execz .LBB6_10068
; %bb.10059:                            ;   in Loop: Header=BB6_9457 Depth=2
	v_mov_b32_e32 v26, 0
	v_cmp_ne_u32_e32 vcc, 0, v10
	s_and_saveexec_b64 s[92:93], vcc
	s_cbranch_execz .LBB6_10067
; %bb.10060:                            ;   in Loop: Header=BB6_9457 Depth=2
	v_bfe_u32 v26, v10, 23, 8
	v_and_b32_e32 v11, 0x7fffff, v10
	v_cmp_gt_u32_e64 s[20:21], s51, v26
	v_sub_u32_e32 v10, 0x79, v26
	v_cmp_eq_u32_e32 vcc, 0, v26
	v_cndmask_b32_e64 v10, 0, v10, s[20:21]
	v_mov_b32_e32 v21, 0x78
	v_or_b32_e32 v20, 0x800000, v11
	v_cndmask_b32_e32 v29, v10, v21, vcc
	v_cndmask_b32_e32 v10, v20, v11, vcc
	v_add_u32_e32 v20, 20, v29
	v_lshlrev_b64 v[20:21], v20, -1
	v_mov_b32_e32 v11, v51
	v_add_u32_e32 v31, 19, v29
	v_bfi_b32 v20, v20, 0, v10
	v_lshlrev_b64 v[34:35], v31, 1
	v_lshrrev_b64 v[10:11], v29, v[10:11]
	v_bfi_b32 v21, v21, 0, 0
	v_cmp_eq_u64_e64 s[20:21], v[20:21], v[34:35]
	v_mov_b32_e32 v21, v11
	v_mov_b32_e32 v20, v10
	s_and_saveexec_b64 s[94:95], s[20:21]
; %bb.10061:                            ;   in Loop: Header=BB6_9457 Depth=2
	v_bfe_u32 v11, v10, 20, 1
	v_add_co_u32_e64 v11, s[20:21], v10, v11
	v_add_co_u32_e64 v20, s[20:21], -1, v11
; %bb.10062:                            ;   in Loop: Header=BB6_9457 Depth=2
	s_or_b64 exec, exec, s[94:95]
	v_add_u32_e32 v11, 0xffffff81, v26
	v_mov_b32_e32 v21, 0xffffff82
	v_cndmask_b32_e32 v11, v11, v21, vcc
	v_lshrrev_b32_e32 v21, 23, v10
	v_add3_u32 v26, v29, v11, v21
	v_add_u32_e32 v21, 6, v26
	v_and_b32_e32 v11, 0xfffff, v20
	v_add_u32_e32 v10, v11, v10
	v_mov_b32_e32 v11, v51
	v_cmp_ne_u32_e32 vcc, 0, v21
                                        ; implicit-def: $vgpr20
	s_and_saveexec_b64 s[20:21], vcc
	s_xor_b64 s[20:21], exec, s[20:21]
; %bb.10063:                            ;   in Loop: Header=BB6_9457 Depth=2
	v_cmp_lt_u64_e32 vcc, s[58:59], v[10:11]
	v_add_u32_e32 v20, 7, v26
	v_cndmask_b32_e32 v20, v21, v20, vcc
	v_cndmask_b32_e64 v21, 0, 1, vcc
	v_lshrrev_b64 v[10:11], v21, v[10:11]
; %bb.10064:                            ;   in Loop: Header=BB6_9457 Depth=2
	s_andn2_saveexec_b64 s[20:21], s[20:21]
; %bb.10065:                            ;   in Loop: Header=BB6_9457 Depth=2
	v_bfe_u32 v20, v10, 23, 1
; %bb.10066:                            ;   in Loop: Header=BB6_9457 Depth=2
	s_or_b64 exec, exec, s[20:21]
	v_lshrrev_b64 v[10:11], 20, v[10:11]
	v_cmp_gt_i32_e32 vcc, 16, v20
	v_cndmask_b32_e32 v11, 0, v11, vcc
	v_cndmask_b32_e32 v10, 7, v10, vcc
	v_cmp_eq_u64_e64 s[20:21], 0, v[10:11]
	v_min_i32_e32 v11, 15, v20
	v_lshlrev_b32_e32 v11, 3, v11
	v_cmp_eq_u32_e32 vcc, 0, v20
	v_and_b32_e32 v11, 0xf8, v11
	v_and_or_b32 v10, v10, 7, v11
	s_and_b64 s[20:21], vcc, s[20:21]
	v_cndmask_b32_e64 v10, v10, 0, s[20:21]
	v_or_b32_e32 v26, v10, v22
.LBB6_10067:                            ;   in Loop: Header=BB6_9457 Depth=2
	s_or_b64 exec, exec, s[92:93]
                                        ; implicit-def: $vgpr22
.LBB6_10068:                            ;   in Loop: Header=BB6_9457 Depth=2
	s_andn2_saveexec_b64 s[20:21], s[90:91]
; %bb.10069:                            ;   in Loop: Header=BB6_9457 Depth=2
	v_or_b32_e32 v26, 0x7e, v22
; %bb.10070:                            ;   in Loop: Header=BB6_9457 Depth=2
	s_or_b64 exec, exec, s[20:21]
                                        ; implicit-def: $vgpr10
.LBB6_10071:                            ;   in Loop: Header=BB6_9457 Depth=2
	s_andn2_saveexec_b64 s[20:21], s[88:89]
; %bb.10072:                            ;   in Loop: Header=BB6_9457 Depth=2
	v_or_b32_sdwa v26, v10, s39 dst_sel:DWORD dst_unused:UNUSED_PAD src0_sel:BYTE_3 src1_sel:DWORD
; %bb.10073:                            ;   in Loop: Header=BB6_9457 Depth=2
	s_or_b64 exec, exec, s[20:21]
	v_lshrrev_b32_e32 v10, 16, v50
	v_cmp_ne_u16_sdwa s[88:89], v10, v51 src0_sel:BYTE_0 src1_sel:DWORD
	v_mov_b32_e32 v11, 0
	s_and_saveexec_b64 s[20:21], s[88:89]
	s_cbranch_execz .LBB6_10079
; %bb.10074:                            ;   in Loop: Header=BB6_9457 Depth=2
	v_cmp_ne_u16_sdwa s[90:91], v10, s50 src0_sel:BYTE_0 src1_sel:DWORD
	v_bfrev_b32_e32 v11, 1
	s_and_saveexec_b64 s[88:89], s[90:91]
	s_cbranch_execz .LBB6_10078
; %bb.10075:                            ;   in Loop: Header=BB6_9457 Depth=2
	v_bfe_u32 v20, v50, 16, 7
	v_cmp_ne_u32_e32 vcc, s39, v20
	v_mov_b32_e32 v11, 0x7f800001
	s_and_saveexec_b64 s[90:91], vcc
	s_cbranch_execz .LBB6_10077
; %bb.10076:                            ;   in Loop: Header=BB6_9457 Depth=2
	v_and_b32_e32 v11, 7, v10
	v_lshrrev_b32_e32 v22, 3, v20
	v_cmp_gt_u32_e32 vcc, 8, v20
	v_ffbh_u32_e32 v20, v11
	v_min_u32_e32 v29, 32, v20
	v_subrev_u32_e32 v20, 28, v29
	v_lshlrev_b64 v[20:21], v20, v[10:11]
	v_sub_u32_e32 v21, 29, v29
	v_and_b32_e32 v20, 7, v20
	v_cndmask_b32_e32 v21, v22, v21, vcc
	v_cndmask_b32_e32 v11, v11, v20, vcc
	v_lshlrev_b32_e32 v10, 24, v10
	v_lshlrev_b32_e32 v11, 20, v11
	v_and_b32_e32 v10, 0x80000000, v10
	v_lshl_add_u32 v20, v21, 23, v62
	v_or3_b32 v11, v10, v20, v11
.LBB6_10077:                            ;   in Loop: Header=BB6_9457 Depth=2
	s_or_b64 exec, exec, s[90:91]
.LBB6_10078:                            ;   in Loop: Header=BB6_9457 Depth=2
	s_or_b64 exec, exec, s[88:89]
.LBB6_10079:                            ;   in Loop: Header=BB6_9457 Depth=2
	s_or_b64 exec, exec, s[20:21]
	v_lshrrev_b32_e32 v10, 16, v12
	v_cmp_gt_i16_sdwa s[88:89], v10, s39 src0_sel:BYTE_0 src1_sel:DWORD
	s_mov_b64 s[20:21], 0
	s_and_saveexec_b64 s[90:91], s[88:89]
	s_xor_b64 s[88:89], exec, s[90:91]
	s_cbranch_execnz .LBB6_10253
; %bb.10080:                            ;   in Loop: Header=BB6_9457 Depth=2
	s_or_saveexec_b64 s[88:89], s[88:89]
	v_bfrev_b32_e32 v20, 1
	s_xor_b64 exec, exec, s[88:89]
	s_cbranch_execnz .LBB6_10256
.LBB6_10081:                            ;   in Loop: Header=BB6_9457 Depth=2
	s_or_b64 exec, exec, s[88:89]
	s_and_saveexec_b64 s[88:89], s[20:21]
	s_cbranch_execz .LBB6_10083
.LBB6_10082:                            ;   in Loop: Header=BB6_9457 Depth=2
	v_and_b32_e32 v22, 7, v10
	v_ffbh_u32_e32 v20, v22
	v_min_u32_e32 v34, 32, v20
	v_subrev_u32_e32 v20, 28, v34
	v_lshlrev_b64 v[20:21], v20, v[10:11]
	v_and_b32_e32 v29, 0x7f, v10
	v_bfe_u32 v31, v10, 3, 4
	v_sub_u32_e32 v21, 29, v34
	v_and_b32_e32 v20, 7, v20
	v_cmp_gt_u32_e32 vcc, 8, v29
	v_cndmask_b32_e32 v21, v31, v21, vcc
	v_cndmask_b32_e32 v20, v22, v20, vcc
	v_lshlrev_b32_e32 v10, 24, v10
	v_lshlrev_b32_e32 v20, 20, v20
	v_and_b32_e32 v10, 0x80000000, v10
	v_lshl_add_u32 v21, v21, 23, v62
	v_or3_b32 v10, v10, v21, v20
	v_cmp_ne_u32_e32 vcc, s39, v29
	v_mov_b32_e32 v20, 0x7f800001
	v_cndmask_b32_e32 v20, v20, v10, vcc
.LBB6_10083:                            ;   in Loop: Header=BB6_9457 Depth=2
	s_or_b64 exec, exec, s[88:89]
	v_add_f32_e32 v10, v11, v20
	v_and_b32_e32 v20, 0x7f800000, v10
	v_mov_b32_e32 v21, v51
	v_cmp_ne_u64_e32 vcc, s[46:47], v[20:21]
                                        ; implicit-def: $vgpr29
	s_and_saveexec_b64 s[20:21], vcc
	s_xor_b64 s[88:89], exec, s[20:21]
	s_cbranch_execz .LBB6_10097
; %bb.10084:                            ;   in Loop: Header=BB6_9457 Depth=2
	v_and_b32_e32 v20, 0x7fffffff, v10
	v_mov_b32_e32 v21, v51
	v_cmp_gt_u64_e32 vcc, s[56:57], v[20:21]
	v_and_b32_sdwa v22, v10, s50 dst_sel:DWORD dst_unused:UNUSED_PAD src0_sel:BYTE_3 src1_sel:DWORD
                                        ; implicit-def: $vgpr29
	s_and_saveexec_b64 s[20:21], vcc
	s_xor_b64 s[90:91], exec, s[20:21]
	s_cbranch_execz .LBB6_10094
; %bb.10085:                            ;   in Loop: Header=BB6_9457 Depth=2
	v_mov_b32_e32 v29, 0
	v_cmp_ne_u32_e32 vcc, 0, v10
	s_and_saveexec_b64 s[92:93], vcc
	s_cbranch_execz .LBB6_10093
; %bb.10086:                            ;   in Loop: Header=BB6_9457 Depth=2
	v_bfe_u32 v29, v10, 23, 8
	v_and_b32_e32 v11, 0x7fffff, v10
	v_cmp_gt_u32_e64 s[20:21], s51, v29
	v_sub_u32_e32 v10, 0x79, v29
	v_cmp_eq_u32_e32 vcc, 0, v29
	v_cndmask_b32_e64 v10, 0, v10, s[20:21]
	v_mov_b32_e32 v21, 0x78
	v_or_b32_e32 v20, 0x800000, v11
	v_cndmask_b32_e32 v31, v10, v21, vcc
	v_cndmask_b32_e32 v10, v20, v11, vcc
	v_add_u32_e32 v20, 20, v31
	v_lshlrev_b64 v[20:21], v20, -1
	v_mov_b32_e32 v11, v51
	v_add_u32_e32 v34, 19, v31
	v_bfi_b32 v20, v20, 0, v10
	v_lshlrev_b64 v[34:35], v34, 1
	v_lshrrev_b64 v[10:11], v31, v[10:11]
	v_bfi_b32 v21, v21, 0, 0
	v_cmp_eq_u64_e64 s[20:21], v[20:21], v[34:35]
	v_mov_b32_e32 v21, v11
	v_mov_b32_e32 v20, v10
	s_and_saveexec_b64 s[94:95], s[20:21]
; %bb.10087:                            ;   in Loop: Header=BB6_9457 Depth=2
	v_bfe_u32 v11, v10, 20, 1
	v_add_co_u32_e64 v11, s[20:21], v10, v11
	v_add_co_u32_e64 v20, s[20:21], -1, v11
; %bb.10088:                            ;   in Loop: Header=BB6_9457 Depth=2
	s_or_b64 exec, exec, s[94:95]
	v_add_u32_e32 v11, 0xffffff81, v29
	v_mov_b32_e32 v21, 0xffffff82
	v_cndmask_b32_e32 v11, v11, v21, vcc
	v_lshrrev_b32_e32 v21, 23, v10
	v_add3_u32 v29, v31, v11, v21
	v_add_u32_e32 v21, 6, v29
	v_and_b32_e32 v11, 0xfffff, v20
	v_add_u32_e32 v10, v11, v10
	v_mov_b32_e32 v11, v51
	v_cmp_ne_u32_e32 vcc, 0, v21
                                        ; implicit-def: $vgpr20
	s_and_saveexec_b64 s[20:21], vcc
	s_xor_b64 s[20:21], exec, s[20:21]
; %bb.10089:                            ;   in Loop: Header=BB6_9457 Depth=2
	v_cmp_lt_u64_e32 vcc, s[58:59], v[10:11]
	v_add_u32_e32 v20, 7, v29
	v_cndmask_b32_e32 v20, v21, v20, vcc
	v_cndmask_b32_e64 v21, 0, 1, vcc
	v_lshrrev_b64 v[10:11], v21, v[10:11]
; %bb.10090:                            ;   in Loop: Header=BB6_9457 Depth=2
	s_andn2_saveexec_b64 s[20:21], s[20:21]
; %bb.10091:                            ;   in Loop: Header=BB6_9457 Depth=2
	v_bfe_u32 v20, v10, 23, 1
; %bb.10092:                            ;   in Loop: Header=BB6_9457 Depth=2
	s_or_b64 exec, exec, s[20:21]
	v_lshrrev_b64 v[10:11], 20, v[10:11]
	v_cmp_gt_i32_e32 vcc, 16, v20
	v_cndmask_b32_e32 v11, 0, v11, vcc
	v_cndmask_b32_e32 v10, 7, v10, vcc
	v_cmp_eq_u64_e64 s[20:21], 0, v[10:11]
	v_min_i32_e32 v11, 15, v20
	v_lshlrev_b32_e32 v11, 3, v11
	v_cmp_eq_u32_e32 vcc, 0, v20
	v_and_b32_e32 v11, 0xf8, v11
	v_and_or_b32 v10, v10, 7, v11
	s_and_b64 s[20:21], vcc, s[20:21]
	v_cndmask_b32_e64 v10, v10, 0, s[20:21]
	v_or_b32_e32 v29, v10, v22
.LBB6_10093:                            ;   in Loop: Header=BB6_9457 Depth=2
	s_or_b64 exec, exec, s[92:93]
                                        ; implicit-def: $vgpr22
.LBB6_10094:                            ;   in Loop: Header=BB6_9457 Depth=2
	s_andn2_saveexec_b64 s[20:21], s[90:91]
; %bb.10095:                            ;   in Loop: Header=BB6_9457 Depth=2
	v_or_b32_e32 v29, 0x7e, v22
; %bb.10096:                            ;   in Loop: Header=BB6_9457 Depth=2
	s_or_b64 exec, exec, s[20:21]
                                        ; implicit-def: $vgpr10
.LBB6_10097:                            ;   in Loop: Header=BB6_9457 Depth=2
	s_andn2_saveexec_b64 s[20:21], s[88:89]
; %bb.10098:                            ;   in Loop: Header=BB6_9457 Depth=2
	v_or_b32_sdwa v29, v10, s39 dst_sel:DWORD dst_unused:UNUSED_PAD src0_sel:BYTE_3 src1_sel:DWORD
; %bb.10099:                            ;   in Loop: Header=BB6_9457 Depth=2
	s_or_b64 exec, exec, s[20:21]
	v_cmp_lt_u32_e32 vcc, s61, v50
	v_mov_b32_e32 v11, 0
	s_and_saveexec_b64 s[20:21], vcc
	s_cbranch_execz .LBB6_10105
; %bb.10100:                            ;   in Loop: Header=BB6_9457 Depth=2
	v_lshrrev_b32_e32 v10, 24, v50
	v_cmp_ne_u32_sdwa s[90:91], v50, s50 src0_sel:BYTE_3 src1_sel:DWORD
	v_bfrev_b32_e32 v11, 1
	s_and_saveexec_b64 s[88:89], s[90:91]
	s_cbranch_execz .LBB6_10104
; %bb.10101:                            ;   in Loop: Header=BB6_9457 Depth=2
	v_bfe_u32 v20, v50, 24, 7
	v_cmp_ne_u32_e32 vcc, s39, v20
	v_mov_b32_e32 v11, 0x7f800001
	s_and_saveexec_b64 s[90:91], vcc
	s_cbranch_execz .LBB6_10103
; %bb.10102:                            ;   in Loop: Header=BB6_9457 Depth=2
	v_and_b32_e32 v21, 7, v10
	v_ffbh_u32_e32 v11, v21
	v_lshrrev_b32_e32 v22, 3, v20
	v_cmp_gt_u32_e32 vcc, 8, v20
	v_min_u32_e32 v20, 32, v11
	v_subrev_u32_e32 v11, 28, v20
	v_lshlrev_b64 v[10:11], v11, v[10:11]
	v_sub_u32_e32 v11, 29, v20
	v_and_b32_e32 v10, 7, v10
	v_mov_b32_e32 v20, 24
	v_cndmask_b32_e32 v11, v22, v11, vcc
	v_cndmask_b32_e32 v10, v21, v10, vcc
	v_lshlrev_b32_sdwa v20, v20, v50 dst_sel:DWORD dst_unused:UNUSED_PAD src0_sel:DWORD src1_sel:BYTE_3
	v_lshlrev_b32_e32 v10, 20, v10
	v_and_b32_e32 v20, 0x80000000, v20
	v_lshl_add_u32 v11, v11, 23, v62
	v_or3_b32 v11, v20, v11, v10
.LBB6_10103:                            ;   in Loop: Header=BB6_9457 Depth=2
	s_or_b64 exec, exec, s[90:91]
.LBB6_10104:                            ;   in Loop: Header=BB6_9457 Depth=2
	s_or_b64 exec, exec, s[88:89]
.LBB6_10105:                            ;   in Loop: Header=BB6_9457 Depth=2
	s_or_b64 exec, exec, s[20:21]
	v_bfe_u32 v22, v12, 24, 3
	v_ffbh_u32_e32 v20, v22
	v_min_u32_e32 v35, 32, v20
	v_lshrrev_b32_e32 v10, 24, v12
	v_subrev_u32_e32 v20, 28, v35
	v_lshlrev_b64 v[20:21], v20, v[10:11]
	v_bfe_u32 v31, v12, 24, 7
	v_bfe_u32 v34, v10, 3, 4
	v_sub_u32_e32 v21, 29, v35
	v_and_b32_e32 v20, 7, v20
	v_cmp_gt_u32_e32 vcc, 8, v31
	v_cndmask_b32_e32 v21, v34, v21, vcc
	v_cndmask_b32_e32 v20, v22, v20, vcc
	v_lshlrev_b32_e32 v20, 20, v20
	v_and_b32_e32 v22, 0x80000000, v12
	v_lshl_add_u32 v21, v21, 23, v62
	v_or3_b32 v20, v22, v21, v20
	v_cmp_ne_u32_e32 vcc, s39, v31
	v_mov_b32_e32 v21, 0x7f800001
	v_cndmask_b32_e32 v20, v21, v20, vcc
	v_cmp_ne_u32_e32 vcc, s50, v10
	v_bfrev_b32_e32 v10, 1
	v_cndmask_b32_e32 v10, v10, v20, vcc
	v_cmp_lt_u32_e32 vcc, s61, v12
	v_cndmask_b32_e32 v10, 0, v10, vcc
	v_add_f32_e32 v10, v10, v11
	v_and_b32_e32 v50, 0x7f800000, v10
	v_cmp_ne_u64_e32 vcc, s[46:47], v[50:51]
                                        ; implicit-def: $vgpr31
	s_and_saveexec_b64 s[20:21], vcc
	s_xor_b64 s[88:89], exec, s[20:21]
	s_cbranch_execz .LBB6_10119
; %bb.10106:                            ;   in Loop: Header=BB6_9457 Depth=2
	v_and_b32_e32 v50, 0x7fffffff, v10
	v_cmp_gt_u64_e32 vcc, s[56:57], v[50:51]
	v_and_b32_sdwa v22, v10, s50 dst_sel:DWORD dst_unused:UNUSED_PAD src0_sel:BYTE_3 src1_sel:DWORD
                                        ; implicit-def: $vgpr31
	s_and_saveexec_b64 s[20:21], vcc
	s_xor_b64 s[90:91], exec, s[20:21]
	s_cbranch_execz .LBB6_10116
; %bb.10107:                            ;   in Loop: Header=BB6_9457 Depth=2
	v_mov_b32_e32 v31, 0
	v_cmp_ne_u32_e32 vcc, 0, v10
	s_and_saveexec_b64 s[92:93], vcc
	s_cbranch_execz .LBB6_10115
; %bb.10108:                            ;   in Loop: Header=BB6_9457 Depth=2
	v_bfe_u32 v31, v10, 23, 8
	v_and_b32_e32 v11, 0x7fffff, v10
	v_cmp_gt_u32_e64 s[20:21], s51, v31
	v_sub_u32_e32 v10, 0x79, v31
	v_cmp_eq_u32_e32 vcc, 0, v31
	v_cndmask_b32_e64 v10, 0, v10, s[20:21]
	v_mov_b32_e32 v21, 0x78
	v_cndmask_b32_e32 v34, v10, v21, vcc
	v_or_b32_e32 v20, 0x800000, v11
	v_add_u32_e32 v10, 20, v34
	v_cndmask_b32_e32 v50, v20, v11, vcc
	v_lshlrev_b64 v[10:11], v10, -1
	v_add_u32_e32 v20, 19, v34
	v_lshlrev_b64 v[20:21], v20, 1
	v_bfi_b32 v11, v11, 0, 0
	v_bfi_b32 v10, v10, 0, v50
	v_cmp_eq_u64_e64 s[20:21], v[10:11], v[20:21]
	v_lshrrev_b64 v[10:11], v34, v[50:51]
	v_mov_b32_e32 v21, v11
	v_mov_b32_e32 v20, v10
	s_and_saveexec_b64 s[94:95], s[20:21]
; %bb.10109:                            ;   in Loop: Header=BB6_9457 Depth=2
	v_bfe_u32 v11, v10, 20, 1
	v_add_co_u32_e64 v11, s[20:21], v10, v11
	v_add_co_u32_e64 v20, s[20:21], -1, v11
; %bb.10110:                            ;   in Loop: Header=BB6_9457 Depth=2
	s_or_b64 exec, exec, s[94:95]
	v_add_u32_e32 v11, 0xffffff81, v31
	v_mov_b32_e32 v21, 0xffffff82
	v_cndmask_b32_e32 v11, v11, v21, vcc
	v_lshrrev_b32_e32 v21, 23, v10
	v_add3_u32 v31, v34, v11, v21
	v_add_u32_e32 v21, 6, v31
	v_and_b32_e32 v11, 0xfffff, v20
	v_add_u32_e32 v50, v11, v10
	v_cmp_ne_u32_e32 vcc, 0, v21
                                        ; implicit-def: $vgpr10_vgpr11
                                        ; implicit-def: $vgpr20
	s_and_saveexec_b64 s[20:21], vcc
	s_xor_b64 s[20:21], exec, s[20:21]
; %bb.10111:                            ;   in Loop: Header=BB6_9457 Depth=2
	v_cmp_lt_u64_e32 vcc, s[58:59], v[50:51]
	v_add_u32_e32 v10, 7, v31
	v_cndmask_b32_e32 v20, v21, v10, vcc
	v_cndmask_b32_e64 v10, 0, 1, vcc
	v_lshrrev_b64 v[10:11], v10, v[50:51]
; %bb.10112:                            ;   in Loop: Header=BB6_9457 Depth=2
	s_andn2_saveexec_b64 s[20:21], s[20:21]
; %bb.10113:                            ;   in Loop: Header=BB6_9457 Depth=2
	v_mov_b32_e32 v10, v50
	v_bfe_u32 v20, v50, 23, 1
	v_mov_b32_e32 v11, v51
; %bb.10114:                            ;   in Loop: Header=BB6_9457 Depth=2
	s_or_b64 exec, exec, s[20:21]
	v_lshrrev_b64 v[10:11], 20, v[10:11]
	v_cmp_gt_i32_e32 vcc, 16, v20
	v_cndmask_b32_e32 v11, 0, v11, vcc
	v_cndmask_b32_e32 v10, 7, v10, vcc
	v_cmp_eq_u64_e64 s[20:21], 0, v[10:11]
	v_min_i32_e32 v11, 15, v20
	v_lshlrev_b32_e32 v11, 3, v11
	v_cmp_eq_u32_e32 vcc, 0, v20
	v_and_b32_e32 v11, 0xf8, v11
	v_and_or_b32 v10, v10, 7, v11
	s_and_b64 s[20:21], vcc, s[20:21]
	v_cndmask_b32_e64 v10, v10, 0, s[20:21]
	v_or_b32_e32 v31, v10, v22
.LBB6_10115:                            ;   in Loop: Header=BB6_9457 Depth=2
	s_or_b64 exec, exec, s[92:93]
                                        ; implicit-def: $vgpr22
.LBB6_10116:                            ;   in Loop: Header=BB6_9457 Depth=2
	s_andn2_saveexec_b64 s[20:21], s[90:91]
; %bb.10117:                            ;   in Loop: Header=BB6_9457 Depth=2
	v_or_b32_e32 v31, 0x7e, v22
; %bb.10118:                            ;   in Loop: Header=BB6_9457 Depth=2
	s_or_b64 exec, exec, s[20:21]
                                        ; implicit-def: $vgpr10
.LBB6_10119:                            ;   in Loop: Header=BB6_9457 Depth=2
	s_andn2_saveexec_b64 s[20:21], s[88:89]
; %bb.10120:                            ;   in Loop: Header=BB6_9457 Depth=2
	v_or_b32_sdwa v31, v10, s39 dst_sel:DWORD dst_unused:UNUSED_PAD src0_sel:BYTE_3 src1_sel:DWORD
; %bb.10121:                            ;   in Loop: Header=BB6_9457 Depth=2
	s_or_b64 exec, exec, s[20:21]
	v_lshlrev_b32_e32 v10, 24, v27
	v_lshlrev_b32_e32 v11, 16, v25
	v_lshl_or_b32 v9, v9, 8, v2
	v_or3_b32 v50, v11, v10, v9
	v_cmp_ne_u32_e32 vcc, 0, v2
	v_mov_b32_e32 v20, 0
	s_and_saveexec_b64 s[20:21], vcc
	s_cbranch_execz .LBB6_10127
; %bb.10122:                            ;   in Loop: Header=BB6_9457 Depth=2
	v_cmp_ne_u32_e32 vcc, s50, v2
	v_bfrev_b32_e32 v20, 1
	s_and_saveexec_b64 s[88:89], vcc
	s_cbranch_execz .LBB6_10126
; %bb.10123:                            ;   in Loop: Header=BB6_9457 Depth=2
	v_and_b32_e32 v10, 0x7f, v2
	v_cmp_ne_u32_e32 vcc, s39, v10
	v_mov_b32_e32 v20, 0x7f800001
	s_and_saveexec_b64 s[90:91], vcc
	s_cbranch_execz .LBB6_10125
; %bb.10124:                            ;   in Loop: Header=BB6_9457 Depth=2
	v_and_b32_e32 v2, 7, v2
	v_ffbh_u32_e32 v2, v2
	v_min_u32_e32 v2, 32, v2
	v_lshrrev_b32_e32 v11, 3, v10
	v_cmp_gt_u32_e32 vcc, 8, v10
	v_subrev_u32_e32 v10, 28, v2
	v_sub_u32_e32 v2, 29, v2
	v_cndmask_b32_e32 v10, 0, v10, vcc
	v_cndmask_b32_e32 v2, v11, v2, vcc
	v_lshlrev_b64 v[10:11], v10, v[50:51]
	v_lshlrev_b32_e32 v11, 24, v50
	v_lshlrev_b32_e32 v10, 20, v10
	v_and_b32_e32 v10, 0x700000, v10
	v_and_b32_e32 v11, 0x80000000, v11
	v_lshl_add_u32 v2, v2, 23, v62
	v_or3_b32 v20, v11, v2, v10
.LBB6_10125:                            ;   in Loop: Header=BB6_9457 Depth=2
	s_or_b64 exec, exec, s[90:91]
.LBB6_10126:                            ;   in Loop: Header=BB6_9457 Depth=2
	s_or_b64 exec, exec, s[88:89]
.LBB6_10127:                            ;   in Loop: Header=BB6_9457 Depth=2
	s_or_b64 exec, exec, s[20:21]
	v_cmp_gt_i16_sdwa s[88:89], v13, s39 src0_sel:BYTE_0 src1_sel:DWORD
	s_mov_b64 s[20:21], 0
	s_and_saveexec_b64 s[90:91], s[88:89]
	s_xor_b64 s[88:89], exec, s[90:91]
	s_cbranch_execz .LBB6_10131
; %bb.10128:                            ;   in Loop: Header=BB6_9457 Depth=2
	v_cmp_eq_u16_sdwa s[92:93], v13, s50 src0_sel:BYTE_0 src1_sel:DWORD
	s_mov_b64 s[20:21], -1
	s_and_saveexec_b64 s[90:91], s[92:93]
; %bb.10129:                            ;   in Loop: Header=BB6_9457 Depth=2
	s_xor_b64 s[20:21], exec, -1
; %bb.10130:                            ;   in Loop: Header=BB6_9457 Depth=2
	s_or_b64 exec, exec, s[90:91]
	s_and_b64 s[20:21], s[20:21], exec
.LBB6_10131:                            ;   in Loop: Header=BB6_9457 Depth=2
	s_or_saveexec_b64 s[88:89], s[88:89]
	v_bfrev_b32_e32 v2, 1
	s_xor_b64 exec, exec, s[88:89]
; %bb.10132:                            ;   in Loop: Header=BB6_9457 Depth=2
	v_cmp_ne_u16_sdwa s[90:91], v13, v51 src0_sel:BYTE_0 src1_sel:DWORD
	s_andn2_b64 s[20:21], s[20:21], exec
	s_and_b64 s[90:91], s[90:91], exec
	v_mov_b32_e32 v2, 0
	s_or_b64 s[20:21], s[20:21], s[90:91]
; %bb.10133:                            ;   in Loop: Header=BB6_9457 Depth=2
	s_or_b64 exec, exec, s[88:89]
	v_mov_b32_e32 v10, v13
	v_mov_b32_e32 v11, v51
	s_and_saveexec_b64 s[88:89], s[20:21]
	s_cbranch_execz .LBB6_10135
; %bb.10134:                            ;   in Loop: Header=BB6_9457 Depth=2
	v_and_b32_e32 v2, 7, v13
	v_ffbh_u32_e32 v2, v2
	v_and_b32_e32 v25, 0x7f, v13
	v_min_u32_e32 v2, 32, v2
	v_bfe_u32 v21, v13, 3, 4
	v_subrev_u32_e32 v22, 28, v2
	v_sub_u32_e32 v2, 29, v2
	v_cmp_gt_u32_e32 vcc, 8, v25
	v_cndmask_b32_e32 v2, v21, v2, vcc
	v_cndmask_b32_e32 v21, 0, v22, vcc
	v_lshlrev_b64 v[21:22], v21, v[10:11]
	v_lshl_add_u32 v2, v2, 23, v62
	v_lshlrev_b32_e32 v11, 20, v21
	v_lshlrev_b32_e32 v21, 24, v10
	v_and_b32_e32 v11, 0x700000, v11
	v_and_b32_e32 v21, 0x80000000, v21
	v_or3_b32 v2, v21, v2, v11
	v_cmp_ne_u32_e32 vcc, s39, v25
	v_mov_b32_e32 v11, 0x7f800001
	v_cndmask_b32_e32 v2, v11, v2, vcc
.LBB6_10135:                            ;   in Loop: Header=BB6_9457 Depth=2
	s_or_b64 exec, exec, s[88:89]
	v_add_f32_e32 v20, v20, v2
	v_and_b32_e32 v21, 0x7f800000, v20
	v_mov_b32_e32 v22, v51
	v_cmp_ne_u64_e32 vcc, s[46:47], v[21:22]
                                        ; implicit-def: $vgpr2
	s_and_saveexec_b64 s[20:21], vcc
	s_xor_b64 s[88:89], exec, s[20:21]
	s_cbranch_execz .LBB6_10149
; %bb.10136:                            ;   in Loop: Header=BB6_9457 Depth=2
	v_and_b32_e32 v21, 0x7fffffff, v20
	v_mov_b32_e32 v22, v51
	v_cmp_gt_u64_e32 vcc, s[56:57], v[21:22]
	v_and_b32_sdwa v11, v20, s50 dst_sel:DWORD dst_unused:UNUSED_PAD src0_sel:BYTE_3 src1_sel:DWORD
                                        ; implicit-def: $vgpr2
	s_and_saveexec_b64 s[20:21], vcc
	s_xor_b64 s[90:91], exec, s[20:21]
	s_cbranch_execz .LBB6_10146
; %bb.10137:                            ;   in Loop: Header=BB6_9457 Depth=2
	v_mov_b32_e32 v2, 0
	v_cmp_ne_u32_e32 vcc, 0, v20
	s_and_saveexec_b64 s[92:93], vcc
	s_cbranch_execz .LBB6_10145
; %bb.10138:                            ;   in Loop: Header=BB6_9457 Depth=2
	v_bfe_u32 v2, v20, 23, 8
	v_and_b32_e32 v21, 0x7fffff, v20
	v_cmp_gt_u32_e64 s[20:21], s51, v2
	v_sub_u32_e32 v20, 0x79, v2
	v_cmp_eq_u32_e32 vcc, 0, v2
	v_cndmask_b32_e64 v20, 0, v20, s[20:21]
	v_mov_b32_e32 v25, 0x78
	v_or_b32_e32 v22, 0x800000, v21
	v_cndmask_b32_e32 v25, v20, v25, vcc
	v_cndmask_b32_e32 v20, v22, v21, vcc
	v_add_u32_e32 v22, 20, v25
	v_lshlrev_b64 v[34:35], v22, -1
	v_mov_b32_e32 v21, v51
	v_add_u32_e32 v22, 19, v25
	v_bfi_b32 v34, v34, 0, v20
	v_lshlrev_b64 v[36:37], v22, 1
	v_lshrrev_b64 v[20:21], v25, v[20:21]
	v_bfi_b32 v35, v35, 0, 0
	v_cmp_eq_u64_e64 s[20:21], v[34:35], v[36:37]
	v_mov_b32_e32 v22, v21
	v_mov_b32_e32 v21, v20
	s_and_saveexec_b64 s[94:95], s[20:21]
; %bb.10139:                            ;   in Loop: Header=BB6_9457 Depth=2
	v_bfe_u32 v21, v20, 20, 1
	v_add_co_u32_e64 v21, s[20:21], v20, v21
	v_add_co_u32_e64 v21, s[20:21], -1, v21
; %bb.10140:                            ;   in Loop: Header=BB6_9457 Depth=2
	s_or_b64 exec, exec, s[94:95]
	v_add_u32_e32 v2, 0xffffff81, v2
	v_mov_b32_e32 v22, 0xffffff82
	v_cndmask_b32_e32 v2, v2, v22, vcc
	v_lshrrev_b32_e32 v22, 23, v20
	v_add3_u32 v25, v25, v2, v22
	v_add_u32_e32 v22, 6, v25
	v_and_b32_e32 v2, 0xfffff, v21
	v_add_u32_e32 v20, v2, v20
	v_mov_b32_e32 v21, v51
	v_cmp_ne_u32_e32 vcc, 0, v22
                                        ; implicit-def: $vgpr2
	s_and_saveexec_b64 s[20:21], vcc
	s_xor_b64 s[20:21], exec, s[20:21]
; %bb.10141:                            ;   in Loop: Header=BB6_9457 Depth=2
	v_cmp_lt_u64_e32 vcc, s[58:59], v[20:21]
	v_add_u32_e32 v2, 7, v25
	v_cndmask_b32_e32 v2, v22, v2, vcc
	v_cndmask_b32_e64 v22, 0, 1, vcc
	v_lshrrev_b64 v[20:21], v22, v[20:21]
; %bb.10142:                            ;   in Loop: Header=BB6_9457 Depth=2
	s_andn2_saveexec_b64 s[20:21], s[20:21]
; %bb.10143:                            ;   in Loop: Header=BB6_9457 Depth=2
	v_bfe_u32 v2, v20, 23, 1
; %bb.10144:                            ;   in Loop: Header=BB6_9457 Depth=2
	s_or_b64 exec, exec, s[20:21]
	v_lshrrev_b64 v[20:21], 20, v[20:21]
	v_cmp_gt_i32_e32 vcc, 16, v2
	v_cndmask_b32_e32 v21, 0, v21, vcc
	v_cndmask_b32_e32 v20, 7, v20, vcc
	v_cmp_eq_u32_e32 vcc, 0, v2
	v_min_i32_e32 v2, 15, v2
	v_cmp_eq_u64_e64 s[20:21], 0, v[20:21]
	v_lshlrev_b32_e32 v2, 3, v2
	v_and_b32_e32 v2, 0xf8, v2
	v_and_or_b32 v2, v20, 7, v2
	s_and_b64 s[20:21], vcc, s[20:21]
	v_cndmask_b32_e64 v2, v2, 0, s[20:21]
	v_or_b32_e32 v2, v2, v11
.LBB6_10145:                            ;   in Loop: Header=BB6_9457 Depth=2
	s_or_b64 exec, exec, s[92:93]
                                        ; implicit-def: $vgpr11
.LBB6_10146:                            ;   in Loop: Header=BB6_9457 Depth=2
	s_andn2_saveexec_b64 s[20:21], s[90:91]
; %bb.10147:                            ;   in Loop: Header=BB6_9457 Depth=2
	v_or_b32_e32 v2, 0x7e, v11
; %bb.10148:                            ;   in Loop: Header=BB6_9457 Depth=2
	s_or_b64 exec, exec, s[20:21]
                                        ; implicit-def: $vgpr20
.LBB6_10149:                            ;   in Loop: Header=BB6_9457 Depth=2
	s_andn2_saveexec_b64 s[20:21], s[88:89]
; %bb.10150:                            ;   in Loop: Header=BB6_9457 Depth=2
	v_or_b32_sdwa v2, v20, s39 dst_sel:DWORD dst_unused:UNUSED_PAD src0_sel:BYTE_3 src1_sel:DWORD
; %bb.10151:                            ;   in Loop: Header=BB6_9457 Depth=2
	s_or_b64 exec, exec, s[20:21]
	v_lshrrev_b16_e32 v11, 8, v9
	v_cmp_ne_u16_e32 vcc, 0, v11
	v_mov_b32_e32 v20, 0
	s_and_saveexec_b64 s[20:21], vcc
	s_cbranch_execz .LBB6_10157
; %bb.10152:                            ;   in Loop: Header=BB6_9457 Depth=2
	v_cmp_ne_u16_e32 vcc, s50, v11
	v_bfrev_b32_e32 v20, 1
	s_and_saveexec_b64 s[88:89], vcc
	s_cbranch_execz .LBB6_10156
; %bb.10153:                            ;   in Loop: Header=BB6_9457 Depth=2
	v_and_b32_e32 v21, 0x7f, v11
	v_cmp_ne_u32_e32 vcc, s39, v21
	v_mov_b32_e32 v20, 0x7f800001
	s_and_saveexec_b64 s[90:91], vcc
	s_cbranch_execz .LBB6_10155
; %bb.10154:                            ;   in Loop: Header=BB6_9457 Depth=2
	v_and_b32_e32 v22, 7, v11
	v_ffbh_u32_e32 v20, v22
	v_min_u32_e32 v27, 32, v20
	v_subrev_u32_e32 v20, 28, v27
	v_lshrrev_b32_e32 v25, 3, v21
	v_cmp_gt_u32_e32 vcc, 8, v21
	v_lshlrev_b64 v[20:21], v20, v[11:12]
	v_sub_u32_e32 v11, 29, v27
	v_and_b32_e32 v20, 7, v20
	v_cndmask_b32_e32 v11, v25, v11, vcc
	v_cndmask_b32_e32 v20, v22, v20, vcc
	v_lshlrev_b32_e32 v9, 16, v9
	v_lshlrev_b32_e32 v20, 20, v20
	v_and_b32_e32 v9, 0x80000000, v9
	v_lshl_add_u32 v11, v11, 23, v62
	v_or3_b32 v20, v9, v11, v20
.LBB6_10155:                            ;   in Loop: Header=BB6_9457 Depth=2
	s_or_b64 exec, exec, s[90:91]
.LBB6_10156:                            ;   in Loop: Header=BB6_9457 Depth=2
	s_or_b64 exec, exec, s[88:89]
.LBB6_10157:                            ;   in Loop: Header=BB6_9457 Depth=2
	s_or_b64 exec, exec, s[20:21]
	v_lshrrev_b16_e32 v10, 8, v10
	v_cmp_lt_i16_e32 vcc, s39, v10
	s_mov_b64 s[20:21], 0
	s_and_saveexec_b64 s[88:89], vcc
	s_xor_b64 s[88:89], exec, s[88:89]
	s_cbranch_execnz .LBB6_10257
; %bb.10158:                            ;   in Loop: Header=BB6_9457 Depth=2
	s_or_saveexec_b64 s[88:89], s[88:89]
	v_bfrev_b32_e32 v9, 1
	s_xor_b64 exec, exec, s[88:89]
	s_cbranch_execnz .LBB6_10260
.LBB6_10159:                            ;   in Loop: Header=BB6_9457 Depth=2
	s_or_b64 exec, exec, s[88:89]
	s_and_saveexec_b64 s[88:89], s[20:21]
	s_cbranch_execz .LBB6_10161
.LBB6_10160:                            ;   in Loop: Header=BB6_9457 Depth=2
	v_and_b32_e32 v9, 7, v10
	v_ffbh_u32_e32 v21, v9
	v_min_u32_e32 v34, 32, v21
	v_mov_b32_e32 v11, v51
	v_subrev_u32_e32 v21, 28, v34
	v_lshlrev_b64 v[21:22], v21, v[10:11]
	v_and_b32_e32 v25, 0x7f, v10
	v_bfe_u32 v27, v10, 3, 4
	v_sub_u32_e32 v11, 29, v34
	v_and_b32_e32 v21, 7, v21
	v_cmp_gt_u32_e32 vcc, 8, v25
	v_cndmask_b32_e32 v11, v27, v11, vcc
	v_cndmask_b32_e32 v9, v9, v21, vcc
	v_lshlrev_b32_e32 v10, 24, v10
	v_lshlrev_b32_e32 v9, 20, v9
	v_and_b32_e32 v10, 0x80000000, v10
	v_lshl_add_u32 v11, v11, 23, v62
	v_or3_b32 v9, v10, v11, v9
	v_cmp_ne_u32_e32 vcc, s39, v25
	v_mov_b32_e32 v10, 0x7f800001
	v_cndmask_b32_e32 v9, v10, v9, vcc
.LBB6_10161:                            ;   in Loop: Header=BB6_9457 Depth=2
	s_or_b64 exec, exec, s[88:89]
	v_add_f32_e32 v10, v20, v9
	v_and_b32_e32 v20, 0x7f800000, v10
	v_mov_b32_e32 v21, v51
	v_cmp_ne_u64_e32 vcc, s[46:47], v[20:21]
                                        ; implicit-def: $vgpr9
	s_and_saveexec_b64 s[20:21], vcc
	s_xor_b64 s[88:89], exec, s[20:21]
	s_cbranch_execz .LBB6_10175
; %bb.10162:                            ;   in Loop: Header=BB6_9457 Depth=2
	v_and_b32_e32 v20, 0x7fffffff, v10
	v_mov_b32_e32 v21, v51
	v_cmp_gt_u64_e32 vcc, s[56:57], v[20:21]
	v_and_b32_sdwa v22, v10, s50 dst_sel:DWORD dst_unused:UNUSED_PAD src0_sel:BYTE_3 src1_sel:DWORD
                                        ; implicit-def: $vgpr9
	s_and_saveexec_b64 s[20:21], vcc
	s_xor_b64 s[90:91], exec, s[20:21]
	s_cbranch_execz .LBB6_10172
; %bb.10163:                            ;   in Loop: Header=BB6_9457 Depth=2
	v_mov_b32_e32 v9, 0
	v_cmp_ne_u32_e32 vcc, 0, v10
	s_and_saveexec_b64 s[92:93], vcc
	s_cbranch_execz .LBB6_10171
; %bb.10164:                            ;   in Loop: Header=BB6_9457 Depth=2
	v_bfe_u32 v9, v10, 23, 8
	v_and_b32_e32 v11, 0x7fffff, v10
	v_cmp_gt_u32_e64 s[20:21], s51, v9
	v_sub_u32_e32 v10, 0x79, v9
	v_cmp_eq_u32_e32 vcc, 0, v9
	v_cndmask_b32_e64 v10, 0, v10, s[20:21]
	v_mov_b32_e32 v21, 0x78
	v_or_b32_e32 v20, 0x800000, v11
	v_cndmask_b32_e32 v25, v10, v21, vcc
	v_cndmask_b32_e32 v10, v20, v11, vcc
	v_add_u32_e32 v20, 20, v25
	v_lshlrev_b64 v[20:21], v20, -1
	v_mov_b32_e32 v11, v51
	v_add_u32_e32 v27, 19, v25
	v_bfi_b32 v20, v20, 0, v10
	v_lshlrev_b64 v[34:35], v27, 1
	v_lshrrev_b64 v[10:11], v25, v[10:11]
	v_bfi_b32 v21, v21, 0, 0
	v_cmp_eq_u64_e64 s[20:21], v[20:21], v[34:35]
	v_mov_b32_e32 v21, v11
	v_mov_b32_e32 v20, v10
	s_and_saveexec_b64 s[94:95], s[20:21]
; %bb.10165:                            ;   in Loop: Header=BB6_9457 Depth=2
	v_bfe_u32 v11, v10, 20, 1
	v_add_co_u32_e64 v11, s[20:21], v10, v11
	v_add_co_u32_e64 v20, s[20:21], -1, v11
; %bb.10166:                            ;   in Loop: Header=BB6_9457 Depth=2
	s_or_b64 exec, exec, s[94:95]
	v_add_u32_e32 v9, 0xffffff81, v9
	v_mov_b32_e32 v11, 0xffffff82
	v_cndmask_b32_e32 v9, v9, v11, vcc
	v_lshrrev_b32_e32 v11, 23, v10
	v_add3_u32 v25, v25, v9, v11
	v_add_u32_e32 v21, 6, v25
	v_and_b32_e32 v9, 0xfffff, v20
	v_add_u32_e32 v10, v9, v10
	v_mov_b32_e32 v11, v51
	v_cmp_ne_u32_e32 vcc, 0, v21
                                        ; implicit-def: $vgpr9
	s_and_saveexec_b64 s[20:21], vcc
	s_xor_b64 s[20:21], exec, s[20:21]
; %bb.10167:                            ;   in Loop: Header=BB6_9457 Depth=2
	v_cmp_lt_u64_e32 vcc, s[58:59], v[10:11]
	v_add_u32_e32 v9, 7, v25
	v_cndmask_b32_e64 v20, 0, 1, vcc
	v_cndmask_b32_e32 v9, v21, v9, vcc
	v_lshrrev_b64 v[10:11], v20, v[10:11]
; %bb.10168:                            ;   in Loop: Header=BB6_9457 Depth=2
	s_andn2_saveexec_b64 s[20:21], s[20:21]
; %bb.10169:                            ;   in Loop: Header=BB6_9457 Depth=2
	v_bfe_u32 v9, v10, 23, 1
; %bb.10170:                            ;   in Loop: Header=BB6_9457 Depth=2
	s_or_b64 exec, exec, s[20:21]
	v_lshrrev_b64 v[10:11], 20, v[10:11]
	v_cmp_gt_i32_e32 vcc, 16, v9
	v_cndmask_b32_e32 v11, 0, v11, vcc
	v_cndmask_b32_e32 v10, 7, v10, vcc
	v_cmp_eq_u32_e32 vcc, 0, v9
	v_min_i32_e32 v9, 15, v9
	v_cmp_eq_u64_e64 s[20:21], 0, v[10:11]
	v_lshlrev_b32_e32 v9, 3, v9
	v_and_b32_e32 v9, 0xf8, v9
	v_and_or_b32 v9, v10, 7, v9
	s_and_b64 s[20:21], vcc, s[20:21]
	v_cndmask_b32_e64 v9, v9, 0, s[20:21]
	v_or_b32_e32 v9, v9, v22
.LBB6_10171:                            ;   in Loop: Header=BB6_9457 Depth=2
	s_or_b64 exec, exec, s[92:93]
                                        ; implicit-def: $vgpr22
.LBB6_10172:                            ;   in Loop: Header=BB6_9457 Depth=2
	s_andn2_saveexec_b64 s[20:21], s[90:91]
; %bb.10173:                            ;   in Loop: Header=BB6_9457 Depth=2
	v_or_b32_e32 v9, 0x7e, v22
; %bb.10174:                            ;   in Loop: Header=BB6_9457 Depth=2
	s_or_b64 exec, exec, s[20:21]
                                        ; implicit-def: $vgpr10
.LBB6_10175:                            ;   in Loop: Header=BB6_9457 Depth=2
	s_andn2_saveexec_b64 s[20:21], s[88:89]
; %bb.10176:                            ;   in Loop: Header=BB6_9457 Depth=2
	v_or_b32_sdwa v9, v10, s39 dst_sel:DWORD dst_unused:UNUSED_PAD src0_sel:BYTE_3 src1_sel:DWORD
; %bb.10177:                            ;   in Loop: Header=BB6_9457 Depth=2
	s_or_b64 exec, exec, s[20:21]
	v_lshrrev_b32_e32 v10, 16, v50
	v_cmp_ne_u16_sdwa s[88:89], v10, v51 src0_sel:BYTE_0 src1_sel:DWORD
	v_mov_b32_e32 v11, 0
	s_and_saveexec_b64 s[20:21], s[88:89]
	s_cbranch_execz .LBB6_10183
; %bb.10178:                            ;   in Loop: Header=BB6_9457 Depth=2
	v_cmp_ne_u16_sdwa s[90:91], v10, s50 src0_sel:BYTE_0 src1_sel:DWORD
	v_bfrev_b32_e32 v11, 1
	s_and_saveexec_b64 s[88:89], s[90:91]
	s_cbranch_execz .LBB6_10182
; %bb.10179:                            ;   in Loop: Header=BB6_9457 Depth=2
	v_bfe_u32 v20, v50, 16, 7
	v_cmp_ne_u32_e32 vcc, s39, v20
	v_mov_b32_e32 v11, 0x7f800001
	s_and_saveexec_b64 s[90:91], vcc
	s_cbranch_execz .LBB6_10181
; %bb.10180:                            ;   in Loop: Header=BB6_9457 Depth=2
	v_and_b32_e32 v11, 7, v10
	v_lshrrev_b32_e32 v22, 3, v20
	v_cmp_gt_u32_e32 vcc, 8, v20
	v_ffbh_u32_e32 v20, v11
	v_min_u32_e32 v25, 32, v20
	v_subrev_u32_e32 v20, 28, v25
	v_lshlrev_b64 v[20:21], v20, v[10:11]
	v_sub_u32_e32 v21, 29, v25
	v_and_b32_e32 v20, 7, v20
	v_cndmask_b32_e32 v21, v22, v21, vcc
	v_cndmask_b32_e32 v11, v11, v20, vcc
	v_lshlrev_b32_e32 v10, 24, v10
	v_lshlrev_b32_e32 v11, 20, v11
	v_and_b32_e32 v10, 0x80000000, v10
	v_lshl_add_u32 v20, v21, 23, v62
	v_or3_b32 v11, v10, v20, v11
.LBB6_10181:                            ;   in Loop: Header=BB6_9457 Depth=2
	s_or_b64 exec, exec, s[90:91]
.LBB6_10182:                            ;   in Loop: Header=BB6_9457 Depth=2
	s_or_b64 exec, exec, s[88:89]
.LBB6_10183:                            ;   in Loop: Header=BB6_9457 Depth=2
	s_or_b64 exec, exec, s[20:21]
	v_lshrrev_b32_e32 v10, 16, v13
	v_cmp_gt_i16_sdwa s[88:89], v10, s39 src0_sel:BYTE_0 src1_sel:DWORD
	s_mov_b64 s[20:21], 0
	s_and_saveexec_b64 s[90:91], s[88:89]
	s_xor_b64 s[88:89], exec, s[90:91]
	s_cbranch_execnz .LBB6_10261
; %bb.10184:                            ;   in Loop: Header=BB6_9457 Depth=2
	s_or_saveexec_b64 s[88:89], s[88:89]
	v_bfrev_b32_e32 v20, 1
	s_xor_b64 exec, exec, s[88:89]
	s_cbranch_execnz .LBB6_10264
.LBB6_10185:                            ;   in Loop: Header=BB6_9457 Depth=2
	s_or_b64 exec, exec, s[88:89]
	s_and_saveexec_b64 s[88:89], s[20:21]
	s_cbranch_execz .LBB6_10187
.LBB6_10186:                            ;   in Loop: Header=BB6_9457 Depth=2
	v_and_b32_e32 v22, 7, v10
	v_ffbh_u32_e32 v20, v22
	v_min_u32_e32 v34, 32, v20
	v_subrev_u32_e32 v20, 28, v34
	v_lshlrev_b64 v[20:21], v20, v[10:11]
	v_and_b32_e32 v25, 0x7f, v10
	v_bfe_u32 v27, v10, 3, 4
	v_sub_u32_e32 v21, 29, v34
	v_and_b32_e32 v20, 7, v20
	v_cmp_gt_u32_e32 vcc, 8, v25
	v_cndmask_b32_e32 v21, v27, v21, vcc
	v_cndmask_b32_e32 v20, v22, v20, vcc
	v_lshlrev_b32_e32 v10, 24, v10
	v_lshlrev_b32_e32 v20, 20, v20
	v_and_b32_e32 v10, 0x80000000, v10
	v_lshl_add_u32 v21, v21, 23, v62
	v_or3_b32 v10, v10, v21, v20
	v_cmp_ne_u32_e32 vcc, s39, v25
	v_mov_b32_e32 v20, 0x7f800001
	v_cndmask_b32_e32 v20, v20, v10, vcc
.LBB6_10187:                            ;   in Loop: Header=BB6_9457 Depth=2
	s_or_b64 exec, exec, s[88:89]
	v_add_f32_e32 v10, v11, v20
	v_and_b32_e32 v20, 0x7f800000, v10
	v_mov_b32_e32 v21, v51
	v_cmp_ne_u64_e32 vcc, s[46:47], v[20:21]
                                        ; implicit-def: $vgpr20
	s_and_saveexec_b64 s[20:21], vcc
	s_xor_b64 s[88:89], exec, s[20:21]
	s_cbranch_execz .LBB6_10201
; %bb.10188:                            ;   in Loop: Header=BB6_9457 Depth=2
	v_and_b32_e32 v20, 0x7fffffff, v10
	v_mov_b32_e32 v21, v51
	v_cmp_gt_u64_e32 vcc, s[56:57], v[20:21]
	v_and_b32_sdwa v22, v10, s50 dst_sel:DWORD dst_unused:UNUSED_PAD src0_sel:BYTE_3 src1_sel:DWORD
                                        ; implicit-def: $vgpr20
	s_and_saveexec_b64 s[20:21], vcc
	s_xor_b64 s[90:91], exec, s[20:21]
	s_cbranch_execz .LBB6_10198
; %bb.10189:                            ;   in Loop: Header=BB6_9457 Depth=2
	v_mov_b32_e32 v20, 0
	v_cmp_ne_u32_e32 vcc, 0, v10
	s_and_saveexec_b64 s[92:93], vcc
	s_cbranch_execz .LBB6_10197
; %bb.10190:                            ;   in Loop: Header=BB6_9457 Depth=2
	v_bfe_u32 v25, v10, 23, 8
	v_and_b32_e32 v11, 0x7fffff, v10
	v_cmp_gt_u32_e64 s[20:21], s51, v25
	v_sub_u32_e32 v10, 0x79, v25
	v_cmp_eq_u32_e32 vcc, 0, v25
	v_cndmask_b32_e64 v10, 0, v10, s[20:21]
	v_mov_b32_e32 v21, 0x78
	v_or_b32_e32 v20, 0x800000, v11
	v_cndmask_b32_e32 v27, v10, v21, vcc
	v_cndmask_b32_e32 v10, v20, v11, vcc
	v_add_u32_e32 v20, 20, v27
	v_lshlrev_b64 v[20:21], v20, -1
	v_mov_b32_e32 v11, v51
	v_add_u32_e32 v34, 19, v27
	v_bfi_b32 v20, v20, 0, v10
	v_lshlrev_b64 v[34:35], v34, 1
	v_lshrrev_b64 v[10:11], v27, v[10:11]
	v_bfi_b32 v21, v21, 0, 0
	v_cmp_eq_u64_e64 s[20:21], v[20:21], v[34:35]
	v_mov_b32_e32 v21, v11
	v_mov_b32_e32 v20, v10
	s_and_saveexec_b64 s[94:95], s[20:21]
; %bb.10191:                            ;   in Loop: Header=BB6_9457 Depth=2
	v_bfe_u32 v11, v10, 20, 1
	v_add_co_u32_e64 v11, s[20:21], v10, v11
	v_add_co_u32_e64 v20, s[20:21], -1, v11
; %bb.10192:                            ;   in Loop: Header=BB6_9457 Depth=2
	s_or_b64 exec, exec, s[94:95]
	v_add_u32_e32 v11, 0xffffff81, v25
	v_mov_b32_e32 v21, 0xffffff82
	v_cndmask_b32_e32 v11, v11, v21, vcc
	v_lshrrev_b32_e32 v21, 23, v10
	v_add3_u32 v25, v27, v11, v21
	v_add_u32_e32 v21, 6, v25
	v_and_b32_e32 v11, 0xfffff, v20
	v_add_u32_e32 v10, v11, v10
	v_mov_b32_e32 v11, v51
	v_cmp_ne_u32_e32 vcc, 0, v21
                                        ; implicit-def: $vgpr20
	s_and_saveexec_b64 s[20:21], vcc
	s_xor_b64 s[20:21], exec, s[20:21]
; %bb.10193:                            ;   in Loop: Header=BB6_9457 Depth=2
	v_cmp_lt_u64_e32 vcc, s[58:59], v[10:11]
	v_add_u32_e32 v20, 7, v25
	v_cndmask_b32_e32 v20, v21, v20, vcc
	v_cndmask_b32_e64 v21, 0, 1, vcc
	v_lshrrev_b64 v[10:11], v21, v[10:11]
; %bb.10194:                            ;   in Loop: Header=BB6_9457 Depth=2
	s_andn2_saveexec_b64 s[20:21], s[20:21]
; %bb.10195:                            ;   in Loop: Header=BB6_9457 Depth=2
	v_bfe_u32 v20, v10, 23, 1
; %bb.10196:                            ;   in Loop: Header=BB6_9457 Depth=2
	s_or_b64 exec, exec, s[20:21]
	v_lshrrev_b64 v[10:11], 20, v[10:11]
	v_cmp_gt_i32_e32 vcc, 16, v20
	v_cndmask_b32_e32 v11, 0, v11, vcc
	v_cndmask_b32_e32 v10, 7, v10, vcc
	v_cmp_eq_u64_e64 s[20:21], 0, v[10:11]
	v_min_i32_e32 v11, 15, v20
	v_lshlrev_b32_e32 v11, 3, v11
	v_cmp_eq_u32_e32 vcc, 0, v20
	v_and_b32_e32 v11, 0xf8, v11
	v_and_or_b32 v10, v10, 7, v11
	s_and_b64 s[20:21], vcc, s[20:21]
	v_cndmask_b32_e64 v10, v10, 0, s[20:21]
	v_or_b32_e32 v20, v10, v22
.LBB6_10197:                            ;   in Loop: Header=BB6_9457 Depth=2
	s_or_b64 exec, exec, s[92:93]
                                        ; implicit-def: $vgpr22
.LBB6_10198:                            ;   in Loop: Header=BB6_9457 Depth=2
	s_andn2_saveexec_b64 s[20:21], s[90:91]
; %bb.10199:                            ;   in Loop: Header=BB6_9457 Depth=2
	v_or_b32_e32 v20, 0x7e, v22
; %bb.10200:                            ;   in Loop: Header=BB6_9457 Depth=2
	s_or_b64 exec, exec, s[20:21]
                                        ; implicit-def: $vgpr10
.LBB6_10201:                            ;   in Loop: Header=BB6_9457 Depth=2
	s_andn2_saveexec_b64 s[20:21], s[88:89]
; %bb.10202:                            ;   in Loop: Header=BB6_9457 Depth=2
	v_or_b32_sdwa v20, v10, s39 dst_sel:DWORD dst_unused:UNUSED_PAD src0_sel:BYTE_3 src1_sel:DWORD
; %bb.10203:                            ;   in Loop: Header=BB6_9457 Depth=2
	s_or_b64 exec, exec, s[20:21]
	v_cmp_lt_u32_e32 vcc, s61, v50
	v_mov_b32_e32 v11, 0
	s_and_saveexec_b64 s[20:21], vcc
	s_cbranch_execz .LBB6_10209
; %bb.10204:                            ;   in Loop: Header=BB6_9457 Depth=2
	v_lshrrev_b32_e32 v10, 24, v50
	v_cmp_ne_u32_sdwa s[90:91], v50, s50 src0_sel:BYTE_3 src1_sel:DWORD
	v_bfrev_b32_e32 v11, 1
	s_and_saveexec_b64 s[88:89], s[90:91]
	s_cbranch_execz .LBB6_10208
; %bb.10205:                            ;   in Loop: Header=BB6_9457 Depth=2
	v_bfe_u32 v21, v50, 24, 7
	v_cmp_ne_u32_e32 vcc, s39, v21
	v_mov_b32_e32 v11, 0x7f800001
	s_and_saveexec_b64 s[90:91], vcc
	s_cbranch_execz .LBB6_10207
; %bb.10206:                            ;   in Loop: Header=BB6_9457 Depth=2
	v_and_b32_e32 v22, 7, v10
	v_ffbh_u32_e32 v11, v22
	v_lshrrev_b32_e32 v25, 3, v21
	v_cmp_gt_u32_e32 vcc, 8, v21
	v_min_u32_e32 v21, 32, v11
	v_subrev_u32_e32 v11, 28, v21
	v_lshlrev_b64 v[10:11], v11, v[10:11]
	v_sub_u32_e32 v11, 29, v21
	v_and_b32_e32 v10, 7, v10
	v_mov_b32_e32 v21, 24
	v_cndmask_b32_e32 v11, v25, v11, vcc
	v_cndmask_b32_e32 v10, v22, v10, vcc
	v_lshlrev_b32_sdwa v21, v21, v50 dst_sel:DWORD dst_unused:UNUSED_PAD src0_sel:DWORD src1_sel:BYTE_3
	v_lshlrev_b32_e32 v10, 20, v10
	v_and_b32_e32 v21, 0x80000000, v21
	v_lshl_add_u32 v11, v11, 23, v62
	v_or3_b32 v11, v21, v11, v10
.LBB6_10207:                            ;   in Loop: Header=BB6_9457 Depth=2
	s_or_b64 exec, exec, s[90:91]
.LBB6_10208:                            ;   in Loop: Header=BB6_9457 Depth=2
	s_or_b64 exec, exec, s[88:89]
.LBB6_10209:                            ;   in Loop: Header=BB6_9457 Depth=2
	s_or_b64 exec, exec, s[20:21]
	v_bfe_u32 v25, v13, 24, 3
	v_ffbh_u32_e32 v21, v25
	v_min_u32_e32 v35, 32, v21
	v_lshrrev_b32_e32 v10, 24, v13
	v_subrev_u32_e32 v21, 28, v35
	v_lshlrev_b64 v[21:22], v21, v[10:11]
	v_bfe_u32 v27, v13, 24, 7
	v_bfe_u32 v34, v10, 3, 4
	v_sub_u32_e32 v22, 29, v35
	v_and_b32_e32 v21, 7, v21
	v_cmp_gt_u32_e32 vcc, 8, v27
	v_cndmask_b32_e32 v22, v34, v22, vcc
	v_cndmask_b32_e32 v21, v25, v21, vcc
	v_lshlrev_b32_e32 v21, 20, v21
	v_and_b32_e32 v25, 0x80000000, v13
	v_lshl_add_u32 v22, v22, 23, v62
	v_or3_b32 v21, v25, v22, v21
	v_cmp_ne_u32_e32 vcc, s39, v27
	v_mov_b32_e32 v22, 0x7f800001
	v_cndmask_b32_e32 v21, v22, v21, vcc
	v_cmp_ne_u32_e32 vcc, s50, v10
	v_bfrev_b32_e32 v10, 1
	v_cndmask_b32_e32 v10, v10, v21, vcc
	v_cmp_lt_u64_e32 vcc, s[60:61], v[12:13]
	v_cndmask_b32_e32 v10, 0, v10, vcc
	v_add_f32_e32 v11, v10, v11
	v_and_b32_e32 v50, 0x7f800000, v11
	v_cmp_ne_u64_e32 vcc, s[46:47], v[50:51]
                                        ; implicit-def: $vgpr10
	s_and_saveexec_b64 s[20:21], vcc
	s_xor_b64 s[88:89], exec, s[20:21]
	s_cbranch_execz .LBB6_10223
; %bb.10210:                            ;   in Loop: Header=BB6_9457 Depth=2
	v_and_b32_e32 v50, 0x7fffffff, v11
	v_cmp_gt_u64_e32 vcc, s[56:57], v[50:51]
	v_and_b32_sdwa v13, v11, s50 dst_sel:DWORD dst_unused:UNUSED_PAD src0_sel:BYTE_3 src1_sel:DWORD
                                        ; implicit-def: $vgpr10
	s_and_saveexec_b64 s[20:21], vcc
	s_xor_b64 s[90:91], exec, s[20:21]
	s_cbranch_execz .LBB6_10220
; %bb.10211:                            ;   in Loop: Header=BB6_9457 Depth=2
	v_mov_b32_e32 v10, 0
	v_cmp_ne_u32_e32 vcc, 0, v11
	s_and_saveexec_b64 s[92:93], vcc
	s_cbranch_execz .LBB6_10219
; %bb.10212:                            ;   in Loop: Header=BB6_9457 Depth=2
	v_bfe_u32 v21, v11, 23, 8
	v_and_b32_e32 v10, 0x7fffff, v11
	v_cmp_gt_u32_e64 s[20:21], s51, v21
	v_sub_u32_e32 v11, 0x79, v21
	v_cmp_eq_u32_e32 vcc, 0, v21
	v_cndmask_b32_e64 v11, 0, v11, s[20:21]
	v_mov_b32_e32 v22, 0x78
	v_or_b32_e32 v12, 0x800000, v10
	v_cndmask_b32_e32 v22, v11, v22, vcc
	v_cndmask_b32_e32 v50, v12, v10, vcc
	v_add_u32_e32 v10, 20, v22
	v_lshlrev_b64 v[10:11], v10, -1
	v_add_u32_e32 v12, 19, v22
	v_lshlrev_b64 v[34:35], v12, 1
	v_bfi_b32 v11, v11, 0, 0
	v_bfi_b32 v10, v10, 0, v50
	v_cmp_eq_u64_e64 s[20:21], v[10:11], v[34:35]
	v_lshrrev_b64 v[10:11], v22, v[50:51]
	v_mov_b32_e32 v12, v11
	v_mov_b32_e32 v11, v10
	s_and_saveexec_b64 s[94:95], s[20:21]
; %bb.10213:                            ;   in Loop: Header=BB6_9457 Depth=2
	v_bfe_u32 v11, v10, 20, 1
	v_add_co_u32_e64 v11, s[20:21], v10, v11
	v_add_co_u32_e64 v11, s[20:21], -1, v11
; %bb.10214:                            ;   in Loop: Header=BB6_9457 Depth=2
	s_or_b64 exec, exec, s[94:95]
	v_add_u32_e32 v12, 0xffffff81, v21
	v_mov_b32_e32 v21, 0xffffff82
	v_cndmask_b32_e32 v12, v12, v21, vcc
	v_lshrrev_b32_e32 v21, 23, v10
	v_add3_u32 v22, v22, v12, v21
	v_add_u32_e32 v21, 6, v22
	v_and_b32_e32 v11, 0xfffff, v11
	v_add_u32_e32 v50, v11, v10
	v_cmp_ne_u32_e32 vcc, 0, v21
                                        ; implicit-def: $vgpr10_vgpr11
                                        ; implicit-def: $vgpr12
	s_and_saveexec_b64 s[20:21], vcc
	s_xor_b64 s[20:21], exec, s[20:21]
; %bb.10215:                            ;   in Loop: Header=BB6_9457 Depth=2
	v_cmp_lt_u64_e32 vcc, s[58:59], v[50:51]
	v_add_u32_e32 v10, 7, v22
	v_cndmask_b32_e32 v12, v21, v10, vcc
	v_cndmask_b32_e64 v10, 0, 1, vcc
	v_lshrrev_b64 v[10:11], v10, v[50:51]
; %bb.10216:                            ;   in Loop: Header=BB6_9457 Depth=2
	s_andn2_saveexec_b64 s[20:21], s[20:21]
; %bb.10217:                            ;   in Loop: Header=BB6_9457 Depth=2
	v_mov_b32_e32 v10, v50
	v_bfe_u32 v12, v50, 23, 1
	v_mov_b32_e32 v11, v51
; %bb.10218:                            ;   in Loop: Header=BB6_9457 Depth=2
	s_or_b64 exec, exec, s[20:21]
	v_lshrrev_b64 v[10:11], 20, v[10:11]
	v_cmp_gt_i32_e32 vcc, 16, v12
	v_cndmask_b32_e32 v11, 0, v11, vcc
	v_cndmask_b32_e32 v10, 7, v10, vcc
	v_cmp_eq_u64_e64 s[20:21], 0, v[10:11]
	v_min_i32_e32 v11, 15, v12
	v_lshlrev_b32_e32 v11, 3, v11
	v_cmp_eq_u32_e32 vcc, 0, v12
	v_and_b32_e32 v11, 0xf8, v11
	v_and_or_b32 v10, v10, 7, v11
	s_and_b64 s[20:21], vcc, s[20:21]
	v_cndmask_b32_e64 v10, v10, 0, s[20:21]
	v_or_b32_e32 v10, v10, v13
.LBB6_10219:                            ;   in Loop: Header=BB6_9457 Depth=2
	s_or_b64 exec, exec, s[92:93]
                                        ; implicit-def: $vgpr13
.LBB6_10220:                            ;   in Loop: Header=BB6_9457 Depth=2
	s_andn2_saveexec_b64 s[20:21], s[90:91]
; %bb.10221:                            ;   in Loop: Header=BB6_9457 Depth=2
	v_or_b32_e32 v10, 0x7e, v13
; %bb.10222:                            ;   in Loop: Header=BB6_9457 Depth=2
	s_or_b64 exec, exec, s[20:21]
                                        ; implicit-def: $vgpr11
.LBB6_10223:                            ;   in Loop: Header=BB6_9457 Depth=2
	s_andn2_saveexec_b64 s[20:21], s[88:89]
	s_cbranch_execz .LBB6_9456
; %bb.10224:                            ;   in Loop: Header=BB6_9457 Depth=2
	v_or_b32_sdwa v10, v11, s39 dst_sel:DWORD dst_unused:UNUSED_PAD src0_sel:BYTE_3 src1_sel:DWORD
	s_branch .LBB6_9456
.LBB6_10225:                            ;   in Loop: Header=BB6_9457 Depth=2
	v_cmp_eq_u16_sdwa s[92:93], v10, s50 src0_sel:BYTE_0 src1_sel:DWORD
	s_mov_b64 s[20:21], -1
	s_and_saveexec_b64 s[90:91], s[92:93]
; %bb.10226:                            ;   in Loop: Header=BB6_9457 Depth=2
	s_xor_b64 s[20:21], exec, -1
; %bb.10227:                            ;   in Loop: Header=BB6_9457 Depth=2
	s_or_b64 exec, exec, s[90:91]
	s_and_b64 s[20:21], s[20:21], exec
	s_or_saveexec_b64 s[88:89], s[88:89]
	v_bfrev_b32_e32 v6, 1
	s_xor_b64 exec, exec, s[88:89]
	s_cbranch_execz .LBB6_9825
.LBB6_10228:                            ;   in Loop: Header=BB6_9457 Depth=2
	v_cmp_ne_u16_sdwa s[90:91], v10, v51 src0_sel:BYTE_0 src1_sel:DWORD
	s_andn2_b64 s[20:21], s[20:21], exec
	s_and_b64 s[90:91], s[90:91], exec
	v_mov_b32_e32 v6, 0
	s_or_b64 s[20:21], s[20:21], s[90:91]
	s_or_b64 exec, exec, s[88:89]
	s_and_saveexec_b64 s[88:89], s[20:21]
	s_cbranch_execnz .LBB6_9826
	s_branch .LBB6_9827
.LBB6_10229:                            ;   in Loop: Header=BB6_9457 Depth=2
	v_cmp_eq_u16_e32 vcc, s50, v20
	s_mov_b64 s[20:21], -1
	s_and_saveexec_b64 s[90:91], vcc
; %bb.10230:                            ;   in Loop: Header=BB6_9457 Depth=2
	s_xor_b64 s[20:21], exec, -1
; %bb.10231:                            ;   in Loop: Header=BB6_9457 Depth=2
	s_or_b64 exec, exec, s[90:91]
	s_and_b64 s[20:21], s[20:21], exec
	s_or_saveexec_b64 s[88:89], s[88:89]
	v_bfrev_b32_e32 v7, 1
	s_xor_b64 exec, exec, s[88:89]
	s_cbranch_execz .LBB6_9851
.LBB6_10232:                            ;   in Loop: Header=BB6_9457 Depth=2
	v_cmp_ne_u16_e32 vcc, 0, v20
	s_andn2_b64 s[20:21], s[20:21], exec
	s_and_b64 s[90:91], vcc, exec
	v_mov_b32_e32 v7, 0
	s_or_b64 s[20:21], s[20:21], s[90:91]
	s_or_b64 exec, exec, s[88:89]
	s_and_saveexec_b64 s[88:89], s[20:21]
	s_cbranch_execnz .LBB6_9852
	s_branch .LBB6_9853
.LBB6_10233:                            ;   in Loop: Header=BB6_9457 Depth=2
	v_cmp_eq_u16_sdwa s[92:93], v20, s50 src0_sel:BYTE_0 src1_sel:DWORD
	s_mov_b64 s[20:21], -1
	s_and_saveexec_b64 s[90:91], s[92:93]
; %bb.10234:                            ;   in Loop: Header=BB6_9457 Depth=2
	s_xor_b64 s[20:21], exec, -1
; %bb.10235:                            ;   in Loop: Header=BB6_9457 Depth=2
	s_or_b64 exec, exec, s[90:91]
	s_and_b64 s[20:21], s[20:21], exec
	s_or_saveexec_b64 s[88:89], s[88:89]
	v_bfrev_b32_e32 v22, 1
	s_xor_b64 exec, exec, s[88:89]
	s_cbranch_execz .LBB6_9877
.LBB6_10236:                            ;   in Loop: Header=BB6_9457 Depth=2
	v_cmp_ne_u16_sdwa s[90:91], v20, v51 src0_sel:BYTE_0 src1_sel:DWORD
	s_andn2_b64 s[20:21], s[20:21], exec
	s_and_b64 s[90:91], s[90:91], exec
	v_mov_b32_e32 v22, 0
	s_or_b64 s[20:21], s[20:21], s[90:91]
	s_or_b64 exec, exec, s[88:89]
	s_and_saveexec_b64 s[88:89], s[20:21]
	s_cbranch_execnz .LBB6_9878
	s_branch .LBB6_9879
.LBB6_10237:                            ;   in Loop: Header=BB6_9457 Depth=2
	v_cmp_eq_u16_e32 vcc, s50, v20
	s_mov_b64 s[20:21], -1
	s_and_saveexec_b64 s[90:91], vcc
; %bb.10238:                            ;   in Loop: Header=BB6_9457 Depth=2
	s_xor_b64 s[20:21], exec, -1
; %bb.10239:                            ;   in Loop: Header=BB6_9457 Depth=2
	s_or_b64 exec, exec, s[90:91]
	s_and_b64 s[20:21], s[20:21], exec
	s_or_saveexec_b64 s[88:89], s[88:89]
	v_bfrev_b32_e32 v21, 1
	s_xor_b64 exec, exec, s[88:89]
	s_cbranch_execz .LBB6_9955
.LBB6_10240:                            ;   in Loop: Header=BB6_9457 Depth=2
	v_cmp_ne_u16_e32 vcc, 0, v20
	s_andn2_b64 s[20:21], s[20:21], exec
	s_and_b64 s[90:91], vcc, exec
	v_mov_b32_e32 v21, 0
	s_or_b64 s[20:21], s[20:21], s[90:91]
	s_or_b64 exec, exec, s[88:89]
	s_and_saveexec_b64 s[88:89], s[20:21]
	s_cbranch_execnz .LBB6_9956
	s_branch .LBB6_9957
.LBB6_10241:                            ;   in Loop: Header=BB6_9457 Depth=2
	v_cmp_eq_u16_sdwa s[92:93], v20, s50 src0_sel:BYTE_0 src1_sel:DWORD
	s_mov_b64 s[20:21], -1
	s_and_saveexec_b64 s[90:91], s[92:93]
; %bb.10242:                            ;   in Loop: Header=BB6_9457 Depth=2
	s_xor_b64 s[20:21], exec, -1
; %bb.10243:                            ;   in Loop: Header=BB6_9457 Depth=2
	s_or_b64 exec, exec, s[90:91]
	s_and_b64 s[20:21], s[20:21], exec
	s_or_saveexec_b64 s[88:89], s[88:89]
	v_bfrev_b32_e32 v22, 1
	s_xor_b64 exec, exec, s[88:89]
	s_cbranch_execz .LBB6_9981
.LBB6_10244:                            ;   in Loop: Header=BB6_9457 Depth=2
	v_cmp_ne_u16_sdwa s[90:91], v20, v51 src0_sel:BYTE_0 src1_sel:DWORD
	s_andn2_b64 s[20:21], s[20:21], exec
	s_and_b64 s[90:91], s[90:91], exec
	v_mov_b32_e32 v22, 0
	s_or_b64 s[20:21], s[20:21], s[90:91]
	s_or_b64 exec, exec, s[88:89]
	s_and_saveexec_b64 s[88:89], s[20:21]
	s_cbranch_execnz .LBB6_9982
	s_branch .LBB6_9983
.LBB6_10245:                            ;   in Loop: Header=BB6_9457 Depth=2
	v_cmp_eq_u16_sdwa s[92:93], v12, s50 src0_sel:BYTE_0 src1_sel:DWORD
	s_mov_b64 s[20:21], -1
	s_and_saveexec_b64 s[90:91], s[92:93]
; %bb.10246:                            ;   in Loop: Header=BB6_9457 Depth=2
	s_xor_b64 s[20:21], exec, -1
; %bb.10247:                            ;   in Loop: Header=BB6_9457 Depth=2
	s_or_b64 exec, exec, s[90:91]
	s_and_b64 s[20:21], s[20:21], exec
	s_or_saveexec_b64 s[88:89], s[88:89]
	v_bfrev_b32_e32 v8, 1
	s_xor_b64 exec, exec, s[88:89]
	s_cbranch_execz .LBB6_10029
.LBB6_10248:                            ;   in Loop: Header=BB6_9457 Depth=2
	v_cmp_ne_u16_sdwa s[90:91], v12, v51 src0_sel:BYTE_0 src1_sel:DWORD
	s_andn2_b64 s[20:21], s[20:21], exec
	s_and_b64 s[90:91], s[90:91], exec
	v_mov_b32_e32 v8, 0
	s_or_b64 s[20:21], s[20:21], s[90:91]
	s_or_b64 exec, exec, s[88:89]
	s_and_saveexec_b64 s[88:89], s[20:21]
	s_cbranch_execnz .LBB6_10030
	s_branch .LBB6_10031
.LBB6_10249:                            ;   in Loop: Header=BB6_9457 Depth=2
	v_cmp_eq_u16_e32 vcc, s50, v10
	s_mov_b64 s[20:21], -1
	s_and_saveexec_b64 s[90:91], vcc
; %bb.10250:                            ;   in Loop: Header=BB6_9457 Depth=2
	s_xor_b64 s[20:21], exec, -1
; %bb.10251:                            ;   in Loop: Header=BB6_9457 Depth=2
	s_or_b64 exec, exec, s[90:91]
	s_and_b64 s[20:21], s[20:21], exec
	s_or_saveexec_b64 s[88:89], s[88:89]
	v_bfrev_b32_e32 v11, 1
	s_xor_b64 exec, exec, s[88:89]
	s_cbranch_execz .LBB6_10055
.LBB6_10252:                            ;   in Loop: Header=BB6_9457 Depth=2
	v_cmp_ne_u16_e32 vcc, 0, v10
	s_andn2_b64 s[20:21], s[20:21], exec
	s_and_b64 s[90:91], vcc, exec
	v_mov_b32_e32 v11, 0
	s_or_b64 s[20:21], s[20:21], s[90:91]
	s_or_b64 exec, exec, s[88:89]
	s_and_saveexec_b64 s[88:89], s[20:21]
	s_cbranch_execnz .LBB6_10056
	s_branch .LBB6_10057
.LBB6_10253:                            ;   in Loop: Header=BB6_9457 Depth=2
	v_cmp_eq_u16_sdwa s[92:93], v10, s50 src0_sel:BYTE_0 src1_sel:DWORD
	s_mov_b64 s[20:21], -1
	s_and_saveexec_b64 s[90:91], s[92:93]
; %bb.10254:                            ;   in Loop: Header=BB6_9457 Depth=2
	s_xor_b64 s[20:21], exec, -1
; %bb.10255:                            ;   in Loop: Header=BB6_9457 Depth=2
	s_or_b64 exec, exec, s[90:91]
	s_and_b64 s[20:21], s[20:21], exec
	s_or_saveexec_b64 s[88:89], s[88:89]
	v_bfrev_b32_e32 v20, 1
	s_xor_b64 exec, exec, s[88:89]
	s_cbranch_execz .LBB6_10081
.LBB6_10256:                            ;   in Loop: Header=BB6_9457 Depth=2
	v_cmp_ne_u16_sdwa s[90:91], v10, v51 src0_sel:BYTE_0 src1_sel:DWORD
	s_andn2_b64 s[20:21], s[20:21], exec
	s_and_b64 s[90:91], s[90:91], exec
	v_mov_b32_e32 v20, 0
	s_or_b64 s[20:21], s[20:21], s[90:91]
	s_or_b64 exec, exec, s[88:89]
	s_and_saveexec_b64 s[88:89], s[20:21]
	s_cbranch_execnz .LBB6_10082
	s_branch .LBB6_10083
.LBB6_10257:                            ;   in Loop: Header=BB6_9457 Depth=2
	v_cmp_eq_u16_e32 vcc, s50, v10
	s_mov_b64 s[20:21], -1
	s_and_saveexec_b64 s[90:91], vcc
; %bb.10258:                            ;   in Loop: Header=BB6_9457 Depth=2
	s_xor_b64 s[20:21], exec, -1
; %bb.10259:                            ;   in Loop: Header=BB6_9457 Depth=2
	s_or_b64 exec, exec, s[90:91]
	s_and_b64 s[20:21], s[20:21], exec
	s_or_saveexec_b64 s[88:89], s[88:89]
	v_bfrev_b32_e32 v9, 1
	s_xor_b64 exec, exec, s[88:89]
	s_cbranch_execz .LBB6_10159
.LBB6_10260:                            ;   in Loop: Header=BB6_9457 Depth=2
	v_cmp_ne_u16_e32 vcc, 0, v10
	s_andn2_b64 s[20:21], s[20:21], exec
	s_and_b64 s[90:91], vcc, exec
	v_mov_b32_e32 v9, 0
	s_or_b64 s[20:21], s[20:21], s[90:91]
	s_or_b64 exec, exec, s[88:89]
	s_and_saveexec_b64 s[88:89], s[20:21]
	s_cbranch_execnz .LBB6_10160
	s_branch .LBB6_10161
.LBB6_10261:                            ;   in Loop: Header=BB6_9457 Depth=2
	v_cmp_eq_u16_sdwa s[92:93], v10, s50 src0_sel:BYTE_0 src1_sel:DWORD
	s_mov_b64 s[20:21], -1
	s_and_saveexec_b64 s[90:91], s[92:93]
; %bb.10262:                            ;   in Loop: Header=BB6_9457 Depth=2
	s_xor_b64 s[20:21], exec, -1
; %bb.10263:                            ;   in Loop: Header=BB6_9457 Depth=2
	s_or_b64 exec, exec, s[90:91]
	s_and_b64 s[20:21], s[20:21], exec
	s_or_saveexec_b64 s[88:89], s[88:89]
	v_bfrev_b32_e32 v20, 1
	s_xor_b64 exec, exec, s[88:89]
	s_cbranch_execz .LBB6_10185
.LBB6_10264:                            ;   in Loop: Header=BB6_9457 Depth=2
	v_cmp_ne_u16_sdwa s[90:91], v10, v51 src0_sel:BYTE_0 src1_sel:DWORD
	s_andn2_b64 s[20:21], s[20:21], exec
	s_and_b64 s[90:91], s[90:91], exec
	v_mov_b32_e32 v20, 0
	s_or_b64 s[20:21], s[20:21], s[90:91]
	s_or_b64 exec, exec, s[88:89]
	s_and_saveexec_b64 s[88:89], s[20:21]
	s_cbranch_execnz .LBB6_10186
	s_branch .LBB6_10187
.LBB6_10265:                            ;   in Loop: Header=BB6_6169 Depth=1
	s_or_b64 exec, exec, s[78:79]
.LBB6_10266:                            ;   in Loop: Header=BB6_6169 Depth=1
	s_or_b64 exec, exec, s[76:77]
	buffer_load_dword v4, off, s[0:3], s33 offset:348 ; 4-byte Folded Reload
	v_cmp_lt_i32_e32 vcc, 0, v5
	s_waitcnt vmcnt(0)
	v_and_b32_e32 v3, 0x3f0, v4
	v_and_b32_e32 v2, 15, v4
	v_cndmask_b32_e64 v3, 0, v3, s[18:19]
	v_and_or_b32 v8, v4, s53, v3
	v_cndmask_b32_e64 v3, v1, v2, s[18:19]
	buffer_load_dword v1, off, s[0:3], s33 offset:160 ; 4-byte Folded Reload
	s_waitcnt vmcnt(0)
	v_cndmask_b32_e32 v1, 0, v1, vcc
	v_sub_u32_e32 v1, v1, v5
	v_cmp_ne_u32_e32 vcc, 0, v3
	v_lshl_add_u32 v4, v1, 6, v0
	s_and_b64 s[18:19], vcc, exec
.LBB6_10267:                            ;   in Loop: Header=BB6_6169 Depth=1
	s_or_b64 exec, exec, s[74:75]
	s_and_saveexec_b64 s[20:21], s[18:19]
	s_cbranch_execz .LBB6_12200
.LBB6_10268:                            ;   in Loop: Header=BB6_6169 Depth=1
	s_waitcnt vmcnt(1)
	v_ashrrev_i32_e32 v0, 31, v4
	v_lshrrev_b32_e32 v0, 26, v0
	v_add_u32_e32 v0, v4, v0
	v_ashrrev_i32_e32 v2, 6, v0
	v_lshrrev_b32_e32 v1, 11, v3
	v_sub_u32_e32 v7, v1, v2
	v_cmp_lt_i32_e32 vcc, 0, v7
	s_and_saveexec_b64 s[74:75], vcc
	s_cbranch_execz .LBB6_12133
; %bb.10269:                            ;   in Loop: Header=BB6_6169 Depth=1
	v_and_b32_e32 v0, 0xffffffc0, v0
	v_sub_u32_e32 v0, v4, v0
	v_lshlrev_b32_e32 v1, 11, v2
	buffer_store_dword v3, off, s[0:3], s33 offset:188 ; 4-byte Folded Spill
	buffer_store_dword v4, off, s[0:3], s33 offset:192 ; 4-byte Folded Spill
	;; [unrolled: 1-line block ×4, first 2 shown]
	v_add3_u32 v2, v8, v0, v1
	s_trap 2
	ds_read_b64 v[0:1], v0
	v_ashrrev_i32_e32 v3, 31, v2
	v_add_co_u32_e32 v10, vcc, v2, v52
	v_addc_co_u32_e32 v11, vcc, v3, v53, vcc
	s_waitcnt lgkmcnt(0)
	v_add_co_u32_e32 v12, vcc, v0, v2
	v_addc_co_u32_e32 v13, vcc, v1, v3, vcc
	v_add_co_u32_e32 v0, vcc, 0x7c0, v48
	v_addc_co_u32_e32 v1, vcc, 0, v49, vcc
	;; [unrolled: 2-line block ×3, first 2 shown]
	s_mov_b64 s[76:77], 0
	s_branch .LBB6_10271
.LBB6_10270:                            ;   in Loop: Header=BB6_10271 Depth=2
	s_or_b64 exec, exec, s[18:19]
	v_add_co_u32_e32 v24, vcc, 0xfffff840, v14
	v_addc_co_u32_e32 v25, vcc, -1, v15, vcc
	flat_store_byte v[24:25], v29 glc slc
	v_add_co_u32_e32 v24, vcc, 0xfffff880, v14
	v_addc_co_u32_e32 v25, vcc, -1, v15, vcc
	flat_store_byte v[24:25], v26 glc slc
	;; [unrolled: 3-line block ×31, first 2 shown]
	flat_store_byte v[14:15], v17 glc slc
	buffer_load_dword v1, off, s[0:3], s33 offset:324 ; 4-byte Folded Reload
	s_nop 0
	buffer_load_dword v0, off, s[0:3], s33 offset:160 ; 4-byte Folded Reload
	s_waitcnt vmcnt(0)
	v_add_co_u32_e32 v10, vcc, v10, v1
	v_addc_co_u32_e32 v11, vcc, 0, v11, vcc
	v_add_co_u32_e32 v12, vcc, v12, v1
	v_addc_co_u32_e32 v13, vcc, 0, v13, vcc
	v_sub_u32_e32 v7, v7, v0
	v_cmp_gt_i32_e32 vcc, 1, v7
	s_or_b64 s[76:77], vcc, s[76:77]
	v_add_co_u32_e32 v14, vcc, v14, v1
	v_addc_co_u32_e32 v15, vcc, 0, v15, vcc
	s_andn2_b64 exec, exec, s[76:77]
	s_cbranch_execz .LBB6_12132
.LBB6_10271:                            ;   Parent Loop BB6_6169 Depth=1
                                        ; =>  This Inner Loop Header: Depth=2
	s_trap 2
	ds_read_b64 v[16:17], v0
	s_waitcnt lgkmcnt(0)
	v_cmp_eq_u32_sdwa s[78:79], v16, v51 src0_sel:BYTE_0 src1_sel:DWORD
	v_readfirstlane_b32 s18, v16
	s_and_b64 vcc, exec, s[78:79]
	v_readfirstlane_b32 s19, v17
	s_cbranch_vccnz .LBB6_10275
; %bb.10272:                            ;   in Loop: Header=BB6_10271 Depth=2
	v_cmp_eq_u32_sdwa s[78:79], v16, s50 src0_sel:BYTE_0 src1_sel:DWORD
	s_and_b64 vcc, exec, s[78:79]
	s_brev_b32 s94, 1
	s_cbranch_vccnz .LBB6_10276
; %bb.10273:                            ;   in Loop: Header=BB6_10271 Depth=2
	s_and_b32 s78, s18, 0x7f
	s_cmpk_eq_i32 s78, 0x7f
	s_mov_b32 s94, 0x7f800001
	s_cbranch_scc1 .LBB6_10276
; %bb.10274:                            ;   in Loop: Header=BB6_10271 Depth=2
	s_and_b32 s79, s18, 7
	s_flbit_i32_b32 s79, s79
	s_min_u32 s79, s79, 32
	s_lshr_b32 s88, s78, 3
	s_sub_i32 s89, s79, 28
	s_sub_i32 s79, 29, s79
	s_cmp_lt_u32 s78, 8
	s_cselect_b32 s78, s89, 0
	s_cselect_b32 s88, s79, s88
	s_lshl_b64 s[78:79], s[18:19], s78
	s_lshl_b32 s19, s78, 20
	s_lshl_b32 s18, s18, 24
	;; [unrolled: 1-line block ×3, first 2 shown]
	s_and_b32 s18, s18, 0x80000000
	s_add_i32 s78, s78, 0x3c000000
	s_and_b32 s19, s19, 0x700000
	s_or_b32 s18, s18, s78
	s_or_b32 s94, s18, s19
	s_branch .LBB6_10276
.LBB6_10275:                            ;   in Loop: Header=BB6_10271 Depth=2
	s_mov_b32 s94, 0
.LBB6_10276:                            ;   in Loop: Header=BB6_10271 Depth=2
	flat_load_ubyte v0, v[10:11] glc slc
	v_mov_b32_e32 v1, 0
	s_waitcnt vmcnt(0) lgkmcnt(0)
	v_cmp_ne_u16_e32 vcc, 0, v0
	s_and_saveexec_b64 s[18:19], vcc
	s_cbranch_execz .LBB6_10282
; %bb.10277:                            ;   in Loop: Header=BB6_10271 Depth=2
	v_cmp_ne_u16_e32 vcc, s50, v0
	v_bfrev_b32_e32 v1, 1
	s_and_saveexec_b64 s[78:79], vcc
	s_cbranch_execz .LBB6_10281
; %bb.10278:                            ;   in Loop: Header=BB6_10271 Depth=2
	v_and_b32_e32 v16, 0xffff, v0
	v_and_b32_e32 v2, 0x7f, v16
	v_cmp_ne_u32_e32 vcc, s39, v2
	v_mov_b32_e32 v1, 0x7f800001
	s_and_saveexec_b64 s[88:89], vcc
	s_cbranch_execz .LBB6_10280
; %bb.10279:                            ;   in Loop: Header=BB6_10271 Depth=2
	v_and_b32_e32 v3, 7, v16
	v_ffbh_u32_e32 v1, v3
	v_min_u32_e32 v5, 32, v1
	v_subrev_u32_e32 v1, 28, v5
	v_lshrrev_b32_e32 v4, 3, v2
	v_cmp_gt_u32_e32 vcc, 8, v2
	v_lshlrev_b64 v[1:2], v1, v[16:17]
	v_sub_u32_e32 v2, 29, v5
	v_and_b32_e32 v1, 7, v1
	v_cndmask_b32_e32 v2, v4, v2, vcc
	v_cndmask_b32_e32 v1, v3, v1, vcc
	v_lshlrev_b32_e32 v0, 24, v0
	v_lshlrev_b32_e32 v1, 20, v1
	v_and_b32_e32 v0, 0x80000000, v0
	v_lshl_add_u32 v2, v2, 23, v62
	v_or3_b32 v1, v0, v2, v1
.LBB6_10280:                            ;   in Loop: Header=BB6_10271 Depth=2
	s_or_b64 exec, exec, s[88:89]
.LBB6_10281:                            ;   in Loop: Header=BB6_10271 Depth=2
	s_or_b64 exec, exec, s[78:79]
.LBB6_10282:                            ;   in Loop: Header=BB6_10271 Depth=2
	s_or_b64 exec, exec, s[18:19]
	v_mul_f32_e32 v1, s94, v1
	v_and_b32_e32 v50, 0x7f800000, v1
	v_cmp_ne_u64_e32 vcc, s[46:47], v[50:51]
                                        ; implicit-def: $vgpr9
	s_and_saveexec_b64 s[18:19], vcc
	s_xor_b64 s[78:79], exec, s[18:19]
	s_cbranch_execz .LBB6_10300
; %bb.10283:                            ;   in Loop: Header=BB6_10271 Depth=2
	v_and_b32_e32 v50, 0x7fffffff, v1
	v_cmp_gt_u64_e32 vcc, s[56:57], v[50:51]
	v_and_b32_sdwa v0, v1, s50 dst_sel:DWORD dst_unused:UNUSED_PAD src0_sel:BYTE_3 src1_sel:DWORD
                                        ; implicit-def: $vgpr9
	s_and_saveexec_b64 s[18:19], vcc
	s_xor_b64 s[88:89], exec, s[18:19]
	s_cbranch_execz .LBB6_10297
; %bb.10284:                            ;   in Loop: Header=BB6_10271 Depth=2
	v_cmp_ne_u32_e32 vcc, 0, v1
	v_mov_b32_e32 v9, 0
	s_and_saveexec_b64 s[90:91], vcc
	s_cbranch_execz .LBB6_10296
; %bb.10285:                            ;   in Loop: Header=BB6_10271 Depth=2
	v_and_b32_e32 v3, 0x7fffff, v1
	v_bfe_u32 v1, v1, 23, 8
	v_cmp_gt_u32_e64 s[18:19], s51, v1
	v_sub_u32_e32 v2, 0x79, v1
	v_cmp_eq_u32_e32 vcc, 0, v1
	v_cndmask_b32_e64 v2, 0, v2, s[18:19]
	v_mov_b32_e32 v5, 0x78
	v_or_b32_e32 v4, 0x800000, v3
	v_cndmask_b32_e32 v2, v2, v5, vcc
	v_cndmask_b32_e32 v50, v4, v3, vcc
	v_add_u32_e32 v3, 20, v2
	v_lshlrev_b64 v[3:4], v3, -1
	v_add_u32_e32 v5, 19, v2
	v_lshlrev_b64 v[5:6], v5, 1
	v_lshrrev_b64 v[16:17], v2, v[50:51]
	v_bfi_b32 v4, v4, 0, 0
	v_bfi_b32 v3, v3, 0, v50
	v_cmp_eq_u64_e64 s[18:19], v[3:4], v[5:6]
	v_mov_b32_e32 v18, v17
	v_mov_b32_e32 v17, v16
	s_and_saveexec_b64 s[92:93], s[18:19]
; %bb.10286:                            ;   in Loop: Header=BB6_10271 Depth=2
	v_bfe_u32 v3, v16, 20, 1
	v_add_co_u32_e64 v3, s[18:19], v16, v3
	v_add_co_u32_e64 v17, s[18:19], -1, v3
; %bb.10287:                            ;   in Loop: Header=BB6_10271 Depth=2
	s_or_b64 exec, exec, s[92:93]
	v_add_u32_e32 v1, 0xffffff81, v1
	v_mov_b32_e32 v3, 0xffffff82
	v_cndmask_b32_e32 v1, v1, v3, vcc
	v_lshrrev_b32_e32 v3, 23, v16
	v_add3_u32 v3, v2, v1, v3
	v_add_u32_e32 v2, 6, v3
	v_and_b32_e32 v1, 0xfffff, v17
	v_add_u32_e32 v50, v1, v16
	v_cmp_ne_u32_e32 vcc, 0, v2
                                        ; implicit-def: $vgpr16_vgpr17
                                        ; implicit-def: $vgpr1
	s_and_saveexec_b64 s[18:19], vcc
	s_xor_b64 s[18:19], exec, s[18:19]
; %bb.10288:                            ;   in Loop: Header=BB6_10271 Depth=2
	v_cmp_lt_u64_e32 vcc, s[58:59], v[50:51]
	v_add_u32_e32 v1, 7, v3
	v_cndmask_b32_e32 v1, v2, v1, vcc
	v_cndmask_b32_e64 v2, 0, 1, vcc
	v_lshrrev_b64 v[16:17], v2, v[50:51]
; %bb.10289:                            ;   in Loop: Header=BB6_10271 Depth=2
	s_andn2_saveexec_b64 s[18:19], s[18:19]
; %bb.10290:                            ;   in Loop: Header=BB6_10271 Depth=2
	v_mov_b32_e32 v16, v50
	v_bfe_u32 v1, v50, 23, 1
	v_mov_b32_e32 v17, v51
; %bb.10291:                            ;   in Loop: Header=BB6_10271 Depth=2
	s_or_b64 exec, exec, s[18:19]
	v_lshrrev_b64 v[2:3], 20, v[16:17]
	v_cmp_gt_i32_e32 vcc, 16, v1
	v_cndmask_b32_e32 v17, 0, v3, vcc
	v_cndmask_b32_e32 v16, 7, v2, vcc
	v_cmp_ne_u64_e32 vcc, 0, v[16:17]
	v_cmp_ne_u32_e64 s[18:19], 0, v1
	s_or_b64 s[18:19], s[18:19], vcc
                                        ; implicit-def: $vgpr9
	s_and_saveexec_b64 s[92:93], s[18:19]
	s_xor_b64 s[18:19], exec, s[92:93]
; %bb.10292:                            ;   in Loop: Header=BB6_10271 Depth=2
	v_min_i32_e32 v1, 15, v1
	v_lshl_or_b32 v0, v1, 3, v0
	v_and_or_b32 v9, v16, 7, v0
                                        ; implicit-def: $vgpr0
; %bb.10293:                            ;   in Loop: Header=BB6_10271 Depth=2
	s_andn2_saveexec_b64 s[18:19], s[18:19]
; %bb.10294:                            ;   in Loop: Header=BB6_10271 Depth=2
	v_mov_b32_e32 v9, v0
; %bb.10295:                            ;   in Loop: Header=BB6_10271 Depth=2
	s_or_b64 exec, exec, s[18:19]
.LBB6_10296:                            ;   in Loop: Header=BB6_10271 Depth=2
	s_or_b64 exec, exec, s[90:91]
                                        ; implicit-def: $vgpr0
.LBB6_10297:                            ;   in Loop: Header=BB6_10271 Depth=2
	s_andn2_saveexec_b64 s[18:19], s[88:89]
; %bb.10298:                            ;   in Loop: Header=BB6_10271 Depth=2
	v_or_b32_e32 v9, 0x7e, v0
; %bb.10299:                            ;   in Loop: Header=BB6_10271 Depth=2
	s_or_b64 exec, exec, s[18:19]
                                        ; implicit-def: $vgpr1
.LBB6_10300:                            ;   in Loop: Header=BB6_10271 Depth=2
	s_andn2_saveexec_b64 s[18:19], s[78:79]
; %bb.10301:                            ;   in Loop: Header=BB6_10271 Depth=2
	v_or_b32_sdwa v9, v1, s39 dst_sel:DWORD dst_unused:UNUSED_PAD src0_sel:BYTE_3 src1_sel:DWORD
; %bb.10302:                            ;   in Loop: Header=BB6_10271 Depth=2
	s_or_b64 exec, exec, s[18:19]
	flat_load_ubyte v0, v[10:11] offset:64 glc slc
	v_mov_b32_e32 v1, 0
	s_waitcnt vmcnt(0) lgkmcnt(0)
	v_cmp_ne_u16_e32 vcc, 0, v0
	s_and_saveexec_b64 s[18:19], vcc
	s_cbranch_execz .LBB6_10308
; %bb.10303:                            ;   in Loop: Header=BB6_10271 Depth=2
	v_cmp_ne_u16_e32 vcc, s50, v0
	v_bfrev_b32_e32 v1, 1
	s_and_saveexec_b64 s[78:79], vcc
	s_cbranch_execz .LBB6_10307
; %bb.10304:                            ;   in Loop: Header=BB6_10271 Depth=2
	v_and_b32_e32 v16, 0xffff, v0
	v_and_b32_e32 v2, 0x7f, v16
	v_cmp_ne_u32_e32 vcc, s39, v2
	v_mov_b32_e32 v1, 0x7f800001
	s_and_saveexec_b64 s[88:89], vcc
	s_cbranch_execz .LBB6_10306
; %bb.10305:                            ;   in Loop: Header=BB6_10271 Depth=2
	v_and_b32_e32 v3, 7, v16
	v_ffbh_u32_e32 v1, v3
	v_min_u32_e32 v5, 32, v1
	v_subrev_u32_e32 v1, 28, v5
	v_lshrrev_b32_e32 v4, 3, v2
	v_cmp_gt_u32_e32 vcc, 8, v2
	v_lshlrev_b64 v[1:2], v1, v[16:17]
	v_sub_u32_e32 v2, 29, v5
	v_and_b32_e32 v1, 7, v1
	v_cndmask_b32_e32 v2, v4, v2, vcc
	v_cndmask_b32_e32 v1, v3, v1, vcc
	v_lshlrev_b32_e32 v0, 24, v0
	v_lshlrev_b32_e32 v1, 20, v1
	v_and_b32_e32 v0, 0x80000000, v0
	v_lshl_add_u32 v2, v2, 23, v62
	v_or3_b32 v1, v0, v2, v1
.LBB6_10306:                            ;   in Loop: Header=BB6_10271 Depth=2
	s_or_b64 exec, exec, s[88:89]
.LBB6_10307:                            ;   in Loop: Header=BB6_10271 Depth=2
	s_or_b64 exec, exec, s[78:79]
.LBB6_10308:                            ;   in Loop: Header=BB6_10271 Depth=2
	s_or_b64 exec, exec, s[18:19]
	v_mul_f32_e32 v1, s94, v1
	v_and_b32_e32 v50, 0x7f800000, v1
	v_cmp_ne_u64_e32 vcc, s[46:47], v[50:51]
                                        ; implicit-def: $vgpr26
	s_and_saveexec_b64 s[18:19], vcc
	s_xor_b64 s[78:79], exec, s[18:19]
	s_cbranch_execz .LBB6_10326
; %bb.10309:                            ;   in Loop: Header=BB6_10271 Depth=2
	v_and_b32_e32 v50, 0x7fffffff, v1
	v_cmp_gt_u64_e32 vcc, s[56:57], v[50:51]
	v_and_b32_sdwa v0, v1, s50 dst_sel:DWORD dst_unused:UNUSED_PAD src0_sel:BYTE_3 src1_sel:DWORD
                                        ; implicit-def: $vgpr26
	s_and_saveexec_b64 s[18:19], vcc
	s_xor_b64 s[88:89], exec, s[18:19]
	s_cbranch_execz .LBB6_10323
; %bb.10310:                            ;   in Loop: Header=BB6_10271 Depth=2
	v_cmp_ne_u32_e32 vcc, 0, v1
	v_mov_b32_e32 v26, 0
	s_and_saveexec_b64 s[90:91], vcc
	s_cbranch_execz .LBB6_10322
; %bb.10311:                            ;   in Loop: Header=BB6_10271 Depth=2
	v_and_b32_e32 v3, 0x7fffff, v1
	v_bfe_u32 v1, v1, 23, 8
	v_cmp_gt_u32_e64 s[18:19], s51, v1
	v_sub_u32_e32 v2, 0x79, v1
	v_cmp_eq_u32_e32 vcc, 0, v1
	v_cndmask_b32_e64 v2, 0, v2, s[18:19]
	v_mov_b32_e32 v5, 0x78
	v_or_b32_e32 v4, 0x800000, v3
	v_cndmask_b32_e32 v2, v2, v5, vcc
	v_cndmask_b32_e32 v50, v4, v3, vcc
	v_add_u32_e32 v3, 20, v2
	v_lshlrev_b64 v[3:4], v3, -1
	v_add_u32_e32 v5, 19, v2
	v_lshlrev_b64 v[5:6], v5, 1
	v_lshrrev_b64 v[16:17], v2, v[50:51]
	v_bfi_b32 v4, v4, 0, 0
	v_bfi_b32 v3, v3, 0, v50
	v_cmp_eq_u64_e64 s[18:19], v[3:4], v[5:6]
	v_mov_b32_e32 v18, v17
	v_mov_b32_e32 v17, v16
	s_and_saveexec_b64 s[92:93], s[18:19]
; %bb.10312:                            ;   in Loop: Header=BB6_10271 Depth=2
	v_bfe_u32 v3, v16, 20, 1
	v_add_co_u32_e64 v3, s[18:19], v16, v3
	v_add_co_u32_e64 v17, s[18:19], -1, v3
; %bb.10313:                            ;   in Loop: Header=BB6_10271 Depth=2
	s_or_b64 exec, exec, s[92:93]
	v_add_u32_e32 v1, 0xffffff81, v1
	v_mov_b32_e32 v3, 0xffffff82
	v_cndmask_b32_e32 v1, v1, v3, vcc
	v_lshrrev_b32_e32 v3, 23, v16
	v_add3_u32 v3, v2, v1, v3
	v_add_u32_e32 v2, 6, v3
	v_and_b32_e32 v1, 0xfffff, v17
	v_add_u32_e32 v50, v1, v16
	v_cmp_ne_u32_e32 vcc, 0, v2
                                        ; implicit-def: $vgpr16_vgpr17
                                        ; implicit-def: $vgpr1
	s_and_saveexec_b64 s[18:19], vcc
	s_xor_b64 s[18:19], exec, s[18:19]
; %bb.10314:                            ;   in Loop: Header=BB6_10271 Depth=2
	v_cmp_lt_u64_e32 vcc, s[58:59], v[50:51]
	v_add_u32_e32 v1, 7, v3
	v_cndmask_b32_e32 v1, v2, v1, vcc
	v_cndmask_b32_e64 v2, 0, 1, vcc
	v_lshrrev_b64 v[16:17], v2, v[50:51]
; %bb.10315:                            ;   in Loop: Header=BB6_10271 Depth=2
	s_andn2_saveexec_b64 s[18:19], s[18:19]
; %bb.10316:                            ;   in Loop: Header=BB6_10271 Depth=2
	v_mov_b32_e32 v16, v50
	v_bfe_u32 v1, v50, 23, 1
	v_mov_b32_e32 v17, v51
; %bb.10317:                            ;   in Loop: Header=BB6_10271 Depth=2
	s_or_b64 exec, exec, s[18:19]
	v_lshrrev_b64 v[2:3], 20, v[16:17]
	v_cmp_gt_i32_e32 vcc, 16, v1
	v_cndmask_b32_e32 v17, 0, v3, vcc
	v_cndmask_b32_e32 v16, 7, v2, vcc
	v_cmp_ne_u64_e32 vcc, 0, v[16:17]
	v_cmp_ne_u32_e64 s[18:19], 0, v1
	s_or_b64 s[18:19], s[18:19], vcc
                                        ; implicit-def: $vgpr26
	s_and_saveexec_b64 s[92:93], s[18:19]
	s_xor_b64 s[18:19], exec, s[92:93]
; %bb.10318:                            ;   in Loop: Header=BB6_10271 Depth=2
	v_min_i32_e32 v1, 15, v1
	v_lshl_or_b32 v0, v1, 3, v0
	v_and_or_b32 v26, v16, 7, v0
                                        ; implicit-def: $vgpr0
; %bb.10319:                            ;   in Loop: Header=BB6_10271 Depth=2
	s_andn2_saveexec_b64 s[18:19], s[18:19]
; %bb.10320:                            ;   in Loop: Header=BB6_10271 Depth=2
	v_mov_b32_e32 v26, v0
; %bb.10321:                            ;   in Loop: Header=BB6_10271 Depth=2
	s_or_b64 exec, exec, s[18:19]
.LBB6_10322:                            ;   in Loop: Header=BB6_10271 Depth=2
	s_or_b64 exec, exec, s[90:91]
                                        ; implicit-def: $vgpr0
.LBB6_10323:                            ;   in Loop: Header=BB6_10271 Depth=2
	s_andn2_saveexec_b64 s[18:19], s[88:89]
; %bb.10324:                            ;   in Loop: Header=BB6_10271 Depth=2
	v_or_b32_e32 v26, 0x7e, v0
; %bb.10325:                            ;   in Loop: Header=BB6_10271 Depth=2
	s_or_b64 exec, exec, s[18:19]
                                        ; implicit-def: $vgpr1
.LBB6_10326:                            ;   in Loop: Header=BB6_10271 Depth=2
	s_andn2_saveexec_b64 s[18:19], s[78:79]
; %bb.10327:                            ;   in Loop: Header=BB6_10271 Depth=2
	v_or_b32_sdwa v26, v1, s39 dst_sel:DWORD dst_unused:UNUSED_PAD src0_sel:BYTE_3 src1_sel:DWORD
; %bb.10328:                            ;   in Loop: Header=BB6_10271 Depth=2
	s_or_b64 exec, exec, s[18:19]
	flat_load_ubyte v0, v[10:11] offset:128 glc slc
	v_mov_b32_e32 v1, 0
	s_waitcnt vmcnt(0) lgkmcnt(0)
	v_cmp_ne_u16_e32 vcc, 0, v0
	s_and_saveexec_b64 s[18:19], vcc
	s_cbranch_execz .LBB6_10334
; %bb.10329:                            ;   in Loop: Header=BB6_10271 Depth=2
	v_cmp_ne_u16_e32 vcc, s50, v0
	v_bfrev_b32_e32 v1, 1
	s_and_saveexec_b64 s[78:79], vcc
	s_cbranch_execz .LBB6_10333
; %bb.10330:                            ;   in Loop: Header=BB6_10271 Depth=2
	v_and_b32_e32 v16, 0xffff, v0
	v_and_b32_e32 v2, 0x7f, v16
	v_cmp_ne_u32_e32 vcc, s39, v2
	v_mov_b32_e32 v1, 0x7f800001
	s_and_saveexec_b64 s[88:89], vcc
	s_cbranch_execz .LBB6_10332
; %bb.10331:                            ;   in Loop: Header=BB6_10271 Depth=2
	v_and_b32_e32 v3, 7, v16
	v_ffbh_u32_e32 v1, v3
	v_min_u32_e32 v5, 32, v1
	v_subrev_u32_e32 v1, 28, v5
	v_lshrrev_b32_e32 v4, 3, v2
	v_cmp_gt_u32_e32 vcc, 8, v2
	v_lshlrev_b64 v[1:2], v1, v[16:17]
	v_sub_u32_e32 v2, 29, v5
	v_and_b32_e32 v1, 7, v1
	v_cndmask_b32_e32 v2, v4, v2, vcc
	v_cndmask_b32_e32 v1, v3, v1, vcc
	v_lshlrev_b32_e32 v0, 24, v0
	v_lshlrev_b32_e32 v1, 20, v1
	v_and_b32_e32 v0, 0x80000000, v0
	v_lshl_add_u32 v2, v2, 23, v62
	v_or3_b32 v1, v0, v2, v1
.LBB6_10332:                            ;   in Loop: Header=BB6_10271 Depth=2
	s_or_b64 exec, exec, s[88:89]
.LBB6_10333:                            ;   in Loop: Header=BB6_10271 Depth=2
	s_or_b64 exec, exec, s[78:79]
.LBB6_10334:                            ;   in Loop: Header=BB6_10271 Depth=2
	s_or_b64 exec, exec, s[18:19]
	v_mul_f32_e32 v1, s94, v1
	v_and_b32_e32 v50, 0x7f800000, v1
	v_cmp_ne_u64_e32 vcc, s[46:47], v[50:51]
                                        ; implicit-def: $vgpr33
	s_and_saveexec_b64 s[18:19], vcc
	s_xor_b64 s[78:79], exec, s[18:19]
	s_cbranch_execz .LBB6_10352
; %bb.10335:                            ;   in Loop: Header=BB6_10271 Depth=2
	v_and_b32_e32 v50, 0x7fffffff, v1
	v_cmp_gt_u64_e32 vcc, s[56:57], v[50:51]
	v_and_b32_sdwa v0, v1, s50 dst_sel:DWORD dst_unused:UNUSED_PAD src0_sel:BYTE_3 src1_sel:DWORD
                                        ; implicit-def: $vgpr33
	s_and_saveexec_b64 s[18:19], vcc
	s_xor_b64 s[88:89], exec, s[18:19]
	s_cbranch_execz .LBB6_10349
; %bb.10336:                            ;   in Loop: Header=BB6_10271 Depth=2
	v_cmp_ne_u32_e32 vcc, 0, v1
	v_mov_b32_e32 v33, 0
	s_and_saveexec_b64 s[90:91], vcc
	s_cbranch_execz .LBB6_10348
; %bb.10337:                            ;   in Loop: Header=BB6_10271 Depth=2
	v_and_b32_e32 v3, 0x7fffff, v1
	v_bfe_u32 v1, v1, 23, 8
	v_cmp_gt_u32_e64 s[18:19], s51, v1
	v_sub_u32_e32 v2, 0x79, v1
	v_cmp_eq_u32_e32 vcc, 0, v1
	v_cndmask_b32_e64 v2, 0, v2, s[18:19]
	v_mov_b32_e32 v5, 0x78
	v_or_b32_e32 v4, 0x800000, v3
	v_cndmask_b32_e32 v2, v2, v5, vcc
	v_cndmask_b32_e32 v50, v4, v3, vcc
	v_add_u32_e32 v3, 20, v2
	v_lshlrev_b64 v[3:4], v3, -1
	v_add_u32_e32 v5, 19, v2
	v_lshlrev_b64 v[5:6], v5, 1
	v_lshrrev_b64 v[16:17], v2, v[50:51]
	v_bfi_b32 v4, v4, 0, 0
	v_bfi_b32 v3, v3, 0, v50
	v_cmp_eq_u64_e64 s[18:19], v[3:4], v[5:6]
	v_mov_b32_e32 v18, v17
	v_mov_b32_e32 v17, v16
	s_and_saveexec_b64 s[92:93], s[18:19]
; %bb.10338:                            ;   in Loop: Header=BB6_10271 Depth=2
	v_bfe_u32 v3, v16, 20, 1
	v_add_co_u32_e64 v3, s[18:19], v16, v3
	v_add_co_u32_e64 v17, s[18:19], -1, v3
; %bb.10339:                            ;   in Loop: Header=BB6_10271 Depth=2
	s_or_b64 exec, exec, s[92:93]
	v_add_u32_e32 v1, 0xffffff81, v1
	v_mov_b32_e32 v3, 0xffffff82
	v_cndmask_b32_e32 v1, v1, v3, vcc
	v_lshrrev_b32_e32 v3, 23, v16
	v_add3_u32 v3, v2, v1, v3
	v_add_u32_e32 v2, 6, v3
	v_and_b32_e32 v1, 0xfffff, v17
	v_add_u32_e32 v50, v1, v16
	v_cmp_ne_u32_e32 vcc, 0, v2
                                        ; implicit-def: $vgpr16_vgpr17
                                        ; implicit-def: $vgpr1
	s_and_saveexec_b64 s[18:19], vcc
	s_xor_b64 s[18:19], exec, s[18:19]
; %bb.10340:                            ;   in Loop: Header=BB6_10271 Depth=2
	v_cmp_lt_u64_e32 vcc, s[58:59], v[50:51]
	v_add_u32_e32 v1, 7, v3
	v_cndmask_b32_e32 v1, v2, v1, vcc
	v_cndmask_b32_e64 v2, 0, 1, vcc
	v_lshrrev_b64 v[16:17], v2, v[50:51]
; %bb.10341:                            ;   in Loop: Header=BB6_10271 Depth=2
	s_andn2_saveexec_b64 s[18:19], s[18:19]
; %bb.10342:                            ;   in Loop: Header=BB6_10271 Depth=2
	v_mov_b32_e32 v16, v50
	v_bfe_u32 v1, v50, 23, 1
	v_mov_b32_e32 v17, v51
; %bb.10343:                            ;   in Loop: Header=BB6_10271 Depth=2
	s_or_b64 exec, exec, s[18:19]
	v_lshrrev_b64 v[2:3], 20, v[16:17]
	v_cmp_gt_i32_e32 vcc, 16, v1
	v_cndmask_b32_e32 v17, 0, v3, vcc
	v_cndmask_b32_e32 v16, 7, v2, vcc
	v_cmp_ne_u64_e32 vcc, 0, v[16:17]
	v_cmp_ne_u32_e64 s[18:19], 0, v1
	s_or_b64 s[18:19], s[18:19], vcc
                                        ; implicit-def: $vgpr33
	s_and_saveexec_b64 s[92:93], s[18:19]
	s_xor_b64 s[18:19], exec, s[92:93]
; %bb.10344:                            ;   in Loop: Header=BB6_10271 Depth=2
	v_min_i32_e32 v1, 15, v1
	v_lshl_or_b32 v0, v1, 3, v0
	v_and_or_b32 v33, v16, 7, v0
                                        ; implicit-def: $vgpr0
; %bb.10345:                            ;   in Loop: Header=BB6_10271 Depth=2
	s_andn2_saveexec_b64 s[18:19], s[18:19]
; %bb.10346:                            ;   in Loop: Header=BB6_10271 Depth=2
	v_mov_b32_e32 v33, v0
; %bb.10347:                            ;   in Loop: Header=BB6_10271 Depth=2
	s_or_b64 exec, exec, s[18:19]
.LBB6_10348:                            ;   in Loop: Header=BB6_10271 Depth=2
	s_or_b64 exec, exec, s[90:91]
                                        ; implicit-def: $vgpr0
.LBB6_10349:                            ;   in Loop: Header=BB6_10271 Depth=2
	s_andn2_saveexec_b64 s[18:19], s[88:89]
; %bb.10350:                            ;   in Loop: Header=BB6_10271 Depth=2
	v_or_b32_e32 v33, 0x7e, v0
; %bb.10351:                            ;   in Loop: Header=BB6_10271 Depth=2
	s_or_b64 exec, exec, s[18:19]
                                        ; implicit-def: $vgpr1
.LBB6_10352:                            ;   in Loop: Header=BB6_10271 Depth=2
	s_andn2_saveexec_b64 s[18:19], s[78:79]
; %bb.10353:                            ;   in Loop: Header=BB6_10271 Depth=2
	v_or_b32_sdwa v33, v1, s39 dst_sel:DWORD dst_unused:UNUSED_PAD src0_sel:BYTE_3 src1_sel:DWORD
; %bb.10354:                            ;   in Loop: Header=BB6_10271 Depth=2
	s_or_b64 exec, exec, s[18:19]
	flat_load_ubyte v0, v[10:11] offset:192 glc slc
	v_mov_b32_e32 v1, 0
	s_waitcnt vmcnt(0) lgkmcnt(0)
	v_cmp_ne_u16_e32 vcc, 0, v0
	s_and_saveexec_b64 s[18:19], vcc
	s_cbranch_execz .LBB6_10360
; %bb.10355:                            ;   in Loop: Header=BB6_10271 Depth=2
	v_cmp_ne_u16_e32 vcc, s50, v0
	v_bfrev_b32_e32 v1, 1
	s_and_saveexec_b64 s[78:79], vcc
	s_cbranch_execz .LBB6_10359
; %bb.10356:                            ;   in Loop: Header=BB6_10271 Depth=2
	v_and_b32_e32 v16, 0xffff, v0
	v_and_b32_e32 v2, 0x7f, v16
	v_cmp_ne_u32_e32 vcc, s39, v2
	v_mov_b32_e32 v1, 0x7f800001
	s_and_saveexec_b64 s[88:89], vcc
	s_cbranch_execz .LBB6_10358
; %bb.10357:                            ;   in Loop: Header=BB6_10271 Depth=2
	v_and_b32_e32 v3, 7, v16
	v_ffbh_u32_e32 v1, v3
	v_min_u32_e32 v5, 32, v1
	v_subrev_u32_e32 v1, 28, v5
	v_lshrrev_b32_e32 v4, 3, v2
	v_cmp_gt_u32_e32 vcc, 8, v2
	v_lshlrev_b64 v[1:2], v1, v[16:17]
	v_sub_u32_e32 v2, 29, v5
	v_and_b32_e32 v1, 7, v1
	v_cndmask_b32_e32 v2, v4, v2, vcc
	v_cndmask_b32_e32 v1, v3, v1, vcc
	v_lshlrev_b32_e32 v0, 24, v0
	v_lshlrev_b32_e32 v1, 20, v1
	v_and_b32_e32 v0, 0x80000000, v0
	v_lshl_add_u32 v2, v2, 23, v62
	v_or3_b32 v1, v0, v2, v1
.LBB6_10358:                            ;   in Loop: Header=BB6_10271 Depth=2
	s_or_b64 exec, exec, s[88:89]
.LBB6_10359:                            ;   in Loop: Header=BB6_10271 Depth=2
	s_or_b64 exec, exec, s[78:79]
.LBB6_10360:                            ;   in Loop: Header=BB6_10271 Depth=2
	s_or_b64 exec, exec, s[18:19]
	v_mul_f32_e32 v1, s94, v1
	v_and_b32_e32 v50, 0x7f800000, v1
	v_cmp_ne_u64_e32 vcc, s[46:47], v[50:51]
                                        ; implicit-def: $vgpr39
	s_and_saveexec_b64 s[18:19], vcc
	s_xor_b64 s[78:79], exec, s[18:19]
	s_cbranch_execz .LBB6_10378
; %bb.10361:                            ;   in Loop: Header=BB6_10271 Depth=2
	v_and_b32_e32 v50, 0x7fffffff, v1
	v_cmp_gt_u64_e32 vcc, s[56:57], v[50:51]
	v_and_b32_sdwa v0, v1, s50 dst_sel:DWORD dst_unused:UNUSED_PAD src0_sel:BYTE_3 src1_sel:DWORD
                                        ; implicit-def: $vgpr39
	s_and_saveexec_b64 s[18:19], vcc
	s_xor_b64 s[88:89], exec, s[18:19]
	s_cbranch_execz .LBB6_10375
; %bb.10362:                            ;   in Loop: Header=BB6_10271 Depth=2
	v_cmp_ne_u32_e32 vcc, 0, v1
	v_mov_b32_e32 v39, 0
	s_and_saveexec_b64 s[90:91], vcc
	s_cbranch_execz .LBB6_10374
; %bb.10363:                            ;   in Loop: Header=BB6_10271 Depth=2
	v_and_b32_e32 v3, 0x7fffff, v1
	v_bfe_u32 v1, v1, 23, 8
	v_cmp_gt_u32_e64 s[18:19], s51, v1
	v_sub_u32_e32 v2, 0x79, v1
	v_cmp_eq_u32_e32 vcc, 0, v1
	v_cndmask_b32_e64 v2, 0, v2, s[18:19]
	v_mov_b32_e32 v5, 0x78
	v_or_b32_e32 v4, 0x800000, v3
	v_cndmask_b32_e32 v2, v2, v5, vcc
	v_cndmask_b32_e32 v50, v4, v3, vcc
	v_add_u32_e32 v3, 20, v2
	v_lshlrev_b64 v[3:4], v3, -1
	v_add_u32_e32 v5, 19, v2
	v_lshlrev_b64 v[5:6], v5, 1
	v_lshrrev_b64 v[16:17], v2, v[50:51]
	v_bfi_b32 v4, v4, 0, 0
	v_bfi_b32 v3, v3, 0, v50
	v_cmp_eq_u64_e64 s[18:19], v[3:4], v[5:6]
	v_mov_b32_e32 v18, v17
	v_mov_b32_e32 v17, v16
	s_and_saveexec_b64 s[92:93], s[18:19]
; %bb.10364:                            ;   in Loop: Header=BB6_10271 Depth=2
	v_bfe_u32 v3, v16, 20, 1
	v_add_co_u32_e64 v3, s[18:19], v16, v3
	v_add_co_u32_e64 v17, s[18:19], -1, v3
; %bb.10365:                            ;   in Loop: Header=BB6_10271 Depth=2
	s_or_b64 exec, exec, s[92:93]
	v_add_u32_e32 v1, 0xffffff81, v1
	v_mov_b32_e32 v3, 0xffffff82
	v_cndmask_b32_e32 v1, v1, v3, vcc
	v_lshrrev_b32_e32 v3, 23, v16
	v_add3_u32 v3, v2, v1, v3
	v_add_u32_e32 v2, 6, v3
	v_and_b32_e32 v1, 0xfffff, v17
	v_add_u32_e32 v50, v1, v16
	v_cmp_ne_u32_e32 vcc, 0, v2
                                        ; implicit-def: $vgpr16_vgpr17
                                        ; implicit-def: $vgpr1
	s_and_saveexec_b64 s[18:19], vcc
	s_xor_b64 s[18:19], exec, s[18:19]
; %bb.10366:                            ;   in Loop: Header=BB6_10271 Depth=2
	v_cmp_lt_u64_e32 vcc, s[58:59], v[50:51]
	v_add_u32_e32 v1, 7, v3
	v_cndmask_b32_e32 v1, v2, v1, vcc
	v_cndmask_b32_e64 v2, 0, 1, vcc
	v_lshrrev_b64 v[16:17], v2, v[50:51]
; %bb.10367:                            ;   in Loop: Header=BB6_10271 Depth=2
	s_andn2_saveexec_b64 s[18:19], s[18:19]
; %bb.10368:                            ;   in Loop: Header=BB6_10271 Depth=2
	v_mov_b32_e32 v16, v50
	v_bfe_u32 v1, v50, 23, 1
	v_mov_b32_e32 v17, v51
; %bb.10369:                            ;   in Loop: Header=BB6_10271 Depth=2
	s_or_b64 exec, exec, s[18:19]
	v_lshrrev_b64 v[2:3], 20, v[16:17]
	v_cmp_gt_i32_e32 vcc, 16, v1
	v_cndmask_b32_e32 v17, 0, v3, vcc
	v_cndmask_b32_e32 v16, 7, v2, vcc
	v_cmp_ne_u64_e32 vcc, 0, v[16:17]
	v_cmp_ne_u32_e64 s[18:19], 0, v1
	s_or_b64 s[18:19], s[18:19], vcc
                                        ; implicit-def: $vgpr39
	s_and_saveexec_b64 s[92:93], s[18:19]
	s_xor_b64 s[18:19], exec, s[92:93]
; %bb.10370:                            ;   in Loop: Header=BB6_10271 Depth=2
	v_min_i32_e32 v1, 15, v1
	v_lshl_or_b32 v0, v1, 3, v0
	v_and_or_b32 v39, v16, 7, v0
                                        ; implicit-def: $vgpr0
; %bb.10371:                            ;   in Loop: Header=BB6_10271 Depth=2
	s_andn2_saveexec_b64 s[18:19], s[18:19]
; %bb.10372:                            ;   in Loop: Header=BB6_10271 Depth=2
	v_mov_b32_e32 v39, v0
; %bb.10373:                            ;   in Loop: Header=BB6_10271 Depth=2
	s_or_b64 exec, exec, s[18:19]
.LBB6_10374:                            ;   in Loop: Header=BB6_10271 Depth=2
	s_or_b64 exec, exec, s[90:91]
                                        ; implicit-def: $vgpr0
.LBB6_10375:                            ;   in Loop: Header=BB6_10271 Depth=2
	s_andn2_saveexec_b64 s[18:19], s[88:89]
; %bb.10376:                            ;   in Loop: Header=BB6_10271 Depth=2
	v_or_b32_e32 v39, 0x7e, v0
; %bb.10377:                            ;   in Loop: Header=BB6_10271 Depth=2
	s_or_b64 exec, exec, s[18:19]
                                        ; implicit-def: $vgpr1
.LBB6_10378:                            ;   in Loop: Header=BB6_10271 Depth=2
	s_andn2_saveexec_b64 s[18:19], s[78:79]
; %bb.10379:                            ;   in Loop: Header=BB6_10271 Depth=2
	v_or_b32_sdwa v39, v1, s39 dst_sel:DWORD dst_unused:UNUSED_PAD src0_sel:BYTE_3 src1_sel:DWORD
; %bb.10380:                            ;   in Loop: Header=BB6_10271 Depth=2
	s_or_b64 exec, exec, s[18:19]
	flat_load_ubyte v0, v[10:11] offset:256 glc slc
	v_mov_b32_e32 v1, 0
	s_waitcnt vmcnt(0) lgkmcnt(0)
	v_cmp_ne_u16_e32 vcc, 0, v0
	s_and_saveexec_b64 s[18:19], vcc
	s_cbranch_execz .LBB6_10386
; %bb.10381:                            ;   in Loop: Header=BB6_10271 Depth=2
	v_cmp_ne_u16_e32 vcc, s50, v0
	v_bfrev_b32_e32 v1, 1
	s_and_saveexec_b64 s[78:79], vcc
	s_cbranch_execz .LBB6_10385
; %bb.10382:                            ;   in Loop: Header=BB6_10271 Depth=2
	v_and_b32_e32 v16, 0xffff, v0
	v_and_b32_e32 v2, 0x7f, v16
	v_cmp_ne_u32_e32 vcc, s39, v2
	v_mov_b32_e32 v1, 0x7f800001
	s_and_saveexec_b64 s[88:89], vcc
	s_cbranch_execz .LBB6_10384
; %bb.10383:                            ;   in Loop: Header=BB6_10271 Depth=2
	v_and_b32_e32 v3, 7, v16
	v_ffbh_u32_e32 v1, v3
	v_min_u32_e32 v5, 32, v1
	v_subrev_u32_e32 v1, 28, v5
	v_lshrrev_b32_e32 v4, 3, v2
	v_cmp_gt_u32_e32 vcc, 8, v2
	v_lshlrev_b64 v[1:2], v1, v[16:17]
	v_sub_u32_e32 v2, 29, v5
	v_and_b32_e32 v1, 7, v1
	v_cndmask_b32_e32 v2, v4, v2, vcc
	v_cndmask_b32_e32 v1, v3, v1, vcc
	v_lshlrev_b32_e32 v0, 24, v0
	v_lshlrev_b32_e32 v1, 20, v1
	v_and_b32_e32 v0, 0x80000000, v0
	v_lshl_add_u32 v2, v2, 23, v62
	v_or3_b32 v1, v0, v2, v1
.LBB6_10384:                            ;   in Loop: Header=BB6_10271 Depth=2
	s_or_b64 exec, exec, s[88:89]
.LBB6_10385:                            ;   in Loop: Header=BB6_10271 Depth=2
	s_or_b64 exec, exec, s[78:79]
.LBB6_10386:                            ;   in Loop: Header=BB6_10271 Depth=2
	s_or_b64 exec, exec, s[18:19]
	v_mul_f32_e32 v1, s94, v1
	v_and_b32_e32 v50, 0x7f800000, v1
	v_cmp_ne_u64_e32 vcc, s[46:47], v[50:51]
                                        ; implicit-def: $vgpr44
	s_and_saveexec_b64 s[18:19], vcc
	s_xor_b64 s[78:79], exec, s[18:19]
	s_cbranch_execz .LBB6_10404
; %bb.10387:                            ;   in Loop: Header=BB6_10271 Depth=2
	v_and_b32_e32 v50, 0x7fffffff, v1
	v_cmp_gt_u64_e32 vcc, s[56:57], v[50:51]
	v_and_b32_sdwa v0, v1, s50 dst_sel:DWORD dst_unused:UNUSED_PAD src0_sel:BYTE_3 src1_sel:DWORD
                                        ; implicit-def: $vgpr44
	s_and_saveexec_b64 s[18:19], vcc
	s_xor_b64 s[88:89], exec, s[18:19]
	s_cbranch_execz .LBB6_10401
; %bb.10388:                            ;   in Loop: Header=BB6_10271 Depth=2
	v_cmp_ne_u32_e32 vcc, 0, v1
	v_mov_b32_e32 v44, 0
	s_and_saveexec_b64 s[90:91], vcc
	s_cbranch_execz .LBB6_10400
; %bb.10389:                            ;   in Loop: Header=BB6_10271 Depth=2
	v_and_b32_e32 v3, 0x7fffff, v1
	v_bfe_u32 v1, v1, 23, 8
	v_cmp_gt_u32_e64 s[18:19], s51, v1
	v_sub_u32_e32 v2, 0x79, v1
	v_cmp_eq_u32_e32 vcc, 0, v1
	v_cndmask_b32_e64 v2, 0, v2, s[18:19]
	v_mov_b32_e32 v5, 0x78
	v_or_b32_e32 v4, 0x800000, v3
	v_cndmask_b32_e32 v2, v2, v5, vcc
	v_cndmask_b32_e32 v50, v4, v3, vcc
	v_add_u32_e32 v3, 20, v2
	v_lshlrev_b64 v[3:4], v3, -1
	v_add_u32_e32 v5, 19, v2
	v_lshlrev_b64 v[5:6], v5, 1
	v_lshrrev_b64 v[16:17], v2, v[50:51]
	v_bfi_b32 v4, v4, 0, 0
	v_bfi_b32 v3, v3, 0, v50
	v_cmp_eq_u64_e64 s[18:19], v[3:4], v[5:6]
	v_mov_b32_e32 v18, v17
	v_mov_b32_e32 v17, v16
	s_and_saveexec_b64 s[92:93], s[18:19]
; %bb.10390:                            ;   in Loop: Header=BB6_10271 Depth=2
	v_bfe_u32 v3, v16, 20, 1
	v_add_co_u32_e64 v3, s[18:19], v16, v3
	v_add_co_u32_e64 v17, s[18:19], -1, v3
; %bb.10391:                            ;   in Loop: Header=BB6_10271 Depth=2
	s_or_b64 exec, exec, s[92:93]
	v_add_u32_e32 v1, 0xffffff81, v1
	v_mov_b32_e32 v3, 0xffffff82
	v_cndmask_b32_e32 v1, v1, v3, vcc
	v_lshrrev_b32_e32 v3, 23, v16
	v_add3_u32 v3, v2, v1, v3
	v_add_u32_e32 v2, 6, v3
	v_and_b32_e32 v1, 0xfffff, v17
	v_add_u32_e32 v50, v1, v16
	v_cmp_ne_u32_e32 vcc, 0, v2
                                        ; implicit-def: $vgpr16_vgpr17
                                        ; implicit-def: $vgpr1
	s_and_saveexec_b64 s[18:19], vcc
	s_xor_b64 s[18:19], exec, s[18:19]
; %bb.10392:                            ;   in Loop: Header=BB6_10271 Depth=2
	v_cmp_lt_u64_e32 vcc, s[58:59], v[50:51]
	v_add_u32_e32 v1, 7, v3
	v_cndmask_b32_e32 v1, v2, v1, vcc
	v_cndmask_b32_e64 v2, 0, 1, vcc
	v_lshrrev_b64 v[16:17], v2, v[50:51]
; %bb.10393:                            ;   in Loop: Header=BB6_10271 Depth=2
	s_andn2_saveexec_b64 s[18:19], s[18:19]
; %bb.10394:                            ;   in Loop: Header=BB6_10271 Depth=2
	v_mov_b32_e32 v16, v50
	v_bfe_u32 v1, v50, 23, 1
	v_mov_b32_e32 v17, v51
; %bb.10395:                            ;   in Loop: Header=BB6_10271 Depth=2
	s_or_b64 exec, exec, s[18:19]
	v_lshrrev_b64 v[2:3], 20, v[16:17]
	v_cmp_gt_i32_e32 vcc, 16, v1
	v_cndmask_b32_e32 v17, 0, v3, vcc
	v_cndmask_b32_e32 v16, 7, v2, vcc
	v_cmp_ne_u64_e32 vcc, 0, v[16:17]
	v_cmp_ne_u32_e64 s[18:19], 0, v1
	s_or_b64 s[18:19], s[18:19], vcc
                                        ; implicit-def: $vgpr44
	s_and_saveexec_b64 s[92:93], s[18:19]
	s_xor_b64 s[18:19], exec, s[92:93]
; %bb.10396:                            ;   in Loop: Header=BB6_10271 Depth=2
	v_min_i32_e32 v1, 15, v1
	v_lshl_or_b32 v0, v1, 3, v0
	v_and_or_b32 v44, v16, 7, v0
                                        ; implicit-def: $vgpr0
; %bb.10397:                            ;   in Loop: Header=BB6_10271 Depth=2
	s_andn2_saveexec_b64 s[18:19], s[18:19]
; %bb.10398:                            ;   in Loop: Header=BB6_10271 Depth=2
	v_mov_b32_e32 v44, v0
; %bb.10399:                            ;   in Loop: Header=BB6_10271 Depth=2
	s_or_b64 exec, exec, s[18:19]
.LBB6_10400:                            ;   in Loop: Header=BB6_10271 Depth=2
	s_or_b64 exec, exec, s[90:91]
                                        ; implicit-def: $vgpr0
.LBB6_10401:                            ;   in Loop: Header=BB6_10271 Depth=2
	s_andn2_saveexec_b64 s[18:19], s[88:89]
; %bb.10402:                            ;   in Loop: Header=BB6_10271 Depth=2
	v_or_b32_e32 v44, 0x7e, v0
; %bb.10403:                            ;   in Loop: Header=BB6_10271 Depth=2
	s_or_b64 exec, exec, s[18:19]
                                        ; implicit-def: $vgpr1
.LBB6_10404:                            ;   in Loop: Header=BB6_10271 Depth=2
	s_andn2_saveexec_b64 s[18:19], s[78:79]
; %bb.10405:                            ;   in Loop: Header=BB6_10271 Depth=2
	v_or_b32_sdwa v44, v1, s39 dst_sel:DWORD dst_unused:UNUSED_PAD src0_sel:BYTE_3 src1_sel:DWORD
; %bb.10406:                            ;   in Loop: Header=BB6_10271 Depth=2
	s_or_b64 exec, exec, s[18:19]
	flat_load_ubyte v0, v[10:11] offset:320 glc slc
	v_mov_b32_e32 v1, 0
	s_waitcnt vmcnt(0) lgkmcnt(0)
	v_cmp_ne_u16_e32 vcc, 0, v0
	s_and_saveexec_b64 s[18:19], vcc
	s_cbranch_execz .LBB6_10412
; %bb.10407:                            ;   in Loop: Header=BB6_10271 Depth=2
	v_cmp_ne_u16_e32 vcc, s50, v0
	v_bfrev_b32_e32 v1, 1
	s_and_saveexec_b64 s[78:79], vcc
	s_cbranch_execz .LBB6_10411
; %bb.10408:                            ;   in Loop: Header=BB6_10271 Depth=2
	v_and_b32_e32 v16, 0xffff, v0
	v_and_b32_e32 v2, 0x7f, v16
	v_cmp_ne_u32_e32 vcc, s39, v2
	v_mov_b32_e32 v1, 0x7f800001
	s_and_saveexec_b64 s[88:89], vcc
	s_cbranch_execz .LBB6_10410
; %bb.10409:                            ;   in Loop: Header=BB6_10271 Depth=2
	v_and_b32_e32 v3, 7, v16
	v_ffbh_u32_e32 v1, v3
	v_min_u32_e32 v5, 32, v1
	v_subrev_u32_e32 v1, 28, v5
	v_lshrrev_b32_e32 v4, 3, v2
	v_cmp_gt_u32_e32 vcc, 8, v2
	v_lshlrev_b64 v[1:2], v1, v[16:17]
	v_sub_u32_e32 v2, 29, v5
	v_and_b32_e32 v1, 7, v1
	v_cndmask_b32_e32 v2, v4, v2, vcc
	v_cndmask_b32_e32 v1, v3, v1, vcc
	v_lshlrev_b32_e32 v0, 24, v0
	v_lshlrev_b32_e32 v1, 20, v1
	v_and_b32_e32 v0, 0x80000000, v0
	v_lshl_add_u32 v2, v2, 23, v62
	v_or3_b32 v1, v0, v2, v1
.LBB6_10410:                            ;   in Loop: Header=BB6_10271 Depth=2
	s_or_b64 exec, exec, s[88:89]
.LBB6_10411:                            ;   in Loop: Header=BB6_10271 Depth=2
	s_or_b64 exec, exec, s[78:79]
.LBB6_10412:                            ;   in Loop: Header=BB6_10271 Depth=2
	s_or_b64 exec, exec, s[18:19]
	v_mul_f32_e32 v1, s94, v1
	v_and_b32_e32 v50, 0x7f800000, v1
	v_cmp_ne_u64_e32 vcc, s[46:47], v[50:51]
                                        ; implicit-def: $vgpr47
	s_and_saveexec_b64 s[18:19], vcc
	s_xor_b64 s[78:79], exec, s[18:19]
	s_cbranch_execz .LBB6_10430
; %bb.10413:                            ;   in Loop: Header=BB6_10271 Depth=2
	v_and_b32_e32 v50, 0x7fffffff, v1
	v_cmp_gt_u64_e32 vcc, s[56:57], v[50:51]
	v_and_b32_sdwa v0, v1, s50 dst_sel:DWORD dst_unused:UNUSED_PAD src0_sel:BYTE_3 src1_sel:DWORD
                                        ; implicit-def: $vgpr47
	s_and_saveexec_b64 s[18:19], vcc
	s_xor_b64 s[88:89], exec, s[18:19]
	s_cbranch_execz .LBB6_10427
; %bb.10414:                            ;   in Loop: Header=BB6_10271 Depth=2
	v_cmp_ne_u32_e32 vcc, 0, v1
	v_mov_b32_e32 v47, 0
	s_and_saveexec_b64 s[90:91], vcc
	s_cbranch_execz .LBB6_10426
; %bb.10415:                            ;   in Loop: Header=BB6_10271 Depth=2
	v_and_b32_e32 v3, 0x7fffff, v1
	v_bfe_u32 v1, v1, 23, 8
	v_cmp_gt_u32_e64 s[18:19], s51, v1
	v_sub_u32_e32 v2, 0x79, v1
	v_cmp_eq_u32_e32 vcc, 0, v1
	v_cndmask_b32_e64 v2, 0, v2, s[18:19]
	v_mov_b32_e32 v5, 0x78
	v_or_b32_e32 v4, 0x800000, v3
	v_cndmask_b32_e32 v2, v2, v5, vcc
	v_cndmask_b32_e32 v50, v4, v3, vcc
	v_add_u32_e32 v3, 20, v2
	v_lshlrev_b64 v[3:4], v3, -1
	v_add_u32_e32 v5, 19, v2
	v_lshlrev_b64 v[5:6], v5, 1
	v_lshrrev_b64 v[16:17], v2, v[50:51]
	v_bfi_b32 v4, v4, 0, 0
	v_bfi_b32 v3, v3, 0, v50
	v_cmp_eq_u64_e64 s[18:19], v[3:4], v[5:6]
	v_mov_b32_e32 v18, v17
	v_mov_b32_e32 v17, v16
	s_and_saveexec_b64 s[92:93], s[18:19]
; %bb.10416:                            ;   in Loop: Header=BB6_10271 Depth=2
	v_bfe_u32 v3, v16, 20, 1
	v_add_co_u32_e64 v3, s[18:19], v16, v3
	v_add_co_u32_e64 v17, s[18:19], -1, v3
; %bb.10417:                            ;   in Loop: Header=BB6_10271 Depth=2
	s_or_b64 exec, exec, s[92:93]
	v_add_u32_e32 v1, 0xffffff81, v1
	v_mov_b32_e32 v3, 0xffffff82
	v_cndmask_b32_e32 v1, v1, v3, vcc
	v_lshrrev_b32_e32 v3, 23, v16
	v_add3_u32 v3, v2, v1, v3
	v_add_u32_e32 v2, 6, v3
	v_and_b32_e32 v1, 0xfffff, v17
	v_add_u32_e32 v50, v1, v16
	v_cmp_ne_u32_e32 vcc, 0, v2
                                        ; implicit-def: $vgpr16_vgpr17
                                        ; implicit-def: $vgpr1
	s_and_saveexec_b64 s[18:19], vcc
	s_xor_b64 s[18:19], exec, s[18:19]
; %bb.10418:                            ;   in Loop: Header=BB6_10271 Depth=2
	v_cmp_lt_u64_e32 vcc, s[58:59], v[50:51]
	v_add_u32_e32 v1, 7, v3
	v_cndmask_b32_e32 v1, v2, v1, vcc
	v_cndmask_b32_e64 v2, 0, 1, vcc
	v_lshrrev_b64 v[16:17], v2, v[50:51]
; %bb.10419:                            ;   in Loop: Header=BB6_10271 Depth=2
	s_andn2_saveexec_b64 s[18:19], s[18:19]
; %bb.10420:                            ;   in Loop: Header=BB6_10271 Depth=2
	v_mov_b32_e32 v16, v50
	v_bfe_u32 v1, v50, 23, 1
	v_mov_b32_e32 v17, v51
; %bb.10421:                            ;   in Loop: Header=BB6_10271 Depth=2
	s_or_b64 exec, exec, s[18:19]
	v_lshrrev_b64 v[2:3], 20, v[16:17]
	v_cmp_gt_i32_e32 vcc, 16, v1
	v_cndmask_b32_e32 v17, 0, v3, vcc
	v_cndmask_b32_e32 v16, 7, v2, vcc
	v_cmp_ne_u64_e32 vcc, 0, v[16:17]
	v_cmp_ne_u32_e64 s[18:19], 0, v1
	s_or_b64 s[18:19], s[18:19], vcc
                                        ; implicit-def: $vgpr47
	s_and_saveexec_b64 s[92:93], s[18:19]
	s_xor_b64 s[18:19], exec, s[92:93]
; %bb.10422:                            ;   in Loop: Header=BB6_10271 Depth=2
	v_min_i32_e32 v1, 15, v1
	v_lshl_or_b32 v0, v1, 3, v0
	v_and_or_b32 v47, v16, 7, v0
                                        ; implicit-def: $vgpr0
; %bb.10423:                            ;   in Loop: Header=BB6_10271 Depth=2
	s_andn2_saveexec_b64 s[18:19], s[18:19]
; %bb.10424:                            ;   in Loop: Header=BB6_10271 Depth=2
	v_mov_b32_e32 v47, v0
; %bb.10425:                            ;   in Loop: Header=BB6_10271 Depth=2
	s_or_b64 exec, exec, s[18:19]
.LBB6_10426:                            ;   in Loop: Header=BB6_10271 Depth=2
	s_or_b64 exec, exec, s[90:91]
                                        ; implicit-def: $vgpr0
.LBB6_10427:                            ;   in Loop: Header=BB6_10271 Depth=2
	s_andn2_saveexec_b64 s[18:19], s[88:89]
; %bb.10428:                            ;   in Loop: Header=BB6_10271 Depth=2
	v_or_b32_e32 v47, 0x7e, v0
; %bb.10429:                            ;   in Loop: Header=BB6_10271 Depth=2
	s_or_b64 exec, exec, s[18:19]
                                        ; implicit-def: $vgpr1
.LBB6_10430:                            ;   in Loop: Header=BB6_10271 Depth=2
	s_andn2_saveexec_b64 s[18:19], s[78:79]
; %bb.10431:                            ;   in Loop: Header=BB6_10271 Depth=2
	v_or_b32_sdwa v47, v1, s39 dst_sel:DWORD dst_unused:UNUSED_PAD src0_sel:BYTE_3 src1_sel:DWORD
; %bb.10432:                            ;   in Loop: Header=BB6_10271 Depth=2
	s_or_b64 exec, exec, s[18:19]
	flat_load_ubyte v0, v[10:11] offset:384 glc slc
	v_mov_b32_e32 v1, 0
	s_waitcnt vmcnt(0) lgkmcnt(0)
	v_cmp_ne_u16_e32 vcc, 0, v0
	s_and_saveexec_b64 s[18:19], vcc
	s_cbranch_execz .LBB6_10438
; %bb.10433:                            ;   in Loop: Header=BB6_10271 Depth=2
	v_cmp_ne_u16_e32 vcc, s50, v0
	v_bfrev_b32_e32 v1, 1
	s_and_saveexec_b64 s[78:79], vcc
	s_cbranch_execz .LBB6_10437
; %bb.10434:                            ;   in Loop: Header=BB6_10271 Depth=2
	v_and_b32_e32 v16, 0xffff, v0
	v_and_b32_e32 v2, 0x7f, v16
	v_cmp_ne_u32_e32 vcc, s39, v2
	v_mov_b32_e32 v1, 0x7f800001
	s_and_saveexec_b64 s[88:89], vcc
	s_cbranch_execz .LBB6_10436
; %bb.10435:                            ;   in Loop: Header=BB6_10271 Depth=2
	v_and_b32_e32 v3, 7, v16
	v_ffbh_u32_e32 v1, v3
	v_min_u32_e32 v5, 32, v1
	v_subrev_u32_e32 v1, 28, v5
	v_lshrrev_b32_e32 v4, 3, v2
	v_cmp_gt_u32_e32 vcc, 8, v2
	v_lshlrev_b64 v[1:2], v1, v[16:17]
	v_sub_u32_e32 v2, 29, v5
	v_and_b32_e32 v1, 7, v1
	v_cndmask_b32_e32 v2, v4, v2, vcc
	v_cndmask_b32_e32 v1, v3, v1, vcc
	v_lshlrev_b32_e32 v0, 24, v0
	v_lshlrev_b32_e32 v1, 20, v1
	v_and_b32_e32 v0, 0x80000000, v0
	v_lshl_add_u32 v2, v2, 23, v62
	v_or3_b32 v1, v0, v2, v1
.LBB6_10436:                            ;   in Loop: Header=BB6_10271 Depth=2
	s_or_b64 exec, exec, s[88:89]
.LBB6_10437:                            ;   in Loop: Header=BB6_10271 Depth=2
	s_or_b64 exec, exec, s[78:79]
.LBB6_10438:                            ;   in Loop: Header=BB6_10271 Depth=2
	s_or_b64 exec, exec, s[18:19]
	v_mul_f32_e32 v1, s94, v1
	v_and_b32_e32 v50, 0x7f800000, v1
	v_cmp_ne_u64_e32 vcc, s[46:47], v[50:51]
                                        ; implicit-def: $vgpr46
	s_and_saveexec_b64 s[18:19], vcc
	s_xor_b64 s[78:79], exec, s[18:19]
	s_cbranch_execz .LBB6_10456
; %bb.10439:                            ;   in Loop: Header=BB6_10271 Depth=2
	v_and_b32_e32 v50, 0x7fffffff, v1
	v_cmp_gt_u64_e32 vcc, s[56:57], v[50:51]
	v_and_b32_sdwa v0, v1, s50 dst_sel:DWORD dst_unused:UNUSED_PAD src0_sel:BYTE_3 src1_sel:DWORD
                                        ; implicit-def: $vgpr46
	s_and_saveexec_b64 s[18:19], vcc
	s_xor_b64 s[88:89], exec, s[18:19]
	s_cbranch_execz .LBB6_10453
; %bb.10440:                            ;   in Loop: Header=BB6_10271 Depth=2
	v_cmp_ne_u32_e32 vcc, 0, v1
	v_mov_b32_e32 v46, 0
	s_and_saveexec_b64 s[90:91], vcc
	s_cbranch_execz .LBB6_10452
; %bb.10441:                            ;   in Loop: Header=BB6_10271 Depth=2
	v_and_b32_e32 v3, 0x7fffff, v1
	v_bfe_u32 v1, v1, 23, 8
	v_cmp_gt_u32_e64 s[18:19], s51, v1
	v_sub_u32_e32 v2, 0x79, v1
	v_cmp_eq_u32_e32 vcc, 0, v1
	v_cndmask_b32_e64 v2, 0, v2, s[18:19]
	v_mov_b32_e32 v5, 0x78
	v_or_b32_e32 v4, 0x800000, v3
	v_cndmask_b32_e32 v2, v2, v5, vcc
	v_cndmask_b32_e32 v50, v4, v3, vcc
	v_add_u32_e32 v3, 20, v2
	v_lshlrev_b64 v[3:4], v3, -1
	v_add_u32_e32 v5, 19, v2
	v_lshlrev_b64 v[5:6], v5, 1
	v_lshrrev_b64 v[16:17], v2, v[50:51]
	v_bfi_b32 v4, v4, 0, 0
	v_bfi_b32 v3, v3, 0, v50
	v_cmp_eq_u64_e64 s[18:19], v[3:4], v[5:6]
	v_mov_b32_e32 v18, v17
	v_mov_b32_e32 v17, v16
	s_and_saveexec_b64 s[92:93], s[18:19]
; %bb.10442:                            ;   in Loop: Header=BB6_10271 Depth=2
	v_bfe_u32 v3, v16, 20, 1
	v_add_co_u32_e64 v3, s[18:19], v16, v3
	v_add_co_u32_e64 v17, s[18:19], -1, v3
; %bb.10443:                            ;   in Loop: Header=BB6_10271 Depth=2
	s_or_b64 exec, exec, s[92:93]
	v_add_u32_e32 v1, 0xffffff81, v1
	v_mov_b32_e32 v3, 0xffffff82
	v_cndmask_b32_e32 v1, v1, v3, vcc
	v_lshrrev_b32_e32 v3, 23, v16
	v_add3_u32 v3, v2, v1, v3
	v_add_u32_e32 v2, 6, v3
	v_and_b32_e32 v1, 0xfffff, v17
	v_add_u32_e32 v50, v1, v16
	v_cmp_ne_u32_e32 vcc, 0, v2
                                        ; implicit-def: $vgpr16_vgpr17
                                        ; implicit-def: $vgpr1
	s_and_saveexec_b64 s[18:19], vcc
	s_xor_b64 s[18:19], exec, s[18:19]
; %bb.10444:                            ;   in Loop: Header=BB6_10271 Depth=2
	v_cmp_lt_u64_e32 vcc, s[58:59], v[50:51]
	v_add_u32_e32 v1, 7, v3
	v_cndmask_b32_e32 v1, v2, v1, vcc
	v_cndmask_b32_e64 v2, 0, 1, vcc
	v_lshrrev_b64 v[16:17], v2, v[50:51]
; %bb.10445:                            ;   in Loop: Header=BB6_10271 Depth=2
	s_andn2_saveexec_b64 s[18:19], s[18:19]
; %bb.10446:                            ;   in Loop: Header=BB6_10271 Depth=2
	v_mov_b32_e32 v16, v50
	v_bfe_u32 v1, v50, 23, 1
	v_mov_b32_e32 v17, v51
; %bb.10447:                            ;   in Loop: Header=BB6_10271 Depth=2
	s_or_b64 exec, exec, s[18:19]
	v_lshrrev_b64 v[2:3], 20, v[16:17]
	v_cmp_gt_i32_e32 vcc, 16, v1
	v_cndmask_b32_e32 v17, 0, v3, vcc
	v_cndmask_b32_e32 v16, 7, v2, vcc
	v_cmp_ne_u64_e32 vcc, 0, v[16:17]
	v_cmp_ne_u32_e64 s[18:19], 0, v1
	s_or_b64 s[18:19], s[18:19], vcc
                                        ; implicit-def: $vgpr46
	s_and_saveexec_b64 s[92:93], s[18:19]
	s_xor_b64 s[18:19], exec, s[92:93]
; %bb.10448:                            ;   in Loop: Header=BB6_10271 Depth=2
	v_min_i32_e32 v1, 15, v1
	v_lshl_or_b32 v0, v1, 3, v0
	v_and_or_b32 v46, v16, 7, v0
                                        ; implicit-def: $vgpr0
; %bb.10449:                            ;   in Loop: Header=BB6_10271 Depth=2
	s_andn2_saveexec_b64 s[18:19], s[18:19]
; %bb.10450:                            ;   in Loop: Header=BB6_10271 Depth=2
	v_mov_b32_e32 v46, v0
; %bb.10451:                            ;   in Loop: Header=BB6_10271 Depth=2
	s_or_b64 exec, exec, s[18:19]
.LBB6_10452:                            ;   in Loop: Header=BB6_10271 Depth=2
	s_or_b64 exec, exec, s[90:91]
                                        ; implicit-def: $vgpr0
.LBB6_10453:                            ;   in Loop: Header=BB6_10271 Depth=2
	s_andn2_saveexec_b64 s[18:19], s[88:89]
; %bb.10454:                            ;   in Loop: Header=BB6_10271 Depth=2
	v_or_b32_e32 v46, 0x7e, v0
; %bb.10455:                            ;   in Loop: Header=BB6_10271 Depth=2
	s_or_b64 exec, exec, s[18:19]
                                        ; implicit-def: $vgpr1
.LBB6_10456:                            ;   in Loop: Header=BB6_10271 Depth=2
	s_andn2_saveexec_b64 s[18:19], s[78:79]
; %bb.10457:                            ;   in Loop: Header=BB6_10271 Depth=2
	v_or_b32_sdwa v46, v1, s39 dst_sel:DWORD dst_unused:UNUSED_PAD src0_sel:BYTE_3 src1_sel:DWORD
; %bb.10458:                            ;   in Loop: Header=BB6_10271 Depth=2
	s_or_b64 exec, exec, s[18:19]
	flat_load_ubyte v0, v[10:11] offset:448 glc slc
	v_mov_b32_e32 v1, 0
	s_waitcnt vmcnt(0) lgkmcnt(0)
	v_cmp_ne_u16_e32 vcc, 0, v0
	s_and_saveexec_b64 s[18:19], vcc
	s_cbranch_execz .LBB6_10464
; %bb.10459:                            ;   in Loop: Header=BB6_10271 Depth=2
	v_cmp_ne_u16_e32 vcc, s50, v0
	v_bfrev_b32_e32 v1, 1
	s_and_saveexec_b64 s[78:79], vcc
	s_cbranch_execz .LBB6_10463
; %bb.10460:                            ;   in Loop: Header=BB6_10271 Depth=2
	v_and_b32_e32 v16, 0xffff, v0
	v_and_b32_e32 v2, 0x7f, v16
	v_cmp_ne_u32_e32 vcc, s39, v2
	v_mov_b32_e32 v1, 0x7f800001
	s_and_saveexec_b64 s[88:89], vcc
	s_cbranch_execz .LBB6_10462
; %bb.10461:                            ;   in Loop: Header=BB6_10271 Depth=2
	v_and_b32_e32 v3, 7, v16
	v_ffbh_u32_e32 v1, v3
	v_min_u32_e32 v5, 32, v1
	v_subrev_u32_e32 v1, 28, v5
	v_lshrrev_b32_e32 v4, 3, v2
	v_cmp_gt_u32_e32 vcc, 8, v2
	v_lshlrev_b64 v[1:2], v1, v[16:17]
	v_sub_u32_e32 v2, 29, v5
	v_and_b32_e32 v1, 7, v1
	v_cndmask_b32_e32 v2, v4, v2, vcc
	v_cndmask_b32_e32 v1, v3, v1, vcc
	v_lshlrev_b32_e32 v0, 24, v0
	v_lshlrev_b32_e32 v1, 20, v1
	v_and_b32_e32 v0, 0x80000000, v0
	v_lshl_add_u32 v2, v2, 23, v62
	v_or3_b32 v1, v0, v2, v1
.LBB6_10462:                            ;   in Loop: Header=BB6_10271 Depth=2
	s_or_b64 exec, exec, s[88:89]
.LBB6_10463:                            ;   in Loop: Header=BB6_10271 Depth=2
	s_or_b64 exec, exec, s[78:79]
.LBB6_10464:                            ;   in Loop: Header=BB6_10271 Depth=2
	s_or_b64 exec, exec, s[18:19]
	v_mul_f32_e32 v1, s94, v1
	v_and_b32_e32 v50, 0x7f800000, v1
	v_cmp_ne_u64_e32 vcc, s[46:47], v[50:51]
                                        ; implicit-def: $vgpr43
	s_and_saveexec_b64 s[18:19], vcc
	s_xor_b64 s[78:79], exec, s[18:19]
	s_cbranch_execz .LBB6_10482
; %bb.10465:                            ;   in Loop: Header=BB6_10271 Depth=2
	v_and_b32_e32 v50, 0x7fffffff, v1
	v_cmp_gt_u64_e32 vcc, s[56:57], v[50:51]
	v_and_b32_sdwa v0, v1, s50 dst_sel:DWORD dst_unused:UNUSED_PAD src0_sel:BYTE_3 src1_sel:DWORD
                                        ; implicit-def: $vgpr43
	s_and_saveexec_b64 s[18:19], vcc
	s_xor_b64 s[88:89], exec, s[18:19]
	s_cbranch_execz .LBB6_10479
; %bb.10466:                            ;   in Loop: Header=BB6_10271 Depth=2
	v_cmp_ne_u32_e32 vcc, 0, v1
	v_mov_b32_e32 v43, 0
	s_and_saveexec_b64 s[90:91], vcc
	s_cbranch_execz .LBB6_10478
; %bb.10467:                            ;   in Loop: Header=BB6_10271 Depth=2
	v_and_b32_e32 v3, 0x7fffff, v1
	v_bfe_u32 v1, v1, 23, 8
	v_cmp_gt_u32_e64 s[18:19], s51, v1
	v_sub_u32_e32 v2, 0x79, v1
	v_cmp_eq_u32_e32 vcc, 0, v1
	v_cndmask_b32_e64 v2, 0, v2, s[18:19]
	v_mov_b32_e32 v5, 0x78
	v_or_b32_e32 v4, 0x800000, v3
	v_cndmask_b32_e32 v2, v2, v5, vcc
	v_cndmask_b32_e32 v50, v4, v3, vcc
	v_add_u32_e32 v3, 20, v2
	v_lshlrev_b64 v[3:4], v3, -1
	v_add_u32_e32 v5, 19, v2
	v_lshlrev_b64 v[5:6], v5, 1
	v_lshrrev_b64 v[16:17], v2, v[50:51]
	v_bfi_b32 v4, v4, 0, 0
	v_bfi_b32 v3, v3, 0, v50
	v_cmp_eq_u64_e64 s[18:19], v[3:4], v[5:6]
	v_mov_b32_e32 v18, v17
	v_mov_b32_e32 v17, v16
	s_and_saveexec_b64 s[92:93], s[18:19]
; %bb.10468:                            ;   in Loop: Header=BB6_10271 Depth=2
	v_bfe_u32 v3, v16, 20, 1
	v_add_co_u32_e64 v3, s[18:19], v16, v3
	v_add_co_u32_e64 v17, s[18:19], -1, v3
; %bb.10469:                            ;   in Loop: Header=BB6_10271 Depth=2
	s_or_b64 exec, exec, s[92:93]
	v_add_u32_e32 v1, 0xffffff81, v1
	v_mov_b32_e32 v3, 0xffffff82
	v_cndmask_b32_e32 v1, v1, v3, vcc
	v_lshrrev_b32_e32 v3, 23, v16
	v_add3_u32 v3, v2, v1, v3
	v_add_u32_e32 v2, 6, v3
	v_and_b32_e32 v1, 0xfffff, v17
	v_add_u32_e32 v50, v1, v16
	v_cmp_ne_u32_e32 vcc, 0, v2
                                        ; implicit-def: $vgpr16_vgpr17
                                        ; implicit-def: $vgpr1
	s_and_saveexec_b64 s[18:19], vcc
	s_xor_b64 s[18:19], exec, s[18:19]
; %bb.10470:                            ;   in Loop: Header=BB6_10271 Depth=2
	v_cmp_lt_u64_e32 vcc, s[58:59], v[50:51]
	v_add_u32_e32 v1, 7, v3
	v_cndmask_b32_e32 v1, v2, v1, vcc
	v_cndmask_b32_e64 v2, 0, 1, vcc
	v_lshrrev_b64 v[16:17], v2, v[50:51]
; %bb.10471:                            ;   in Loop: Header=BB6_10271 Depth=2
	s_andn2_saveexec_b64 s[18:19], s[18:19]
; %bb.10472:                            ;   in Loop: Header=BB6_10271 Depth=2
	v_mov_b32_e32 v16, v50
	v_bfe_u32 v1, v50, 23, 1
	v_mov_b32_e32 v17, v51
; %bb.10473:                            ;   in Loop: Header=BB6_10271 Depth=2
	s_or_b64 exec, exec, s[18:19]
	v_lshrrev_b64 v[2:3], 20, v[16:17]
	v_cmp_gt_i32_e32 vcc, 16, v1
	v_cndmask_b32_e32 v17, 0, v3, vcc
	v_cndmask_b32_e32 v16, 7, v2, vcc
	v_cmp_ne_u64_e32 vcc, 0, v[16:17]
	v_cmp_ne_u32_e64 s[18:19], 0, v1
	s_or_b64 s[18:19], s[18:19], vcc
                                        ; implicit-def: $vgpr43
	s_and_saveexec_b64 s[92:93], s[18:19]
	s_xor_b64 s[18:19], exec, s[92:93]
; %bb.10474:                            ;   in Loop: Header=BB6_10271 Depth=2
	v_min_i32_e32 v1, 15, v1
	v_lshl_or_b32 v0, v1, 3, v0
	v_and_or_b32 v43, v16, 7, v0
                                        ; implicit-def: $vgpr0
; %bb.10475:                            ;   in Loop: Header=BB6_10271 Depth=2
	s_andn2_saveexec_b64 s[18:19], s[18:19]
; %bb.10476:                            ;   in Loop: Header=BB6_10271 Depth=2
	v_mov_b32_e32 v43, v0
; %bb.10477:                            ;   in Loop: Header=BB6_10271 Depth=2
	s_or_b64 exec, exec, s[18:19]
.LBB6_10478:                            ;   in Loop: Header=BB6_10271 Depth=2
	s_or_b64 exec, exec, s[90:91]
                                        ; implicit-def: $vgpr0
.LBB6_10479:                            ;   in Loop: Header=BB6_10271 Depth=2
	s_andn2_saveexec_b64 s[18:19], s[88:89]
; %bb.10480:                            ;   in Loop: Header=BB6_10271 Depth=2
	v_or_b32_e32 v43, 0x7e, v0
; %bb.10481:                            ;   in Loop: Header=BB6_10271 Depth=2
	s_or_b64 exec, exec, s[18:19]
                                        ; implicit-def: $vgpr1
.LBB6_10482:                            ;   in Loop: Header=BB6_10271 Depth=2
	s_andn2_saveexec_b64 s[18:19], s[78:79]
; %bb.10483:                            ;   in Loop: Header=BB6_10271 Depth=2
	v_or_b32_sdwa v43, v1, s39 dst_sel:DWORD dst_unused:UNUSED_PAD src0_sel:BYTE_3 src1_sel:DWORD
; %bb.10484:                            ;   in Loop: Header=BB6_10271 Depth=2
	s_or_b64 exec, exec, s[18:19]
	flat_load_ubyte v0, v[10:11] offset:512 glc slc
	v_mov_b32_e32 v1, 0
	s_waitcnt vmcnt(0) lgkmcnt(0)
	v_cmp_ne_u16_e32 vcc, 0, v0
	s_and_saveexec_b64 s[18:19], vcc
	s_cbranch_execz .LBB6_10490
; %bb.10485:                            ;   in Loop: Header=BB6_10271 Depth=2
	v_cmp_ne_u16_e32 vcc, s50, v0
	v_bfrev_b32_e32 v1, 1
	s_and_saveexec_b64 s[78:79], vcc
	s_cbranch_execz .LBB6_10489
; %bb.10486:                            ;   in Loop: Header=BB6_10271 Depth=2
	v_and_b32_e32 v16, 0xffff, v0
	v_and_b32_e32 v2, 0x7f, v16
	v_cmp_ne_u32_e32 vcc, s39, v2
	v_mov_b32_e32 v1, 0x7f800001
	s_and_saveexec_b64 s[88:89], vcc
	s_cbranch_execz .LBB6_10488
; %bb.10487:                            ;   in Loop: Header=BB6_10271 Depth=2
	v_and_b32_e32 v3, 7, v16
	v_ffbh_u32_e32 v1, v3
	v_min_u32_e32 v5, 32, v1
	v_subrev_u32_e32 v1, 28, v5
	v_lshrrev_b32_e32 v4, 3, v2
	v_cmp_gt_u32_e32 vcc, 8, v2
	v_lshlrev_b64 v[1:2], v1, v[16:17]
	v_sub_u32_e32 v2, 29, v5
	v_and_b32_e32 v1, 7, v1
	v_cndmask_b32_e32 v2, v4, v2, vcc
	v_cndmask_b32_e32 v1, v3, v1, vcc
	v_lshlrev_b32_e32 v0, 24, v0
	v_lshlrev_b32_e32 v1, 20, v1
	v_and_b32_e32 v0, 0x80000000, v0
	v_lshl_add_u32 v2, v2, 23, v62
	v_or3_b32 v1, v0, v2, v1
.LBB6_10488:                            ;   in Loop: Header=BB6_10271 Depth=2
	s_or_b64 exec, exec, s[88:89]
.LBB6_10489:                            ;   in Loop: Header=BB6_10271 Depth=2
	s_or_b64 exec, exec, s[78:79]
.LBB6_10490:                            ;   in Loop: Header=BB6_10271 Depth=2
	s_or_b64 exec, exec, s[18:19]
	v_mul_f32_e32 v1, s94, v1
	v_and_b32_e32 v50, 0x7f800000, v1
	v_cmp_ne_u64_e32 vcc, s[46:47], v[50:51]
                                        ; implicit-def: $vgpr42
	s_and_saveexec_b64 s[18:19], vcc
	s_xor_b64 s[78:79], exec, s[18:19]
	s_cbranch_execz .LBB6_10508
; %bb.10491:                            ;   in Loop: Header=BB6_10271 Depth=2
	v_and_b32_e32 v50, 0x7fffffff, v1
	v_cmp_gt_u64_e32 vcc, s[56:57], v[50:51]
	v_and_b32_sdwa v0, v1, s50 dst_sel:DWORD dst_unused:UNUSED_PAD src0_sel:BYTE_3 src1_sel:DWORD
                                        ; implicit-def: $vgpr42
	s_and_saveexec_b64 s[18:19], vcc
	s_xor_b64 s[88:89], exec, s[18:19]
	s_cbranch_execz .LBB6_10505
; %bb.10492:                            ;   in Loop: Header=BB6_10271 Depth=2
	v_cmp_ne_u32_e32 vcc, 0, v1
	v_mov_b32_e32 v42, 0
	s_and_saveexec_b64 s[90:91], vcc
	s_cbranch_execz .LBB6_10504
; %bb.10493:                            ;   in Loop: Header=BB6_10271 Depth=2
	v_and_b32_e32 v3, 0x7fffff, v1
	v_bfe_u32 v1, v1, 23, 8
	v_cmp_gt_u32_e64 s[18:19], s51, v1
	v_sub_u32_e32 v2, 0x79, v1
	v_cmp_eq_u32_e32 vcc, 0, v1
	v_cndmask_b32_e64 v2, 0, v2, s[18:19]
	v_mov_b32_e32 v5, 0x78
	v_or_b32_e32 v4, 0x800000, v3
	v_cndmask_b32_e32 v2, v2, v5, vcc
	v_cndmask_b32_e32 v50, v4, v3, vcc
	v_add_u32_e32 v3, 20, v2
	v_lshlrev_b64 v[3:4], v3, -1
	v_add_u32_e32 v5, 19, v2
	v_lshlrev_b64 v[5:6], v5, 1
	v_lshrrev_b64 v[16:17], v2, v[50:51]
	v_bfi_b32 v4, v4, 0, 0
	v_bfi_b32 v3, v3, 0, v50
	v_cmp_eq_u64_e64 s[18:19], v[3:4], v[5:6]
	v_mov_b32_e32 v18, v17
	v_mov_b32_e32 v17, v16
	s_and_saveexec_b64 s[92:93], s[18:19]
; %bb.10494:                            ;   in Loop: Header=BB6_10271 Depth=2
	v_bfe_u32 v3, v16, 20, 1
	v_add_co_u32_e64 v3, s[18:19], v16, v3
	v_add_co_u32_e64 v17, s[18:19], -1, v3
; %bb.10495:                            ;   in Loop: Header=BB6_10271 Depth=2
	s_or_b64 exec, exec, s[92:93]
	v_add_u32_e32 v1, 0xffffff81, v1
	v_mov_b32_e32 v3, 0xffffff82
	v_cndmask_b32_e32 v1, v1, v3, vcc
	v_lshrrev_b32_e32 v3, 23, v16
	v_add3_u32 v3, v2, v1, v3
	v_add_u32_e32 v2, 6, v3
	v_and_b32_e32 v1, 0xfffff, v17
	v_add_u32_e32 v50, v1, v16
	v_cmp_ne_u32_e32 vcc, 0, v2
                                        ; implicit-def: $vgpr16_vgpr17
                                        ; implicit-def: $vgpr1
	s_and_saveexec_b64 s[18:19], vcc
	s_xor_b64 s[18:19], exec, s[18:19]
; %bb.10496:                            ;   in Loop: Header=BB6_10271 Depth=2
	v_cmp_lt_u64_e32 vcc, s[58:59], v[50:51]
	v_add_u32_e32 v1, 7, v3
	v_cndmask_b32_e32 v1, v2, v1, vcc
	v_cndmask_b32_e64 v2, 0, 1, vcc
	v_lshrrev_b64 v[16:17], v2, v[50:51]
; %bb.10497:                            ;   in Loop: Header=BB6_10271 Depth=2
	s_andn2_saveexec_b64 s[18:19], s[18:19]
; %bb.10498:                            ;   in Loop: Header=BB6_10271 Depth=2
	v_mov_b32_e32 v16, v50
	v_bfe_u32 v1, v50, 23, 1
	v_mov_b32_e32 v17, v51
; %bb.10499:                            ;   in Loop: Header=BB6_10271 Depth=2
	s_or_b64 exec, exec, s[18:19]
	v_lshrrev_b64 v[2:3], 20, v[16:17]
	v_cmp_gt_i32_e32 vcc, 16, v1
	v_cndmask_b32_e32 v17, 0, v3, vcc
	v_cndmask_b32_e32 v16, 7, v2, vcc
	v_cmp_ne_u64_e32 vcc, 0, v[16:17]
	v_cmp_ne_u32_e64 s[18:19], 0, v1
	s_or_b64 s[18:19], s[18:19], vcc
                                        ; implicit-def: $vgpr42
	s_and_saveexec_b64 s[92:93], s[18:19]
	s_xor_b64 s[18:19], exec, s[92:93]
; %bb.10500:                            ;   in Loop: Header=BB6_10271 Depth=2
	v_min_i32_e32 v1, 15, v1
	v_lshl_or_b32 v0, v1, 3, v0
	v_and_or_b32 v42, v16, 7, v0
                                        ; implicit-def: $vgpr0
; %bb.10501:                            ;   in Loop: Header=BB6_10271 Depth=2
	s_andn2_saveexec_b64 s[18:19], s[18:19]
; %bb.10502:                            ;   in Loop: Header=BB6_10271 Depth=2
	v_mov_b32_e32 v42, v0
; %bb.10503:                            ;   in Loop: Header=BB6_10271 Depth=2
	s_or_b64 exec, exec, s[18:19]
.LBB6_10504:                            ;   in Loop: Header=BB6_10271 Depth=2
	s_or_b64 exec, exec, s[90:91]
                                        ; implicit-def: $vgpr0
.LBB6_10505:                            ;   in Loop: Header=BB6_10271 Depth=2
	s_andn2_saveexec_b64 s[18:19], s[88:89]
; %bb.10506:                            ;   in Loop: Header=BB6_10271 Depth=2
	v_or_b32_e32 v42, 0x7e, v0
; %bb.10507:                            ;   in Loop: Header=BB6_10271 Depth=2
	s_or_b64 exec, exec, s[18:19]
                                        ; implicit-def: $vgpr1
.LBB6_10508:                            ;   in Loop: Header=BB6_10271 Depth=2
	s_andn2_saveexec_b64 s[18:19], s[78:79]
; %bb.10509:                            ;   in Loop: Header=BB6_10271 Depth=2
	v_or_b32_sdwa v42, v1, s39 dst_sel:DWORD dst_unused:UNUSED_PAD src0_sel:BYTE_3 src1_sel:DWORD
; %bb.10510:                            ;   in Loop: Header=BB6_10271 Depth=2
	s_or_b64 exec, exec, s[18:19]
	flat_load_ubyte v0, v[10:11] offset:576 glc slc
	v_mov_b32_e32 v1, 0
	s_waitcnt vmcnt(0) lgkmcnt(0)
	v_cmp_ne_u16_e32 vcc, 0, v0
	s_and_saveexec_b64 s[18:19], vcc
	s_cbranch_execz .LBB6_10516
; %bb.10511:                            ;   in Loop: Header=BB6_10271 Depth=2
	v_cmp_ne_u16_e32 vcc, s50, v0
	v_bfrev_b32_e32 v1, 1
	s_and_saveexec_b64 s[78:79], vcc
	s_cbranch_execz .LBB6_10515
; %bb.10512:                            ;   in Loop: Header=BB6_10271 Depth=2
	v_and_b32_e32 v16, 0xffff, v0
	v_and_b32_e32 v2, 0x7f, v16
	v_cmp_ne_u32_e32 vcc, s39, v2
	v_mov_b32_e32 v1, 0x7f800001
	s_and_saveexec_b64 s[88:89], vcc
	s_cbranch_execz .LBB6_10514
; %bb.10513:                            ;   in Loop: Header=BB6_10271 Depth=2
	v_and_b32_e32 v3, 7, v16
	v_ffbh_u32_e32 v1, v3
	v_min_u32_e32 v5, 32, v1
	v_subrev_u32_e32 v1, 28, v5
	v_lshrrev_b32_e32 v4, 3, v2
	v_cmp_gt_u32_e32 vcc, 8, v2
	v_lshlrev_b64 v[1:2], v1, v[16:17]
	v_sub_u32_e32 v2, 29, v5
	v_and_b32_e32 v1, 7, v1
	v_cndmask_b32_e32 v2, v4, v2, vcc
	v_cndmask_b32_e32 v1, v3, v1, vcc
	v_lshlrev_b32_e32 v0, 24, v0
	v_lshlrev_b32_e32 v1, 20, v1
	v_and_b32_e32 v0, 0x80000000, v0
	v_lshl_add_u32 v2, v2, 23, v62
	v_or3_b32 v1, v0, v2, v1
.LBB6_10514:                            ;   in Loop: Header=BB6_10271 Depth=2
	s_or_b64 exec, exec, s[88:89]
.LBB6_10515:                            ;   in Loop: Header=BB6_10271 Depth=2
	s_or_b64 exec, exec, s[78:79]
.LBB6_10516:                            ;   in Loop: Header=BB6_10271 Depth=2
	s_or_b64 exec, exec, s[18:19]
	v_mul_f32_e32 v1, s94, v1
	v_and_b32_e32 v50, 0x7f800000, v1
	v_cmp_ne_u64_e32 vcc, s[46:47], v[50:51]
                                        ; implicit-def: $vgpr41
	s_and_saveexec_b64 s[18:19], vcc
	s_xor_b64 s[78:79], exec, s[18:19]
	s_cbranch_execz .LBB6_10534
; %bb.10517:                            ;   in Loop: Header=BB6_10271 Depth=2
	v_and_b32_e32 v50, 0x7fffffff, v1
	v_cmp_gt_u64_e32 vcc, s[56:57], v[50:51]
	v_and_b32_sdwa v0, v1, s50 dst_sel:DWORD dst_unused:UNUSED_PAD src0_sel:BYTE_3 src1_sel:DWORD
                                        ; implicit-def: $vgpr41
	s_and_saveexec_b64 s[18:19], vcc
	s_xor_b64 s[88:89], exec, s[18:19]
	s_cbranch_execz .LBB6_10531
; %bb.10518:                            ;   in Loop: Header=BB6_10271 Depth=2
	v_cmp_ne_u32_e32 vcc, 0, v1
	v_mov_b32_e32 v41, 0
	s_and_saveexec_b64 s[90:91], vcc
	s_cbranch_execz .LBB6_10530
; %bb.10519:                            ;   in Loop: Header=BB6_10271 Depth=2
	v_and_b32_e32 v3, 0x7fffff, v1
	v_bfe_u32 v1, v1, 23, 8
	v_cmp_gt_u32_e64 s[18:19], s51, v1
	v_sub_u32_e32 v2, 0x79, v1
	v_cmp_eq_u32_e32 vcc, 0, v1
	v_cndmask_b32_e64 v2, 0, v2, s[18:19]
	v_mov_b32_e32 v5, 0x78
	v_or_b32_e32 v4, 0x800000, v3
	v_cndmask_b32_e32 v2, v2, v5, vcc
	v_cndmask_b32_e32 v50, v4, v3, vcc
	v_add_u32_e32 v3, 20, v2
	v_lshlrev_b64 v[3:4], v3, -1
	v_add_u32_e32 v5, 19, v2
	v_lshlrev_b64 v[5:6], v5, 1
	v_lshrrev_b64 v[16:17], v2, v[50:51]
	v_bfi_b32 v4, v4, 0, 0
	v_bfi_b32 v3, v3, 0, v50
	v_cmp_eq_u64_e64 s[18:19], v[3:4], v[5:6]
	v_mov_b32_e32 v18, v17
	v_mov_b32_e32 v17, v16
	s_and_saveexec_b64 s[92:93], s[18:19]
; %bb.10520:                            ;   in Loop: Header=BB6_10271 Depth=2
	v_bfe_u32 v3, v16, 20, 1
	v_add_co_u32_e64 v3, s[18:19], v16, v3
	v_add_co_u32_e64 v17, s[18:19], -1, v3
; %bb.10521:                            ;   in Loop: Header=BB6_10271 Depth=2
	s_or_b64 exec, exec, s[92:93]
	v_add_u32_e32 v1, 0xffffff81, v1
	v_mov_b32_e32 v3, 0xffffff82
	v_cndmask_b32_e32 v1, v1, v3, vcc
	v_lshrrev_b32_e32 v3, 23, v16
	v_add3_u32 v3, v2, v1, v3
	v_add_u32_e32 v2, 6, v3
	v_and_b32_e32 v1, 0xfffff, v17
	v_add_u32_e32 v50, v1, v16
	v_cmp_ne_u32_e32 vcc, 0, v2
                                        ; implicit-def: $vgpr16_vgpr17
                                        ; implicit-def: $vgpr1
	s_and_saveexec_b64 s[18:19], vcc
	s_xor_b64 s[18:19], exec, s[18:19]
; %bb.10522:                            ;   in Loop: Header=BB6_10271 Depth=2
	v_cmp_lt_u64_e32 vcc, s[58:59], v[50:51]
	v_add_u32_e32 v1, 7, v3
	v_cndmask_b32_e32 v1, v2, v1, vcc
	v_cndmask_b32_e64 v2, 0, 1, vcc
	v_lshrrev_b64 v[16:17], v2, v[50:51]
; %bb.10523:                            ;   in Loop: Header=BB6_10271 Depth=2
	s_andn2_saveexec_b64 s[18:19], s[18:19]
; %bb.10524:                            ;   in Loop: Header=BB6_10271 Depth=2
	v_mov_b32_e32 v16, v50
	v_bfe_u32 v1, v50, 23, 1
	v_mov_b32_e32 v17, v51
; %bb.10525:                            ;   in Loop: Header=BB6_10271 Depth=2
	s_or_b64 exec, exec, s[18:19]
	v_lshrrev_b64 v[2:3], 20, v[16:17]
	v_cmp_gt_i32_e32 vcc, 16, v1
	v_cndmask_b32_e32 v17, 0, v3, vcc
	v_cndmask_b32_e32 v16, 7, v2, vcc
	v_cmp_ne_u64_e32 vcc, 0, v[16:17]
	v_cmp_ne_u32_e64 s[18:19], 0, v1
	s_or_b64 s[18:19], s[18:19], vcc
                                        ; implicit-def: $vgpr41
	s_and_saveexec_b64 s[92:93], s[18:19]
	s_xor_b64 s[18:19], exec, s[92:93]
; %bb.10526:                            ;   in Loop: Header=BB6_10271 Depth=2
	v_min_i32_e32 v1, 15, v1
	v_lshl_or_b32 v0, v1, 3, v0
	v_and_or_b32 v41, v16, 7, v0
                                        ; implicit-def: $vgpr0
; %bb.10527:                            ;   in Loop: Header=BB6_10271 Depth=2
	s_andn2_saveexec_b64 s[18:19], s[18:19]
; %bb.10528:                            ;   in Loop: Header=BB6_10271 Depth=2
	v_mov_b32_e32 v41, v0
; %bb.10529:                            ;   in Loop: Header=BB6_10271 Depth=2
	s_or_b64 exec, exec, s[18:19]
.LBB6_10530:                            ;   in Loop: Header=BB6_10271 Depth=2
	s_or_b64 exec, exec, s[90:91]
                                        ; implicit-def: $vgpr0
.LBB6_10531:                            ;   in Loop: Header=BB6_10271 Depth=2
	s_andn2_saveexec_b64 s[18:19], s[88:89]
; %bb.10532:                            ;   in Loop: Header=BB6_10271 Depth=2
	v_or_b32_e32 v41, 0x7e, v0
; %bb.10533:                            ;   in Loop: Header=BB6_10271 Depth=2
	s_or_b64 exec, exec, s[18:19]
                                        ; implicit-def: $vgpr1
.LBB6_10534:                            ;   in Loop: Header=BB6_10271 Depth=2
	s_andn2_saveexec_b64 s[18:19], s[78:79]
; %bb.10535:                            ;   in Loop: Header=BB6_10271 Depth=2
	v_or_b32_sdwa v41, v1, s39 dst_sel:DWORD dst_unused:UNUSED_PAD src0_sel:BYTE_3 src1_sel:DWORD
; %bb.10536:                            ;   in Loop: Header=BB6_10271 Depth=2
	s_or_b64 exec, exec, s[18:19]
	flat_load_ubyte v0, v[10:11] offset:640 glc slc
	v_mov_b32_e32 v1, 0
	s_waitcnt vmcnt(0) lgkmcnt(0)
	v_cmp_ne_u16_e32 vcc, 0, v0
	s_and_saveexec_b64 s[18:19], vcc
	s_cbranch_execz .LBB6_10542
; %bb.10537:                            ;   in Loop: Header=BB6_10271 Depth=2
	v_cmp_ne_u16_e32 vcc, s50, v0
	v_bfrev_b32_e32 v1, 1
	s_and_saveexec_b64 s[78:79], vcc
	s_cbranch_execz .LBB6_10541
; %bb.10538:                            ;   in Loop: Header=BB6_10271 Depth=2
	v_and_b32_e32 v16, 0xffff, v0
	v_and_b32_e32 v2, 0x7f, v16
	v_cmp_ne_u32_e32 vcc, s39, v2
	v_mov_b32_e32 v1, 0x7f800001
	s_and_saveexec_b64 s[88:89], vcc
	s_cbranch_execz .LBB6_10540
; %bb.10539:                            ;   in Loop: Header=BB6_10271 Depth=2
	v_and_b32_e32 v3, 7, v16
	v_ffbh_u32_e32 v1, v3
	v_min_u32_e32 v5, 32, v1
	v_subrev_u32_e32 v1, 28, v5
	v_lshrrev_b32_e32 v4, 3, v2
	v_cmp_gt_u32_e32 vcc, 8, v2
	v_lshlrev_b64 v[1:2], v1, v[16:17]
	v_sub_u32_e32 v2, 29, v5
	v_and_b32_e32 v1, 7, v1
	v_cndmask_b32_e32 v2, v4, v2, vcc
	v_cndmask_b32_e32 v1, v3, v1, vcc
	v_lshlrev_b32_e32 v0, 24, v0
	v_lshlrev_b32_e32 v1, 20, v1
	v_and_b32_e32 v0, 0x80000000, v0
	v_lshl_add_u32 v2, v2, 23, v62
	v_or3_b32 v1, v0, v2, v1
.LBB6_10540:                            ;   in Loop: Header=BB6_10271 Depth=2
	s_or_b64 exec, exec, s[88:89]
.LBB6_10541:                            ;   in Loop: Header=BB6_10271 Depth=2
	s_or_b64 exec, exec, s[78:79]
.LBB6_10542:                            ;   in Loop: Header=BB6_10271 Depth=2
	s_or_b64 exec, exec, s[18:19]
	v_mul_f32_e32 v1, s94, v1
	v_and_b32_e32 v50, 0x7f800000, v1
	v_cmp_ne_u64_e32 vcc, s[46:47], v[50:51]
                                        ; implicit-def: $vgpr40
	s_and_saveexec_b64 s[18:19], vcc
	s_xor_b64 s[78:79], exec, s[18:19]
	s_cbranch_execz .LBB6_10560
; %bb.10543:                            ;   in Loop: Header=BB6_10271 Depth=2
	v_and_b32_e32 v50, 0x7fffffff, v1
	v_cmp_gt_u64_e32 vcc, s[56:57], v[50:51]
	v_and_b32_sdwa v0, v1, s50 dst_sel:DWORD dst_unused:UNUSED_PAD src0_sel:BYTE_3 src1_sel:DWORD
                                        ; implicit-def: $vgpr40
	s_and_saveexec_b64 s[18:19], vcc
	s_xor_b64 s[88:89], exec, s[18:19]
	s_cbranch_execz .LBB6_10557
; %bb.10544:                            ;   in Loop: Header=BB6_10271 Depth=2
	v_cmp_ne_u32_e32 vcc, 0, v1
	v_mov_b32_e32 v40, 0
	s_and_saveexec_b64 s[90:91], vcc
	s_cbranch_execz .LBB6_10556
; %bb.10545:                            ;   in Loop: Header=BB6_10271 Depth=2
	v_and_b32_e32 v3, 0x7fffff, v1
	v_bfe_u32 v1, v1, 23, 8
	v_cmp_gt_u32_e64 s[18:19], s51, v1
	v_sub_u32_e32 v2, 0x79, v1
	v_cmp_eq_u32_e32 vcc, 0, v1
	v_cndmask_b32_e64 v2, 0, v2, s[18:19]
	v_mov_b32_e32 v5, 0x78
	v_or_b32_e32 v4, 0x800000, v3
	v_cndmask_b32_e32 v2, v2, v5, vcc
	v_cndmask_b32_e32 v50, v4, v3, vcc
	v_add_u32_e32 v3, 20, v2
	v_lshlrev_b64 v[3:4], v3, -1
	v_add_u32_e32 v5, 19, v2
	v_lshlrev_b64 v[5:6], v5, 1
	v_lshrrev_b64 v[16:17], v2, v[50:51]
	v_bfi_b32 v4, v4, 0, 0
	v_bfi_b32 v3, v3, 0, v50
	v_cmp_eq_u64_e64 s[18:19], v[3:4], v[5:6]
	v_mov_b32_e32 v18, v17
	v_mov_b32_e32 v17, v16
	s_and_saveexec_b64 s[92:93], s[18:19]
; %bb.10546:                            ;   in Loop: Header=BB6_10271 Depth=2
	v_bfe_u32 v3, v16, 20, 1
	v_add_co_u32_e64 v3, s[18:19], v16, v3
	v_add_co_u32_e64 v17, s[18:19], -1, v3
; %bb.10547:                            ;   in Loop: Header=BB6_10271 Depth=2
	s_or_b64 exec, exec, s[92:93]
	v_add_u32_e32 v1, 0xffffff81, v1
	v_mov_b32_e32 v3, 0xffffff82
	v_cndmask_b32_e32 v1, v1, v3, vcc
	v_lshrrev_b32_e32 v3, 23, v16
	v_add3_u32 v3, v2, v1, v3
	v_add_u32_e32 v2, 6, v3
	v_and_b32_e32 v1, 0xfffff, v17
	v_add_u32_e32 v50, v1, v16
	v_cmp_ne_u32_e32 vcc, 0, v2
                                        ; implicit-def: $vgpr16_vgpr17
                                        ; implicit-def: $vgpr1
	s_and_saveexec_b64 s[18:19], vcc
	s_xor_b64 s[18:19], exec, s[18:19]
; %bb.10548:                            ;   in Loop: Header=BB6_10271 Depth=2
	v_cmp_lt_u64_e32 vcc, s[58:59], v[50:51]
	v_add_u32_e32 v1, 7, v3
	v_cndmask_b32_e32 v1, v2, v1, vcc
	v_cndmask_b32_e64 v2, 0, 1, vcc
	v_lshrrev_b64 v[16:17], v2, v[50:51]
; %bb.10549:                            ;   in Loop: Header=BB6_10271 Depth=2
	s_andn2_saveexec_b64 s[18:19], s[18:19]
; %bb.10550:                            ;   in Loop: Header=BB6_10271 Depth=2
	v_mov_b32_e32 v16, v50
	v_bfe_u32 v1, v50, 23, 1
	v_mov_b32_e32 v17, v51
; %bb.10551:                            ;   in Loop: Header=BB6_10271 Depth=2
	s_or_b64 exec, exec, s[18:19]
	v_lshrrev_b64 v[2:3], 20, v[16:17]
	v_cmp_gt_i32_e32 vcc, 16, v1
	v_cndmask_b32_e32 v17, 0, v3, vcc
	v_cndmask_b32_e32 v16, 7, v2, vcc
	v_cmp_ne_u64_e32 vcc, 0, v[16:17]
	v_cmp_ne_u32_e64 s[18:19], 0, v1
	s_or_b64 s[18:19], s[18:19], vcc
                                        ; implicit-def: $vgpr40
	s_and_saveexec_b64 s[92:93], s[18:19]
	s_xor_b64 s[18:19], exec, s[92:93]
; %bb.10552:                            ;   in Loop: Header=BB6_10271 Depth=2
	v_min_i32_e32 v1, 15, v1
	v_lshl_or_b32 v0, v1, 3, v0
	v_and_or_b32 v40, v16, 7, v0
                                        ; implicit-def: $vgpr0
; %bb.10553:                            ;   in Loop: Header=BB6_10271 Depth=2
	s_andn2_saveexec_b64 s[18:19], s[18:19]
; %bb.10554:                            ;   in Loop: Header=BB6_10271 Depth=2
	v_mov_b32_e32 v40, v0
; %bb.10555:                            ;   in Loop: Header=BB6_10271 Depth=2
	s_or_b64 exec, exec, s[18:19]
.LBB6_10556:                            ;   in Loop: Header=BB6_10271 Depth=2
	s_or_b64 exec, exec, s[90:91]
                                        ; implicit-def: $vgpr0
.LBB6_10557:                            ;   in Loop: Header=BB6_10271 Depth=2
	s_andn2_saveexec_b64 s[18:19], s[88:89]
; %bb.10558:                            ;   in Loop: Header=BB6_10271 Depth=2
	v_or_b32_e32 v40, 0x7e, v0
; %bb.10559:                            ;   in Loop: Header=BB6_10271 Depth=2
	s_or_b64 exec, exec, s[18:19]
                                        ; implicit-def: $vgpr1
.LBB6_10560:                            ;   in Loop: Header=BB6_10271 Depth=2
	s_andn2_saveexec_b64 s[18:19], s[78:79]
; %bb.10561:                            ;   in Loop: Header=BB6_10271 Depth=2
	v_or_b32_sdwa v40, v1, s39 dst_sel:DWORD dst_unused:UNUSED_PAD src0_sel:BYTE_3 src1_sel:DWORD
; %bb.10562:                            ;   in Loop: Header=BB6_10271 Depth=2
	s_or_b64 exec, exec, s[18:19]
	flat_load_ubyte v0, v[10:11] offset:704 glc slc
	v_mov_b32_e32 v1, 0
	s_waitcnt vmcnt(0) lgkmcnt(0)
	v_cmp_ne_u16_e32 vcc, 0, v0
	s_and_saveexec_b64 s[18:19], vcc
	s_cbranch_execz .LBB6_10568
; %bb.10563:                            ;   in Loop: Header=BB6_10271 Depth=2
	v_cmp_ne_u16_e32 vcc, s50, v0
	v_bfrev_b32_e32 v1, 1
	s_and_saveexec_b64 s[78:79], vcc
	s_cbranch_execz .LBB6_10567
; %bb.10564:                            ;   in Loop: Header=BB6_10271 Depth=2
	v_and_b32_e32 v16, 0xffff, v0
	v_and_b32_e32 v2, 0x7f, v16
	v_cmp_ne_u32_e32 vcc, s39, v2
	v_mov_b32_e32 v1, 0x7f800001
	s_and_saveexec_b64 s[88:89], vcc
	s_cbranch_execz .LBB6_10566
; %bb.10565:                            ;   in Loop: Header=BB6_10271 Depth=2
	v_and_b32_e32 v3, 7, v16
	v_ffbh_u32_e32 v1, v3
	v_min_u32_e32 v5, 32, v1
	v_subrev_u32_e32 v1, 28, v5
	v_lshrrev_b32_e32 v4, 3, v2
	v_cmp_gt_u32_e32 vcc, 8, v2
	v_lshlrev_b64 v[1:2], v1, v[16:17]
	v_sub_u32_e32 v2, 29, v5
	v_and_b32_e32 v1, 7, v1
	v_cndmask_b32_e32 v2, v4, v2, vcc
	v_cndmask_b32_e32 v1, v3, v1, vcc
	v_lshlrev_b32_e32 v0, 24, v0
	v_lshlrev_b32_e32 v1, 20, v1
	v_and_b32_e32 v0, 0x80000000, v0
	v_lshl_add_u32 v2, v2, 23, v62
	v_or3_b32 v1, v0, v2, v1
.LBB6_10566:                            ;   in Loop: Header=BB6_10271 Depth=2
	s_or_b64 exec, exec, s[88:89]
.LBB6_10567:                            ;   in Loop: Header=BB6_10271 Depth=2
	s_or_b64 exec, exec, s[78:79]
.LBB6_10568:                            ;   in Loop: Header=BB6_10271 Depth=2
	s_or_b64 exec, exec, s[18:19]
	v_mul_f32_e32 v1, s94, v1
	v_and_b32_e32 v50, 0x7f800000, v1
	v_cmp_ne_u64_e32 vcc, s[46:47], v[50:51]
                                        ; implicit-def: $vgpr55
	s_and_saveexec_b64 s[18:19], vcc
	s_xor_b64 s[78:79], exec, s[18:19]
	s_cbranch_execz .LBB6_10586
; %bb.10569:                            ;   in Loop: Header=BB6_10271 Depth=2
	v_and_b32_e32 v50, 0x7fffffff, v1
	v_cmp_gt_u64_e32 vcc, s[56:57], v[50:51]
	v_and_b32_sdwa v0, v1, s50 dst_sel:DWORD dst_unused:UNUSED_PAD src0_sel:BYTE_3 src1_sel:DWORD
                                        ; implicit-def: $vgpr55
	s_and_saveexec_b64 s[18:19], vcc
	s_xor_b64 s[88:89], exec, s[18:19]
	s_cbranch_execz .LBB6_10583
; %bb.10570:                            ;   in Loop: Header=BB6_10271 Depth=2
	v_cmp_ne_u32_e32 vcc, 0, v1
	v_mov_b32_e32 v55, 0
	s_and_saveexec_b64 s[90:91], vcc
	s_cbranch_execz .LBB6_10582
; %bb.10571:                            ;   in Loop: Header=BB6_10271 Depth=2
	v_and_b32_e32 v3, 0x7fffff, v1
	v_bfe_u32 v1, v1, 23, 8
	v_cmp_gt_u32_e64 s[18:19], s51, v1
	v_sub_u32_e32 v2, 0x79, v1
	v_cmp_eq_u32_e32 vcc, 0, v1
	v_cndmask_b32_e64 v2, 0, v2, s[18:19]
	v_mov_b32_e32 v5, 0x78
	v_or_b32_e32 v4, 0x800000, v3
	v_cndmask_b32_e32 v2, v2, v5, vcc
	v_cndmask_b32_e32 v50, v4, v3, vcc
	v_add_u32_e32 v3, 20, v2
	v_lshlrev_b64 v[3:4], v3, -1
	v_add_u32_e32 v5, 19, v2
	v_lshlrev_b64 v[5:6], v5, 1
	v_lshrrev_b64 v[16:17], v2, v[50:51]
	v_bfi_b32 v4, v4, 0, 0
	v_bfi_b32 v3, v3, 0, v50
	v_cmp_eq_u64_e64 s[18:19], v[3:4], v[5:6]
	v_mov_b32_e32 v18, v17
	v_mov_b32_e32 v17, v16
	s_and_saveexec_b64 s[92:93], s[18:19]
; %bb.10572:                            ;   in Loop: Header=BB6_10271 Depth=2
	v_bfe_u32 v3, v16, 20, 1
	v_add_co_u32_e64 v3, s[18:19], v16, v3
	v_add_co_u32_e64 v17, s[18:19], -1, v3
; %bb.10573:                            ;   in Loop: Header=BB6_10271 Depth=2
	s_or_b64 exec, exec, s[92:93]
	v_add_u32_e32 v1, 0xffffff81, v1
	v_mov_b32_e32 v3, 0xffffff82
	v_cndmask_b32_e32 v1, v1, v3, vcc
	v_lshrrev_b32_e32 v3, 23, v16
	v_add3_u32 v3, v2, v1, v3
	v_add_u32_e32 v2, 6, v3
	v_and_b32_e32 v1, 0xfffff, v17
	v_add_u32_e32 v50, v1, v16
	v_cmp_ne_u32_e32 vcc, 0, v2
                                        ; implicit-def: $vgpr16_vgpr17
                                        ; implicit-def: $vgpr1
	s_and_saveexec_b64 s[18:19], vcc
	s_xor_b64 s[18:19], exec, s[18:19]
; %bb.10574:                            ;   in Loop: Header=BB6_10271 Depth=2
	v_cmp_lt_u64_e32 vcc, s[58:59], v[50:51]
	v_add_u32_e32 v1, 7, v3
	v_cndmask_b32_e32 v1, v2, v1, vcc
	v_cndmask_b32_e64 v2, 0, 1, vcc
	v_lshrrev_b64 v[16:17], v2, v[50:51]
; %bb.10575:                            ;   in Loop: Header=BB6_10271 Depth=2
	s_andn2_saveexec_b64 s[18:19], s[18:19]
; %bb.10576:                            ;   in Loop: Header=BB6_10271 Depth=2
	v_mov_b32_e32 v16, v50
	v_bfe_u32 v1, v50, 23, 1
	v_mov_b32_e32 v17, v51
; %bb.10577:                            ;   in Loop: Header=BB6_10271 Depth=2
	s_or_b64 exec, exec, s[18:19]
	v_lshrrev_b64 v[2:3], 20, v[16:17]
	v_cmp_gt_i32_e32 vcc, 16, v1
	v_cndmask_b32_e32 v17, 0, v3, vcc
	v_cndmask_b32_e32 v16, 7, v2, vcc
	v_cmp_ne_u64_e32 vcc, 0, v[16:17]
	v_cmp_ne_u32_e64 s[18:19], 0, v1
	s_or_b64 s[18:19], s[18:19], vcc
                                        ; implicit-def: $vgpr55
	s_and_saveexec_b64 s[92:93], s[18:19]
	s_xor_b64 s[18:19], exec, s[92:93]
; %bb.10578:                            ;   in Loop: Header=BB6_10271 Depth=2
	v_min_i32_e32 v1, 15, v1
	v_lshl_or_b32 v0, v1, 3, v0
	v_and_or_b32 v55, v16, 7, v0
                                        ; implicit-def: $vgpr0
; %bb.10579:                            ;   in Loop: Header=BB6_10271 Depth=2
	s_andn2_saveexec_b64 s[18:19], s[18:19]
; %bb.10580:                            ;   in Loop: Header=BB6_10271 Depth=2
	v_mov_b32_e32 v55, v0
; %bb.10581:                            ;   in Loop: Header=BB6_10271 Depth=2
	s_or_b64 exec, exec, s[18:19]
.LBB6_10582:                            ;   in Loop: Header=BB6_10271 Depth=2
	s_or_b64 exec, exec, s[90:91]
                                        ; implicit-def: $vgpr0
.LBB6_10583:                            ;   in Loop: Header=BB6_10271 Depth=2
	s_andn2_saveexec_b64 s[18:19], s[88:89]
; %bb.10584:                            ;   in Loop: Header=BB6_10271 Depth=2
	v_or_b32_e32 v55, 0x7e, v0
; %bb.10585:                            ;   in Loop: Header=BB6_10271 Depth=2
	s_or_b64 exec, exec, s[18:19]
                                        ; implicit-def: $vgpr1
.LBB6_10586:                            ;   in Loop: Header=BB6_10271 Depth=2
	s_andn2_saveexec_b64 s[18:19], s[78:79]
; %bb.10587:                            ;   in Loop: Header=BB6_10271 Depth=2
	v_or_b32_sdwa v55, v1, s39 dst_sel:DWORD dst_unused:UNUSED_PAD src0_sel:BYTE_3 src1_sel:DWORD
; %bb.10588:                            ;   in Loop: Header=BB6_10271 Depth=2
	s_or_b64 exec, exec, s[18:19]
	flat_load_ubyte v0, v[10:11] offset:768 glc slc
	v_mov_b32_e32 v1, 0
	s_waitcnt vmcnt(0) lgkmcnt(0)
	v_cmp_ne_u16_e32 vcc, 0, v0
	s_and_saveexec_b64 s[18:19], vcc
	s_cbranch_execz .LBB6_10594
; %bb.10589:                            ;   in Loop: Header=BB6_10271 Depth=2
	v_cmp_ne_u16_e32 vcc, s50, v0
	v_bfrev_b32_e32 v1, 1
	s_and_saveexec_b64 s[78:79], vcc
	s_cbranch_execz .LBB6_10593
; %bb.10590:                            ;   in Loop: Header=BB6_10271 Depth=2
	v_and_b32_e32 v16, 0xffff, v0
	v_and_b32_e32 v2, 0x7f, v16
	v_cmp_ne_u32_e32 vcc, s39, v2
	v_mov_b32_e32 v1, 0x7f800001
	s_and_saveexec_b64 s[88:89], vcc
	s_cbranch_execz .LBB6_10592
; %bb.10591:                            ;   in Loop: Header=BB6_10271 Depth=2
	v_and_b32_e32 v3, 7, v16
	v_ffbh_u32_e32 v1, v3
	v_min_u32_e32 v5, 32, v1
	v_subrev_u32_e32 v1, 28, v5
	v_lshrrev_b32_e32 v4, 3, v2
	v_cmp_gt_u32_e32 vcc, 8, v2
	v_lshlrev_b64 v[1:2], v1, v[16:17]
	v_sub_u32_e32 v2, 29, v5
	v_and_b32_e32 v1, 7, v1
	v_cndmask_b32_e32 v2, v4, v2, vcc
	v_cndmask_b32_e32 v1, v3, v1, vcc
	v_lshlrev_b32_e32 v0, 24, v0
	v_lshlrev_b32_e32 v1, 20, v1
	v_and_b32_e32 v0, 0x80000000, v0
	v_lshl_add_u32 v2, v2, 23, v62
	v_or3_b32 v1, v0, v2, v1
.LBB6_10592:                            ;   in Loop: Header=BB6_10271 Depth=2
	s_or_b64 exec, exec, s[88:89]
.LBB6_10593:                            ;   in Loop: Header=BB6_10271 Depth=2
	s_or_b64 exec, exec, s[78:79]
.LBB6_10594:                            ;   in Loop: Header=BB6_10271 Depth=2
	s_or_b64 exec, exec, s[18:19]
	v_mul_f32_e32 v1, s94, v1
	v_and_b32_e32 v50, 0x7f800000, v1
	v_cmp_ne_u64_e32 vcc, s[46:47], v[50:51]
                                        ; implicit-def: $vgpr54
	s_and_saveexec_b64 s[18:19], vcc
	s_xor_b64 s[78:79], exec, s[18:19]
	s_cbranch_execz .LBB6_10612
; %bb.10595:                            ;   in Loop: Header=BB6_10271 Depth=2
	v_and_b32_e32 v50, 0x7fffffff, v1
	v_cmp_gt_u64_e32 vcc, s[56:57], v[50:51]
	v_and_b32_sdwa v0, v1, s50 dst_sel:DWORD dst_unused:UNUSED_PAD src0_sel:BYTE_3 src1_sel:DWORD
                                        ; implicit-def: $vgpr54
	s_and_saveexec_b64 s[18:19], vcc
	s_xor_b64 s[88:89], exec, s[18:19]
	s_cbranch_execz .LBB6_10609
; %bb.10596:                            ;   in Loop: Header=BB6_10271 Depth=2
	v_cmp_ne_u32_e32 vcc, 0, v1
	v_mov_b32_e32 v54, 0
	s_and_saveexec_b64 s[90:91], vcc
	s_cbranch_execz .LBB6_10608
; %bb.10597:                            ;   in Loop: Header=BB6_10271 Depth=2
	v_and_b32_e32 v3, 0x7fffff, v1
	v_bfe_u32 v1, v1, 23, 8
	v_cmp_gt_u32_e64 s[18:19], s51, v1
	v_sub_u32_e32 v2, 0x79, v1
	v_cmp_eq_u32_e32 vcc, 0, v1
	v_cndmask_b32_e64 v2, 0, v2, s[18:19]
	v_mov_b32_e32 v5, 0x78
	v_or_b32_e32 v4, 0x800000, v3
	v_cndmask_b32_e32 v2, v2, v5, vcc
	v_cndmask_b32_e32 v50, v4, v3, vcc
	v_add_u32_e32 v3, 20, v2
	v_lshlrev_b64 v[3:4], v3, -1
	v_add_u32_e32 v5, 19, v2
	v_lshlrev_b64 v[5:6], v5, 1
	v_lshrrev_b64 v[16:17], v2, v[50:51]
	v_bfi_b32 v4, v4, 0, 0
	v_bfi_b32 v3, v3, 0, v50
	v_cmp_eq_u64_e64 s[18:19], v[3:4], v[5:6]
	v_mov_b32_e32 v18, v17
	v_mov_b32_e32 v17, v16
	s_and_saveexec_b64 s[92:93], s[18:19]
; %bb.10598:                            ;   in Loop: Header=BB6_10271 Depth=2
	v_bfe_u32 v3, v16, 20, 1
	v_add_co_u32_e64 v3, s[18:19], v16, v3
	v_add_co_u32_e64 v17, s[18:19], -1, v3
; %bb.10599:                            ;   in Loop: Header=BB6_10271 Depth=2
	s_or_b64 exec, exec, s[92:93]
	v_add_u32_e32 v1, 0xffffff81, v1
	v_mov_b32_e32 v3, 0xffffff82
	v_cndmask_b32_e32 v1, v1, v3, vcc
	v_lshrrev_b32_e32 v3, 23, v16
	v_add3_u32 v3, v2, v1, v3
	v_add_u32_e32 v2, 6, v3
	v_and_b32_e32 v1, 0xfffff, v17
	v_add_u32_e32 v50, v1, v16
	v_cmp_ne_u32_e32 vcc, 0, v2
                                        ; implicit-def: $vgpr16_vgpr17
                                        ; implicit-def: $vgpr1
	s_and_saveexec_b64 s[18:19], vcc
	s_xor_b64 s[18:19], exec, s[18:19]
; %bb.10600:                            ;   in Loop: Header=BB6_10271 Depth=2
	v_cmp_lt_u64_e32 vcc, s[58:59], v[50:51]
	v_add_u32_e32 v1, 7, v3
	v_cndmask_b32_e32 v1, v2, v1, vcc
	v_cndmask_b32_e64 v2, 0, 1, vcc
	v_lshrrev_b64 v[16:17], v2, v[50:51]
; %bb.10601:                            ;   in Loop: Header=BB6_10271 Depth=2
	s_andn2_saveexec_b64 s[18:19], s[18:19]
; %bb.10602:                            ;   in Loop: Header=BB6_10271 Depth=2
	v_mov_b32_e32 v16, v50
	v_bfe_u32 v1, v50, 23, 1
	v_mov_b32_e32 v17, v51
; %bb.10603:                            ;   in Loop: Header=BB6_10271 Depth=2
	s_or_b64 exec, exec, s[18:19]
	v_lshrrev_b64 v[2:3], 20, v[16:17]
	v_cmp_gt_i32_e32 vcc, 16, v1
	v_cndmask_b32_e32 v17, 0, v3, vcc
	v_cndmask_b32_e32 v16, 7, v2, vcc
	v_cmp_ne_u64_e32 vcc, 0, v[16:17]
	v_cmp_ne_u32_e64 s[18:19], 0, v1
	s_or_b64 s[18:19], s[18:19], vcc
                                        ; implicit-def: $vgpr54
	s_and_saveexec_b64 s[92:93], s[18:19]
	s_xor_b64 s[18:19], exec, s[92:93]
; %bb.10604:                            ;   in Loop: Header=BB6_10271 Depth=2
	v_min_i32_e32 v1, 15, v1
	v_lshl_or_b32 v0, v1, 3, v0
	v_and_or_b32 v54, v16, 7, v0
                                        ; implicit-def: $vgpr0
; %bb.10605:                            ;   in Loop: Header=BB6_10271 Depth=2
	s_andn2_saveexec_b64 s[18:19], s[18:19]
; %bb.10606:                            ;   in Loop: Header=BB6_10271 Depth=2
	v_mov_b32_e32 v54, v0
; %bb.10607:                            ;   in Loop: Header=BB6_10271 Depth=2
	s_or_b64 exec, exec, s[18:19]
.LBB6_10608:                            ;   in Loop: Header=BB6_10271 Depth=2
	s_or_b64 exec, exec, s[90:91]
                                        ; implicit-def: $vgpr0
.LBB6_10609:                            ;   in Loop: Header=BB6_10271 Depth=2
	s_andn2_saveexec_b64 s[18:19], s[88:89]
; %bb.10610:                            ;   in Loop: Header=BB6_10271 Depth=2
	v_or_b32_e32 v54, 0x7e, v0
; %bb.10611:                            ;   in Loop: Header=BB6_10271 Depth=2
	s_or_b64 exec, exec, s[18:19]
                                        ; implicit-def: $vgpr1
.LBB6_10612:                            ;   in Loop: Header=BB6_10271 Depth=2
	s_andn2_saveexec_b64 s[18:19], s[78:79]
; %bb.10613:                            ;   in Loop: Header=BB6_10271 Depth=2
	v_or_b32_sdwa v54, v1, s39 dst_sel:DWORD dst_unused:UNUSED_PAD src0_sel:BYTE_3 src1_sel:DWORD
; %bb.10614:                            ;   in Loop: Header=BB6_10271 Depth=2
	s_or_b64 exec, exec, s[18:19]
	flat_load_ubyte v0, v[10:11] offset:832 glc slc
	v_mov_b32_e32 v1, 0
	s_waitcnt vmcnt(0) lgkmcnt(0)
	v_cmp_ne_u16_e32 vcc, 0, v0
	s_and_saveexec_b64 s[18:19], vcc
	s_cbranch_execz .LBB6_10620
; %bb.10615:                            ;   in Loop: Header=BB6_10271 Depth=2
	v_cmp_ne_u16_e32 vcc, s50, v0
	v_bfrev_b32_e32 v1, 1
	s_and_saveexec_b64 s[78:79], vcc
	s_cbranch_execz .LBB6_10619
; %bb.10616:                            ;   in Loop: Header=BB6_10271 Depth=2
	v_and_b32_e32 v16, 0xffff, v0
	v_and_b32_e32 v2, 0x7f, v16
	v_cmp_ne_u32_e32 vcc, s39, v2
	v_mov_b32_e32 v1, 0x7f800001
	s_and_saveexec_b64 s[88:89], vcc
	s_cbranch_execz .LBB6_10618
; %bb.10617:                            ;   in Loop: Header=BB6_10271 Depth=2
	v_and_b32_e32 v3, 7, v16
	v_ffbh_u32_e32 v1, v3
	v_min_u32_e32 v5, 32, v1
	v_subrev_u32_e32 v1, 28, v5
	v_lshrrev_b32_e32 v4, 3, v2
	v_cmp_gt_u32_e32 vcc, 8, v2
	v_lshlrev_b64 v[1:2], v1, v[16:17]
	v_sub_u32_e32 v2, 29, v5
	v_and_b32_e32 v1, 7, v1
	v_cndmask_b32_e32 v2, v4, v2, vcc
	v_cndmask_b32_e32 v1, v3, v1, vcc
	v_lshlrev_b32_e32 v0, 24, v0
	v_lshlrev_b32_e32 v1, 20, v1
	v_and_b32_e32 v0, 0x80000000, v0
	v_lshl_add_u32 v2, v2, 23, v62
	v_or3_b32 v1, v0, v2, v1
.LBB6_10618:                            ;   in Loop: Header=BB6_10271 Depth=2
	s_or_b64 exec, exec, s[88:89]
.LBB6_10619:                            ;   in Loop: Header=BB6_10271 Depth=2
	s_or_b64 exec, exec, s[78:79]
.LBB6_10620:                            ;   in Loop: Header=BB6_10271 Depth=2
	s_or_b64 exec, exec, s[18:19]
	v_mul_f32_e32 v1, s94, v1
	v_and_b32_e32 v50, 0x7f800000, v1
	v_cmp_ne_u64_e32 vcc, s[46:47], v[50:51]
                                        ; implicit-def: $vgpr38
	s_and_saveexec_b64 s[18:19], vcc
	s_xor_b64 s[78:79], exec, s[18:19]
	s_cbranch_execz .LBB6_10638
; %bb.10621:                            ;   in Loop: Header=BB6_10271 Depth=2
	v_and_b32_e32 v50, 0x7fffffff, v1
	v_cmp_gt_u64_e32 vcc, s[56:57], v[50:51]
	v_and_b32_sdwa v0, v1, s50 dst_sel:DWORD dst_unused:UNUSED_PAD src0_sel:BYTE_3 src1_sel:DWORD
                                        ; implicit-def: $vgpr38
	s_and_saveexec_b64 s[18:19], vcc
	s_xor_b64 s[88:89], exec, s[18:19]
	s_cbranch_execz .LBB6_10635
; %bb.10622:                            ;   in Loop: Header=BB6_10271 Depth=2
	v_cmp_ne_u32_e32 vcc, 0, v1
	v_mov_b32_e32 v38, 0
	s_and_saveexec_b64 s[90:91], vcc
	s_cbranch_execz .LBB6_10634
; %bb.10623:                            ;   in Loop: Header=BB6_10271 Depth=2
	v_and_b32_e32 v3, 0x7fffff, v1
	v_bfe_u32 v1, v1, 23, 8
	v_cmp_gt_u32_e64 s[18:19], s51, v1
	v_sub_u32_e32 v2, 0x79, v1
	v_cmp_eq_u32_e32 vcc, 0, v1
	v_cndmask_b32_e64 v2, 0, v2, s[18:19]
	v_mov_b32_e32 v5, 0x78
	v_or_b32_e32 v4, 0x800000, v3
	v_cndmask_b32_e32 v2, v2, v5, vcc
	v_cndmask_b32_e32 v50, v4, v3, vcc
	v_add_u32_e32 v3, 20, v2
	v_lshlrev_b64 v[3:4], v3, -1
	v_add_u32_e32 v5, 19, v2
	v_lshlrev_b64 v[5:6], v5, 1
	v_lshrrev_b64 v[16:17], v2, v[50:51]
	v_bfi_b32 v4, v4, 0, 0
	v_bfi_b32 v3, v3, 0, v50
	v_cmp_eq_u64_e64 s[18:19], v[3:4], v[5:6]
	v_mov_b32_e32 v18, v17
	v_mov_b32_e32 v17, v16
	s_and_saveexec_b64 s[92:93], s[18:19]
; %bb.10624:                            ;   in Loop: Header=BB6_10271 Depth=2
	v_bfe_u32 v3, v16, 20, 1
	v_add_co_u32_e64 v3, s[18:19], v16, v3
	v_add_co_u32_e64 v17, s[18:19], -1, v3
; %bb.10625:                            ;   in Loop: Header=BB6_10271 Depth=2
	s_or_b64 exec, exec, s[92:93]
	v_add_u32_e32 v1, 0xffffff81, v1
	v_mov_b32_e32 v3, 0xffffff82
	v_cndmask_b32_e32 v1, v1, v3, vcc
	v_lshrrev_b32_e32 v3, 23, v16
	v_add3_u32 v3, v2, v1, v3
	v_add_u32_e32 v2, 6, v3
	v_and_b32_e32 v1, 0xfffff, v17
	v_add_u32_e32 v50, v1, v16
	v_cmp_ne_u32_e32 vcc, 0, v2
                                        ; implicit-def: $vgpr16_vgpr17
                                        ; implicit-def: $vgpr1
	s_and_saveexec_b64 s[18:19], vcc
	s_xor_b64 s[18:19], exec, s[18:19]
; %bb.10626:                            ;   in Loop: Header=BB6_10271 Depth=2
	v_cmp_lt_u64_e32 vcc, s[58:59], v[50:51]
	v_add_u32_e32 v1, 7, v3
	v_cndmask_b32_e32 v1, v2, v1, vcc
	v_cndmask_b32_e64 v2, 0, 1, vcc
	v_lshrrev_b64 v[16:17], v2, v[50:51]
; %bb.10627:                            ;   in Loop: Header=BB6_10271 Depth=2
	s_andn2_saveexec_b64 s[18:19], s[18:19]
; %bb.10628:                            ;   in Loop: Header=BB6_10271 Depth=2
	v_mov_b32_e32 v16, v50
	v_bfe_u32 v1, v50, 23, 1
	v_mov_b32_e32 v17, v51
; %bb.10629:                            ;   in Loop: Header=BB6_10271 Depth=2
	s_or_b64 exec, exec, s[18:19]
	v_lshrrev_b64 v[2:3], 20, v[16:17]
	v_cmp_gt_i32_e32 vcc, 16, v1
	v_cndmask_b32_e32 v17, 0, v3, vcc
	v_cndmask_b32_e32 v16, 7, v2, vcc
	v_cmp_ne_u64_e32 vcc, 0, v[16:17]
	v_cmp_ne_u32_e64 s[18:19], 0, v1
	s_or_b64 s[18:19], s[18:19], vcc
                                        ; implicit-def: $vgpr38
	s_and_saveexec_b64 s[92:93], s[18:19]
	s_xor_b64 s[18:19], exec, s[92:93]
; %bb.10630:                            ;   in Loop: Header=BB6_10271 Depth=2
	v_min_i32_e32 v1, 15, v1
	v_lshl_or_b32 v0, v1, 3, v0
	v_and_or_b32 v38, v16, 7, v0
                                        ; implicit-def: $vgpr0
; %bb.10631:                            ;   in Loop: Header=BB6_10271 Depth=2
	s_andn2_saveexec_b64 s[18:19], s[18:19]
; %bb.10632:                            ;   in Loop: Header=BB6_10271 Depth=2
	v_mov_b32_e32 v38, v0
; %bb.10633:                            ;   in Loop: Header=BB6_10271 Depth=2
	s_or_b64 exec, exec, s[18:19]
.LBB6_10634:                            ;   in Loop: Header=BB6_10271 Depth=2
	s_or_b64 exec, exec, s[90:91]
                                        ; implicit-def: $vgpr0
.LBB6_10635:                            ;   in Loop: Header=BB6_10271 Depth=2
	s_andn2_saveexec_b64 s[18:19], s[88:89]
; %bb.10636:                            ;   in Loop: Header=BB6_10271 Depth=2
	v_or_b32_e32 v38, 0x7e, v0
; %bb.10637:                            ;   in Loop: Header=BB6_10271 Depth=2
	s_or_b64 exec, exec, s[18:19]
                                        ; implicit-def: $vgpr1
.LBB6_10638:                            ;   in Loop: Header=BB6_10271 Depth=2
	s_andn2_saveexec_b64 s[18:19], s[78:79]
; %bb.10639:                            ;   in Loop: Header=BB6_10271 Depth=2
	v_or_b32_sdwa v38, v1, s39 dst_sel:DWORD dst_unused:UNUSED_PAD src0_sel:BYTE_3 src1_sel:DWORD
; %bb.10640:                            ;   in Loop: Header=BB6_10271 Depth=2
	s_or_b64 exec, exec, s[18:19]
	flat_load_ubyte v0, v[10:11] offset:896 glc slc
	v_mov_b32_e32 v1, 0
	s_waitcnt vmcnt(0) lgkmcnt(0)
	v_cmp_ne_u16_e32 vcc, 0, v0
	s_and_saveexec_b64 s[18:19], vcc
	s_cbranch_execz .LBB6_10646
; %bb.10641:                            ;   in Loop: Header=BB6_10271 Depth=2
	v_cmp_ne_u16_e32 vcc, s50, v0
	v_bfrev_b32_e32 v1, 1
	s_and_saveexec_b64 s[78:79], vcc
	s_cbranch_execz .LBB6_10645
; %bb.10642:                            ;   in Loop: Header=BB6_10271 Depth=2
	v_and_b32_e32 v16, 0xffff, v0
	v_and_b32_e32 v2, 0x7f, v16
	v_cmp_ne_u32_e32 vcc, s39, v2
	v_mov_b32_e32 v1, 0x7f800001
	s_and_saveexec_b64 s[88:89], vcc
	s_cbranch_execz .LBB6_10644
; %bb.10643:                            ;   in Loop: Header=BB6_10271 Depth=2
	v_and_b32_e32 v3, 7, v16
	v_ffbh_u32_e32 v1, v3
	v_min_u32_e32 v5, 32, v1
	v_subrev_u32_e32 v1, 28, v5
	v_lshrrev_b32_e32 v4, 3, v2
	v_cmp_gt_u32_e32 vcc, 8, v2
	v_lshlrev_b64 v[1:2], v1, v[16:17]
	v_sub_u32_e32 v2, 29, v5
	v_and_b32_e32 v1, 7, v1
	v_cndmask_b32_e32 v2, v4, v2, vcc
	v_cndmask_b32_e32 v1, v3, v1, vcc
	v_lshlrev_b32_e32 v0, 24, v0
	v_lshlrev_b32_e32 v1, 20, v1
	v_and_b32_e32 v0, 0x80000000, v0
	v_lshl_add_u32 v2, v2, 23, v62
	v_or3_b32 v1, v0, v2, v1
.LBB6_10644:                            ;   in Loop: Header=BB6_10271 Depth=2
	s_or_b64 exec, exec, s[88:89]
.LBB6_10645:                            ;   in Loop: Header=BB6_10271 Depth=2
	s_or_b64 exec, exec, s[78:79]
.LBB6_10646:                            ;   in Loop: Header=BB6_10271 Depth=2
	s_or_b64 exec, exec, s[18:19]
	v_mul_f32_e32 v1, s94, v1
	v_and_b32_e32 v50, 0x7f800000, v1
	v_cmp_ne_u64_e32 vcc, s[46:47], v[50:51]
                                        ; implicit-def: $vgpr48
	s_and_saveexec_b64 s[18:19], vcc
	s_xor_b64 s[78:79], exec, s[18:19]
	s_cbranch_execz .LBB6_10664
; %bb.10647:                            ;   in Loop: Header=BB6_10271 Depth=2
	v_and_b32_e32 v50, 0x7fffffff, v1
	v_cmp_gt_u64_e32 vcc, s[56:57], v[50:51]
	v_and_b32_sdwa v0, v1, s50 dst_sel:DWORD dst_unused:UNUSED_PAD src0_sel:BYTE_3 src1_sel:DWORD
                                        ; implicit-def: $vgpr48
	s_and_saveexec_b64 s[18:19], vcc
	s_xor_b64 s[88:89], exec, s[18:19]
	s_cbranch_execz .LBB6_10661
; %bb.10648:                            ;   in Loop: Header=BB6_10271 Depth=2
	v_cmp_ne_u32_e32 vcc, 0, v1
	v_mov_b32_e32 v48, 0
	s_and_saveexec_b64 s[90:91], vcc
	s_cbranch_execz .LBB6_10660
; %bb.10649:                            ;   in Loop: Header=BB6_10271 Depth=2
	v_and_b32_e32 v3, 0x7fffff, v1
	v_bfe_u32 v1, v1, 23, 8
	v_cmp_gt_u32_e64 s[18:19], s51, v1
	v_sub_u32_e32 v2, 0x79, v1
	v_cmp_eq_u32_e32 vcc, 0, v1
	v_cndmask_b32_e64 v2, 0, v2, s[18:19]
	v_mov_b32_e32 v5, 0x78
	v_or_b32_e32 v4, 0x800000, v3
	v_cndmask_b32_e32 v2, v2, v5, vcc
	v_cndmask_b32_e32 v50, v4, v3, vcc
	v_add_u32_e32 v3, 20, v2
	v_lshlrev_b64 v[3:4], v3, -1
	v_add_u32_e32 v5, 19, v2
	v_lshlrev_b64 v[5:6], v5, 1
	v_lshrrev_b64 v[16:17], v2, v[50:51]
	v_bfi_b32 v4, v4, 0, 0
	v_bfi_b32 v3, v3, 0, v50
	v_cmp_eq_u64_e64 s[18:19], v[3:4], v[5:6]
	v_mov_b32_e32 v18, v17
	v_mov_b32_e32 v17, v16
	s_and_saveexec_b64 s[92:93], s[18:19]
; %bb.10650:                            ;   in Loop: Header=BB6_10271 Depth=2
	v_bfe_u32 v3, v16, 20, 1
	v_add_co_u32_e64 v3, s[18:19], v16, v3
	v_add_co_u32_e64 v17, s[18:19], -1, v3
; %bb.10651:                            ;   in Loop: Header=BB6_10271 Depth=2
	s_or_b64 exec, exec, s[92:93]
	v_add_u32_e32 v1, 0xffffff81, v1
	v_mov_b32_e32 v3, 0xffffff82
	v_cndmask_b32_e32 v1, v1, v3, vcc
	v_lshrrev_b32_e32 v3, 23, v16
	v_add3_u32 v3, v2, v1, v3
	v_add_u32_e32 v2, 6, v3
	v_and_b32_e32 v1, 0xfffff, v17
	v_add_u32_e32 v50, v1, v16
	v_cmp_ne_u32_e32 vcc, 0, v2
                                        ; implicit-def: $vgpr16_vgpr17
                                        ; implicit-def: $vgpr1
	s_and_saveexec_b64 s[18:19], vcc
	s_xor_b64 s[18:19], exec, s[18:19]
; %bb.10652:                            ;   in Loop: Header=BB6_10271 Depth=2
	v_cmp_lt_u64_e32 vcc, s[58:59], v[50:51]
	v_add_u32_e32 v1, 7, v3
	v_cndmask_b32_e32 v1, v2, v1, vcc
	v_cndmask_b32_e64 v2, 0, 1, vcc
	v_lshrrev_b64 v[16:17], v2, v[50:51]
; %bb.10653:                            ;   in Loop: Header=BB6_10271 Depth=2
	s_andn2_saveexec_b64 s[18:19], s[18:19]
; %bb.10654:                            ;   in Loop: Header=BB6_10271 Depth=2
	v_mov_b32_e32 v16, v50
	v_bfe_u32 v1, v50, 23, 1
	v_mov_b32_e32 v17, v51
; %bb.10655:                            ;   in Loop: Header=BB6_10271 Depth=2
	s_or_b64 exec, exec, s[18:19]
	v_lshrrev_b64 v[2:3], 20, v[16:17]
	v_cmp_gt_i32_e32 vcc, 16, v1
	v_cndmask_b32_e32 v17, 0, v3, vcc
	v_cndmask_b32_e32 v16, 7, v2, vcc
	v_cmp_ne_u64_e32 vcc, 0, v[16:17]
	v_cmp_ne_u32_e64 s[18:19], 0, v1
	s_or_b64 s[18:19], s[18:19], vcc
                                        ; implicit-def: $vgpr48
	s_and_saveexec_b64 s[92:93], s[18:19]
	s_xor_b64 s[18:19], exec, s[92:93]
; %bb.10656:                            ;   in Loop: Header=BB6_10271 Depth=2
	v_min_i32_e32 v1, 15, v1
	v_lshl_or_b32 v0, v1, 3, v0
	v_and_or_b32 v48, v16, 7, v0
                                        ; implicit-def: $vgpr0
; %bb.10657:                            ;   in Loop: Header=BB6_10271 Depth=2
	s_andn2_saveexec_b64 s[18:19], s[18:19]
; %bb.10658:                            ;   in Loop: Header=BB6_10271 Depth=2
	v_mov_b32_e32 v48, v0
; %bb.10659:                            ;   in Loop: Header=BB6_10271 Depth=2
	s_or_b64 exec, exec, s[18:19]
.LBB6_10660:                            ;   in Loop: Header=BB6_10271 Depth=2
	s_or_b64 exec, exec, s[90:91]
                                        ; implicit-def: $vgpr0
.LBB6_10661:                            ;   in Loop: Header=BB6_10271 Depth=2
	s_andn2_saveexec_b64 s[18:19], s[88:89]
; %bb.10662:                            ;   in Loop: Header=BB6_10271 Depth=2
	v_or_b32_e32 v48, 0x7e, v0
; %bb.10663:                            ;   in Loop: Header=BB6_10271 Depth=2
	s_or_b64 exec, exec, s[18:19]
                                        ; implicit-def: $vgpr1
.LBB6_10664:                            ;   in Loop: Header=BB6_10271 Depth=2
	s_andn2_saveexec_b64 s[18:19], s[78:79]
; %bb.10665:                            ;   in Loop: Header=BB6_10271 Depth=2
	v_or_b32_sdwa v48, v1, s39 dst_sel:DWORD dst_unused:UNUSED_PAD src0_sel:BYTE_3 src1_sel:DWORD
; %bb.10666:                            ;   in Loop: Header=BB6_10271 Depth=2
	s_or_b64 exec, exec, s[18:19]
	flat_load_ubyte v0, v[10:11] offset:960 glc slc
	v_mov_b32_e32 v1, 0
	s_waitcnt vmcnt(0) lgkmcnt(0)
	v_cmp_ne_u16_e32 vcc, 0, v0
	s_and_saveexec_b64 s[18:19], vcc
	s_cbranch_execz .LBB6_10672
; %bb.10667:                            ;   in Loop: Header=BB6_10271 Depth=2
	v_cmp_ne_u16_e32 vcc, s50, v0
	v_bfrev_b32_e32 v1, 1
	s_and_saveexec_b64 s[78:79], vcc
	s_cbranch_execz .LBB6_10671
; %bb.10668:                            ;   in Loop: Header=BB6_10271 Depth=2
	v_and_b32_e32 v16, 0xffff, v0
	v_and_b32_e32 v2, 0x7f, v16
	v_cmp_ne_u32_e32 vcc, s39, v2
	v_mov_b32_e32 v1, 0x7f800001
	s_and_saveexec_b64 s[88:89], vcc
	s_cbranch_execz .LBB6_10670
; %bb.10669:                            ;   in Loop: Header=BB6_10271 Depth=2
	v_and_b32_e32 v3, 7, v16
	v_ffbh_u32_e32 v1, v3
	v_min_u32_e32 v5, 32, v1
	v_subrev_u32_e32 v1, 28, v5
	v_lshrrev_b32_e32 v4, 3, v2
	v_cmp_gt_u32_e32 vcc, 8, v2
	v_lshlrev_b64 v[1:2], v1, v[16:17]
	v_sub_u32_e32 v2, 29, v5
	v_and_b32_e32 v1, 7, v1
	v_cndmask_b32_e32 v2, v4, v2, vcc
	v_cndmask_b32_e32 v1, v3, v1, vcc
	v_lshlrev_b32_e32 v0, 24, v0
	v_lshlrev_b32_e32 v1, 20, v1
	v_and_b32_e32 v0, 0x80000000, v0
	v_lshl_add_u32 v2, v2, 23, v62
	v_or3_b32 v1, v0, v2, v1
.LBB6_10670:                            ;   in Loop: Header=BB6_10271 Depth=2
	s_or_b64 exec, exec, s[88:89]
.LBB6_10671:                            ;   in Loop: Header=BB6_10271 Depth=2
	s_or_b64 exec, exec, s[78:79]
.LBB6_10672:                            ;   in Loop: Header=BB6_10271 Depth=2
	s_or_b64 exec, exec, s[18:19]
	v_mul_f32_e32 v1, s94, v1
	v_and_b32_e32 v50, 0x7f800000, v1
	v_cmp_ne_u64_e32 vcc, s[46:47], v[50:51]
                                        ; implicit-def: $vgpr37
	s_and_saveexec_b64 s[18:19], vcc
	s_xor_b64 s[78:79], exec, s[18:19]
	s_cbranch_execz .LBB6_10690
; %bb.10673:                            ;   in Loop: Header=BB6_10271 Depth=2
	v_and_b32_e32 v50, 0x7fffffff, v1
	v_cmp_gt_u64_e32 vcc, s[56:57], v[50:51]
	v_and_b32_sdwa v0, v1, s50 dst_sel:DWORD dst_unused:UNUSED_PAD src0_sel:BYTE_3 src1_sel:DWORD
                                        ; implicit-def: $vgpr37
	s_and_saveexec_b64 s[18:19], vcc
	s_xor_b64 s[88:89], exec, s[18:19]
	s_cbranch_execz .LBB6_10687
; %bb.10674:                            ;   in Loop: Header=BB6_10271 Depth=2
	v_cmp_ne_u32_e32 vcc, 0, v1
	v_mov_b32_e32 v37, 0
	s_and_saveexec_b64 s[90:91], vcc
	s_cbranch_execz .LBB6_10686
; %bb.10675:                            ;   in Loop: Header=BB6_10271 Depth=2
	v_and_b32_e32 v3, 0x7fffff, v1
	v_bfe_u32 v1, v1, 23, 8
	v_cmp_gt_u32_e64 s[18:19], s51, v1
	v_sub_u32_e32 v2, 0x79, v1
	v_cmp_eq_u32_e32 vcc, 0, v1
	v_cndmask_b32_e64 v2, 0, v2, s[18:19]
	v_mov_b32_e32 v5, 0x78
	v_or_b32_e32 v4, 0x800000, v3
	v_cndmask_b32_e32 v2, v2, v5, vcc
	v_cndmask_b32_e32 v50, v4, v3, vcc
	v_add_u32_e32 v3, 20, v2
	v_lshlrev_b64 v[3:4], v3, -1
	v_add_u32_e32 v5, 19, v2
	v_lshlrev_b64 v[5:6], v5, 1
	v_lshrrev_b64 v[16:17], v2, v[50:51]
	v_bfi_b32 v4, v4, 0, 0
	v_bfi_b32 v3, v3, 0, v50
	v_cmp_eq_u64_e64 s[18:19], v[3:4], v[5:6]
	v_mov_b32_e32 v18, v17
	v_mov_b32_e32 v17, v16
	s_and_saveexec_b64 s[92:93], s[18:19]
; %bb.10676:                            ;   in Loop: Header=BB6_10271 Depth=2
	v_bfe_u32 v3, v16, 20, 1
	v_add_co_u32_e64 v3, s[18:19], v16, v3
	v_add_co_u32_e64 v17, s[18:19], -1, v3
; %bb.10677:                            ;   in Loop: Header=BB6_10271 Depth=2
	s_or_b64 exec, exec, s[92:93]
	v_add_u32_e32 v1, 0xffffff81, v1
	v_mov_b32_e32 v3, 0xffffff82
	v_cndmask_b32_e32 v1, v1, v3, vcc
	v_lshrrev_b32_e32 v3, 23, v16
	v_add3_u32 v3, v2, v1, v3
	v_add_u32_e32 v2, 6, v3
	v_and_b32_e32 v1, 0xfffff, v17
	v_add_u32_e32 v50, v1, v16
	v_cmp_ne_u32_e32 vcc, 0, v2
                                        ; implicit-def: $vgpr16_vgpr17
                                        ; implicit-def: $vgpr1
	s_and_saveexec_b64 s[18:19], vcc
	s_xor_b64 s[18:19], exec, s[18:19]
; %bb.10678:                            ;   in Loop: Header=BB6_10271 Depth=2
	v_cmp_lt_u64_e32 vcc, s[58:59], v[50:51]
	v_add_u32_e32 v1, 7, v3
	v_cndmask_b32_e32 v1, v2, v1, vcc
	v_cndmask_b32_e64 v2, 0, 1, vcc
	v_lshrrev_b64 v[16:17], v2, v[50:51]
; %bb.10679:                            ;   in Loop: Header=BB6_10271 Depth=2
	s_andn2_saveexec_b64 s[18:19], s[18:19]
; %bb.10680:                            ;   in Loop: Header=BB6_10271 Depth=2
	v_mov_b32_e32 v16, v50
	v_bfe_u32 v1, v50, 23, 1
	v_mov_b32_e32 v17, v51
; %bb.10681:                            ;   in Loop: Header=BB6_10271 Depth=2
	s_or_b64 exec, exec, s[18:19]
	v_lshrrev_b64 v[2:3], 20, v[16:17]
	v_cmp_gt_i32_e32 vcc, 16, v1
	v_cndmask_b32_e32 v17, 0, v3, vcc
	v_cndmask_b32_e32 v16, 7, v2, vcc
	v_cmp_ne_u64_e32 vcc, 0, v[16:17]
	v_cmp_ne_u32_e64 s[18:19], 0, v1
	s_or_b64 s[18:19], s[18:19], vcc
                                        ; implicit-def: $vgpr37
	s_and_saveexec_b64 s[92:93], s[18:19]
	s_xor_b64 s[18:19], exec, s[92:93]
; %bb.10682:                            ;   in Loop: Header=BB6_10271 Depth=2
	v_min_i32_e32 v1, 15, v1
	v_lshl_or_b32 v0, v1, 3, v0
	v_and_or_b32 v37, v16, 7, v0
                                        ; implicit-def: $vgpr0
; %bb.10683:                            ;   in Loop: Header=BB6_10271 Depth=2
	s_andn2_saveexec_b64 s[18:19], s[18:19]
; %bb.10684:                            ;   in Loop: Header=BB6_10271 Depth=2
	v_mov_b32_e32 v37, v0
; %bb.10685:                            ;   in Loop: Header=BB6_10271 Depth=2
	s_or_b64 exec, exec, s[18:19]
.LBB6_10686:                            ;   in Loop: Header=BB6_10271 Depth=2
	s_or_b64 exec, exec, s[90:91]
                                        ; implicit-def: $vgpr0
.LBB6_10687:                            ;   in Loop: Header=BB6_10271 Depth=2
	s_andn2_saveexec_b64 s[18:19], s[88:89]
; %bb.10688:                            ;   in Loop: Header=BB6_10271 Depth=2
	v_or_b32_e32 v37, 0x7e, v0
; %bb.10689:                            ;   in Loop: Header=BB6_10271 Depth=2
	s_or_b64 exec, exec, s[18:19]
                                        ; implicit-def: $vgpr1
.LBB6_10690:                            ;   in Loop: Header=BB6_10271 Depth=2
	s_andn2_saveexec_b64 s[18:19], s[78:79]
; %bb.10691:                            ;   in Loop: Header=BB6_10271 Depth=2
	v_or_b32_sdwa v37, v1, s39 dst_sel:DWORD dst_unused:UNUSED_PAD src0_sel:BYTE_3 src1_sel:DWORD
; %bb.10692:                            ;   in Loop: Header=BB6_10271 Depth=2
	s_or_b64 exec, exec, s[18:19]
	flat_load_ubyte v0, v[10:11] offset:1024 glc slc
	v_mov_b32_e32 v1, 0
	s_waitcnt vmcnt(0) lgkmcnt(0)
	v_cmp_ne_u16_e32 vcc, 0, v0
	s_and_saveexec_b64 s[18:19], vcc
	s_cbranch_execz .LBB6_10698
; %bb.10693:                            ;   in Loop: Header=BB6_10271 Depth=2
	v_cmp_ne_u16_e32 vcc, s50, v0
	v_bfrev_b32_e32 v1, 1
	s_and_saveexec_b64 s[78:79], vcc
	s_cbranch_execz .LBB6_10697
; %bb.10694:                            ;   in Loop: Header=BB6_10271 Depth=2
	v_and_b32_e32 v16, 0xffff, v0
	v_and_b32_e32 v2, 0x7f, v16
	v_cmp_ne_u32_e32 vcc, s39, v2
	v_mov_b32_e32 v1, 0x7f800001
	s_and_saveexec_b64 s[88:89], vcc
	s_cbranch_execz .LBB6_10696
; %bb.10695:                            ;   in Loop: Header=BB6_10271 Depth=2
	v_and_b32_e32 v3, 7, v16
	v_ffbh_u32_e32 v1, v3
	v_min_u32_e32 v5, 32, v1
	v_subrev_u32_e32 v1, 28, v5
	v_lshrrev_b32_e32 v4, 3, v2
	v_cmp_gt_u32_e32 vcc, 8, v2
	v_lshlrev_b64 v[1:2], v1, v[16:17]
	v_sub_u32_e32 v2, 29, v5
	v_and_b32_e32 v1, 7, v1
	v_cndmask_b32_e32 v2, v4, v2, vcc
	v_cndmask_b32_e32 v1, v3, v1, vcc
	v_lshlrev_b32_e32 v0, 24, v0
	v_lshlrev_b32_e32 v1, 20, v1
	v_and_b32_e32 v0, 0x80000000, v0
	v_lshl_add_u32 v2, v2, 23, v62
	v_or3_b32 v1, v0, v2, v1
.LBB6_10696:                            ;   in Loop: Header=BB6_10271 Depth=2
	s_or_b64 exec, exec, s[88:89]
.LBB6_10697:                            ;   in Loop: Header=BB6_10271 Depth=2
	s_or_b64 exec, exec, s[78:79]
.LBB6_10698:                            ;   in Loop: Header=BB6_10271 Depth=2
	s_or_b64 exec, exec, s[18:19]
	v_mul_f32_e32 v1, s94, v1
	v_and_b32_e32 v50, 0x7f800000, v1
	v_cmp_ne_u64_e32 vcc, s[46:47], v[50:51]
                                        ; implicit-def: $vgpr36
	s_and_saveexec_b64 s[18:19], vcc
	s_xor_b64 s[78:79], exec, s[18:19]
	s_cbranch_execz .LBB6_10716
; %bb.10699:                            ;   in Loop: Header=BB6_10271 Depth=2
	v_and_b32_e32 v50, 0x7fffffff, v1
	v_cmp_gt_u64_e32 vcc, s[56:57], v[50:51]
	v_and_b32_sdwa v0, v1, s50 dst_sel:DWORD dst_unused:UNUSED_PAD src0_sel:BYTE_3 src1_sel:DWORD
                                        ; implicit-def: $vgpr36
	s_and_saveexec_b64 s[18:19], vcc
	s_xor_b64 s[88:89], exec, s[18:19]
	s_cbranch_execz .LBB6_10713
; %bb.10700:                            ;   in Loop: Header=BB6_10271 Depth=2
	v_cmp_ne_u32_e32 vcc, 0, v1
	v_mov_b32_e32 v36, 0
	s_and_saveexec_b64 s[90:91], vcc
	s_cbranch_execz .LBB6_10712
; %bb.10701:                            ;   in Loop: Header=BB6_10271 Depth=2
	v_and_b32_e32 v3, 0x7fffff, v1
	v_bfe_u32 v1, v1, 23, 8
	v_cmp_gt_u32_e64 s[18:19], s51, v1
	v_sub_u32_e32 v2, 0x79, v1
	v_cmp_eq_u32_e32 vcc, 0, v1
	v_cndmask_b32_e64 v2, 0, v2, s[18:19]
	v_mov_b32_e32 v5, 0x78
	v_or_b32_e32 v4, 0x800000, v3
	v_cndmask_b32_e32 v2, v2, v5, vcc
	v_cndmask_b32_e32 v50, v4, v3, vcc
	v_add_u32_e32 v3, 20, v2
	v_lshlrev_b64 v[3:4], v3, -1
	v_add_u32_e32 v5, 19, v2
	v_lshlrev_b64 v[5:6], v5, 1
	v_lshrrev_b64 v[16:17], v2, v[50:51]
	v_bfi_b32 v4, v4, 0, 0
	v_bfi_b32 v3, v3, 0, v50
	v_cmp_eq_u64_e64 s[18:19], v[3:4], v[5:6]
	v_mov_b32_e32 v18, v17
	v_mov_b32_e32 v17, v16
	s_and_saveexec_b64 s[92:93], s[18:19]
; %bb.10702:                            ;   in Loop: Header=BB6_10271 Depth=2
	v_bfe_u32 v3, v16, 20, 1
	v_add_co_u32_e64 v3, s[18:19], v16, v3
	v_add_co_u32_e64 v17, s[18:19], -1, v3
; %bb.10703:                            ;   in Loop: Header=BB6_10271 Depth=2
	s_or_b64 exec, exec, s[92:93]
	v_add_u32_e32 v1, 0xffffff81, v1
	v_mov_b32_e32 v3, 0xffffff82
	v_cndmask_b32_e32 v1, v1, v3, vcc
	v_lshrrev_b32_e32 v3, 23, v16
	v_add3_u32 v3, v2, v1, v3
	v_add_u32_e32 v2, 6, v3
	v_and_b32_e32 v1, 0xfffff, v17
	v_add_u32_e32 v50, v1, v16
	v_cmp_ne_u32_e32 vcc, 0, v2
                                        ; implicit-def: $vgpr16_vgpr17
                                        ; implicit-def: $vgpr1
	s_and_saveexec_b64 s[18:19], vcc
	s_xor_b64 s[18:19], exec, s[18:19]
; %bb.10704:                            ;   in Loop: Header=BB6_10271 Depth=2
	v_cmp_lt_u64_e32 vcc, s[58:59], v[50:51]
	v_add_u32_e32 v1, 7, v3
	v_cndmask_b32_e32 v1, v2, v1, vcc
	v_cndmask_b32_e64 v2, 0, 1, vcc
	v_lshrrev_b64 v[16:17], v2, v[50:51]
; %bb.10705:                            ;   in Loop: Header=BB6_10271 Depth=2
	s_andn2_saveexec_b64 s[18:19], s[18:19]
; %bb.10706:                            ;   in Loop: Header=BB6_10271 Depth=2
	v_mov_b32_e32 v16, v50
	v_bfe_u32 v1, v50, 23, 1
	v_mov_b32_e32 v17, v51
; %bb.10707:                            ;   in Loop: Header=BB6_10271 Depth=2
	s_or_b64 exec, exec, s[18:19]
	v_lshrrev_b64 v[2:3], 20, v[16:17]
	v_cmp_gt_i32_e32 vcc, 16, v1
	v_cndmask_b32_e32 v17, 0, v3, vcc
	v_cndmask_b32_e32 v16, 7, v2, vcc
	v_cmp_ne_u64_e32 vcc, 0, v[16:17]
	v_cmp_ne_u32_e64 s[18:19], 0, v1
	s_or_b64 s[18:19], s[18:19], vcc
                                        ; implicit-def: $vgpr36
	s_and_saveexec_b64 s[92:93], s[18:19]
	s_xor_b64 s[18:19], exec, s[92:93]
; %bb.10708:                            ;   in Loop: Header=BB6_10271 Depth=2
	v_min_i32_e32 v1, 15, v1
	v_lshl_or_b32 v0, v1, 3, v0
	v_and_or_b32 v36, v16, 7, v0
                                        ; implicit-def: $vgpr0
; %bb.10709:                            ;   in Loop: Header=BB6_10271 Depth=2
	s_andn2_saveexec_b64 s[18:19], s[18:19]
; %bb.10710:                            ;   in Loop: Header=BB6_10271 Depth=2
	v_mov_b32_e32 v36, v0
; %bb.10711:                            ;   in Loop: Header=BB6_10271 Depth=2
	s_or_b64 exec, exec, s[18:19]
.LBB6_10712:                            ;   in Loop: Header=BB6_10271 Depth=2
	s_or_b64 exec, exec, s[90:91]
                                        ; implicit-def: $vgpr0
.LBB6_10713:                            ;   in Loop: Header=BB6_10271 Depth=2
	s_andn2_saveexec_b64 s[18:19], s[88:89]
; %bb.10714:                            ;   in Loop: Header=BB6_10271 Depth=2
	v_or_b32_e32 v36, 0x7e, v0
; %bb.10715:                            ;   in Loop: Header=BB6_10271 Depth=2
	s_or_b64 exec, exec, s[18:19]
                                        ; implicit-def: $vgpr1
.LBB6_10716:                            ;   in Loop: Header=BB6_10271 Depth=2
	s_andn2_saveexec_b64 s[18:19], s[78:79]
; %bb.10717:                            ;   in Loop: Header=BB6_10271 Depth=2
	v_or_b32_sdwa v36, v1, s39 dst_sel:DWORD dst_unused:UNUSED_PAD src0_sel:BYTE_3 src1_sel:DWORD
; %bb.10718:                            ;   in Loop: Header=BB6_10271 Depth=2
	s_or_b64 exec, exec, s[18:19]
	flat_load_ubyte v0, v[10:11] offset:1088 glc slc
	v_mov_b32_e32 v1, 0
	s_waitcnt vmcnt(0) lgkmcnt(0)
	v_cmp_ne_u16_e32 vcc, 0, v0
	s_and_saveexec_b64 s[18:19], vcc
	s_cbranch_execz .LBB6_10724
; %bb.10719:                            ;   in Loop: Header=BB6_10271 Depth=2
	v_cmp_ne_u16_e32 vcc, s50, v0
	v_bfrev_b32_e32 v1, 1
	s_and_saveexec_b64 s[78:79], vcc
	s_cbranch_execz .LBB6_10723
; %bb.10720:                            ;   in Loop: Header=BB6_10271 Depth=2
	v_and_b32_e32 v16, 0xffff, v0
	v_and_b32_e32 v2, 0x7f, v16
	v_cmp_ne_u32_e32 vcc, s39, v2
	v_mov_b32_e32 v1, 0x7f800001
	s_and_saveexec_b64 s[88:89], vcc
	s_cbranch_execz .LBB6_10722
; %bb.10721:                            ;   in Loop: Header=BB6_10271 Depth=2
	v_and_b32_e32 v3, 7, v16
	v_ffbh_u32_e32 v1, v3
	v_min_u32_e32 v5, 32, v1
	v_subrev_u32_e32 v1, 28, v5
	v_lshrrev_b32_e32 v4, 3, v2
	v_cmp_gt_u32_e32 vcc, 8, v2
	v_lshlrev_b64 v[1:2], v1, v[16:17]
	v_sub_u32_e32 v2, 29, v5
	v_and_b32_e32 v1, 7, v1
	v_cndmask_b32_e32 v2, v4, v2, vcc
	v_cndmask_b32_e32 v1, v3, v1, vcc
	v_lshlrev_b32_e32 v0, 24, v0
	v_lshlrev_b32_e32 v1, 20, v1
	v_and_b32_e32 v0, 0x80000000, v0
	v_lshl_add_u32 v2, v2, 23, v62
	v_or3_b32 v1, v0, v2, v1
.LBB6_10722:                            ;   in Loop: Header=BB6_10271 Depth=2
	s_or_b64 exec, exec, s[88:89]
.LBB6_10723:                            ;   in Loop: Header=BB6_10271 Depth=2
	s_or_b64 exec, exec, s[78:79]
.LBB6_10724:                            ;   in Loop: Header=BB6_10271 Depth=2
	s_or_b64 exec, exec, s[18:19]
	v_mul_f32_e32 v1, s94, v1
	v_and_b32_e32 v50, 0x7f800000, v1
	v_cmp_ne_u64_e32 vcc, s[46:47], v[50:51]
                                        ; implicit-def: $vgpr0
                                        ; kill: killed $vgpr0
	s_and_saveexec_b64 s[18:19], vcc
	s_xor_b64 s[78:79], exec, s[18:19]
	s_cbranch_execz .LBB6_10742
; %bb.10725:                            ;   in Loop: Header=BB6_10271 Depth=2
	v_and_b32_e32 v50, 0x7fffffff, v1
	v_cmp_gt_u64_e32 vcc, s[56:57], v[50:51]
	v_and_b32_sdwa v0, v1, s50 dst_sel:DWORD dst_unused:UNUSED_PAD src0_sel:BYTE_3 src1_sel:DWORD
                                        ; implicit-def: $vgpr2
                                        ; kill: killed $vgpr2
	s_and_saveexec_b64 s[18:19], vcc
	s_xor_b64 s[88:89], exec, s[18:19]
	s_cbranch_execz .LBB6_10739
; %bb.10726:                            ;   in Loop: Header=BB6_10271 Depth=2
	v_cmp_ne_u32_e32 vcc, 0, v1
	v_mov_b32_e32 v2, 0
	buffer_store_dword v2, off, s[0:3], s33 offset:156 ; 4-byte Folded Spill
	s_and_saveexec_b64 s[90:91], vcc
	s_cbranch_execz .LBB6_10738
; %bb.10727:                            ;   in Loop: Header=BB6_10271 Depth=2
	v_and_b32_e32 v3, 0x7fffff, v1
	v_bfe_u32 v1, v1, 23, 8
	v_cmp_gt_u32_e64 s[18:19], s51, v1
	v_sub_u32_e32 v2, 0x79, v1
	v_cmp_eq_u32_e32 vcc, 0, v1
	v_cndmask_b32_e64 v2, 0, v2, s[18:19]
	v_mov_b32_e32 v5, 0x78
	v_or_b32_e32 v4, 0x800000, v3
	v_cndmask_b32_e32 v2, v2, v5, vcc
	v_cndmask_b32_e32 v50, v4, v3, vcc
	v_add_u32_e32 v3, 20, v2
	v_lshlrev_b64 v[3:4], v3, -1
	v_add_u32_e32 v5, 19, v2
	v_lshlrev_b64 v[5:6], v5, 1
	v_lshrrev_b64 v[16:17], v2, v[50:51]
	v_bfi_b32 v4, v4, 0, 0
	v_bfi_b32 v3, v3, 0, v50
	v_cmp_eq_u64_e64 s[18:19], v[3:4], v[5:6]
	v_mov_b32_e32 v18, v17
	v_mov_b32_e32 v17, v16
	s_and_saveexec_b64 s[92:93], s[18:19]
; %bb.10728:                            ;   in Loop: Header=BB6_10271 Depth=2
	v_bfe_u32 v3, v16, 20, 1
	v_add_co_u32_e64 v3, s[18:19], v16, v3
	v_add_co_u32_e64 v17, s[18:19], -1, v3
; %bb.10729:                            ;   in Loop: Header=BB6_10271 Depth=2
	s_or_b64 exec, exec, s[92:93]
	v_add_u32_e32 v1, 0xffffff81, v1
	v_mov_b32_e32 v3, 0xffffff82
	v_cndmask_b32_e32 v1, v1, v3, vcc
	v_lshrrev_b32_e32 v3, 23, v16
	v_add3_u32 v3, v2, v1, v3
	v_add_u32_e32 v2, 6, v3
	v_and_b32_e32 v1, 0xfffff, v17
	v_add_u32_e32 v50, v1, v16
	v_cmp_ne_u32_e32 vcc, 0, v2
                                        ; implicit-def: $vgpr16_vgpr17
                                        ; implicit-def: $vgpr1
	s_and_saveexec_b64 s[18:19], vcc
	s_xor_b64 s[18:19], exec, s[18:19]
; %bb.10730:                            ;   in Loop: Header=BB6_10271 Depth=2
	v_cmp_lt_u64_e32 vcc, s[58:59], v[50:51]
	v_add_u32_e32 v1, 7, v3
	v_cndmask_b32_e32 v1, v2, v1, vcc
	v_cndmask_b32_e64 v2, 0, 1, vcc
	v_lshrrev_b64 v[16:17], v2, v[50:51]
; %bb.10731:                            ;   in Loop: Header=BB6_10271 Depth=2
	s_andn2_saveexec_b64 s[18:19], s[18:19]
; %bb.10732:                            ;   in Loop: Header=BB6_10271 Depth=2
	v_mov_b32_e32 v16, v50
	v_bfe_u32 v1, v50, 23, 1
	v_mov_b32_e32 v17, v51
; %bb.10733:                            ;   in Loop: Header=BB6_10271 Depth=2
	s_or_b64 exec, exec, s[18:19]
	v_lshrrev_b64 v[2:3], 20, v[16:17]
	v_cmp_gt_i32_e32 vcc, 16, v1
	v_cndmask_b32_e32 v17, 0, v3, vcc
	v_cndmask_b32_e32 v16, 7, v2, vcc
	v_cmp_ne_u64_e32 vcc, 0, v[16:17]
	v_cmp_ne_u32_e64 s[18:19], 0, v1
	s_or_b64 s[18:19], s[18:19], vcc
                                        ; implicit-def: $vgpr2
                                        ; kill: killed $vgpr2
	s_and_saveexec_b64 s[92:93], s[18:19]
	s_xor_b64 s[18:19], exec, s[92:93]
	s_cbranch_execz .LBB6_10735
; %bb.10734:                            ;   in Loop: Header=BB6_10271 Depth=2
	v_min_i32_e32 v1, 15, v1
	v_lshl_or_b32 v0, v1, 3, v0
	v_and_or_b32 v0, v16, 7, v0
	buffer_store_dword v0, off, s[0:3], s33 offset:156 ; 4-byte Folded Spill
                                        ; implicit-def: $vgpr0
.LBB6_10735:                            ;   in Loop: Header=BB6_10271 Depth=2
	s_andn2_saveexec_b64 s[18:19], s[18:19]
	s_cbranch_execz .LBB6_10737
; %bb.10736:                            ;   in Loop: Header=BB6_10271 Depth=2
	buffer_store_dword v0, off, s[0:3], s33 offset:156 ; 4-byte Folded Spill
.LBB6_10737:                            ;   in Loop: Header=BB6_10271 Depth=2
	s_or_b64 exec, exec, s[18:19]
.LBB6_10738:                            ;   in Loop: Header=BB6_10271 Depth=2
	s_or_b64 exec, exec, s[90:91]
                                        ; implicit-def: $vgpr0
.LBB6_10739:                            ;   in Loop: Header=BB6_10271 Depth=2
	s_andn2_saveexec_b64 s[18:19], s[88:89]
	s_cbranch_execz .LBB6_10741
; %bb.10740:                            ;   in Loop: Header=BB6_10271 Depth=2
	v_or_b32_e32 v0, 0x7e, v0
	buffer_store_dword v0, off, s[0:3], s33 offset:156 ; 4-byte Folded Spill
.LBB6_10741:                            ;   in Loop: Header=BB6_10271 Depth=2
	s_or_b64 exec, exec, s[18:19]
                                        ; implicit-def: $vgpr1
.LBB6_10742:                            ;   in Loop: Header=BB6_10271 Depth=2
	s_andn2_saveexec_b64 s[18:19], s[78:79]
	s_cbranch_execz .LBB6_10744
; %bb.10743:                            ;   in Loop: Header=BB6_10271 Depth=2
	v_or_b32_sdwa v0, v1, s39 dst_sel:DWORD dst_unused:UNUSED_PAD src0_sel:BYTE_3 src1_sel:DWORD
	buffer_store_dword v0, off, s[0:3], s33 offset:156 ; 4-byte Folded Spill
.LBB6_10744:                            ;   in Loop: Header=BB6_10271 Depth=2
	s_or_b64 exec, exec, s[18:19]
	flat_load_ubyte v0, v[10:11] offset:1152 glc slc
	v_mov_b32_e32 v1, 0
	s_waitcnt vmcnt(0) lgkmcnt(0)
	v_cmp_ne_u16_e32 vcc, 0, v0
	s_and_saveexec_b64 s[18:19], vcc
	s_cbranch_execz .LBB6_10750
; %bb.10745:                            ;   in Loop: Header=BB6_10271 Depth=2
	v_cmp_ne_u16_e32 vcc, s50, v0
	v_bfrev_b32_e32 v1, 1
	s_and_saveexec_b64 s[78:79], vcc
	s_cbranch_execz .LBB6_10749
; %bb.10746:                            ;   in Loop: Header=BB6_10271 Depth=2
	v_and_b32_e32 v16, 0xffff, v0
	v_and_b32_e32 v2, 0x7f, v16
	v_cmp_ne_u32_e32 vcc, s39, v2
	v_mov_b32_e32 v1, 0x7f800001
	s_and_saveexec_b64 s[88:89], vcc
	s_cbranch_execz .LBB6_10748
; %bb.10747:                            ;   in Loop: Header=BB6_10271 Depth=2
	v_and_b32_e32 v3, 7, v16
	v_ffbh_u32_e32 v1, v3
	v_min_u32_e32 v5, 32, v1
	v_subrev_u32_e32 v1, 28, v5
	v_lshrrev_b32_e32 v4, 3, v2
	v_cmp_gt_u32_e32 vcc, 8, v2
	v_lshlrev_b64 v[1:2], v1, v[16:17]
	v_sub_u32_e32 v2, 29, v5
	v_and_b32_e32 v1, 7, v1
	v_cndmask_b32_e32 v2, v4, v2, vcc
	v_cndmask_b32_e32 v1, v3, v1, vcc
	v_lshlrev_b32_e32 v0, 24, v0
	v_lshlrev_b32_e32 v1, 20, v1
	v_and_b32_e32 v0, 0x80000000, v0
	v_lshl_add_u32 v2, v2, 23, v62
	v_or3_b32 v1, v0, v2, v1
.LBB6_10748:                            ;   in Loop: Header=BB6_10271 Depth=2
	s_or_b64 exec, exec, s[88:89]
.LBB6_10749:                            ;   in Loop: Header=BB6_10271 Depth=2
	s_or_b64 exec, exec, s[78:79]
.LBB6_10750:                            ;   in Loop: Header=BB6_10271 Depth=2
	s_or_b64 exec, exec, s[18:19]
	v_mul_f32_e32 v1, s94, v1
	v_and_b32_e32 v50, 0x7f800000, v1
	v_cmp_ne_u64_e32 vcc, s[46:47], v[50:51]
                                        ; implicit-def: $vgpr0
                                        ; kill: killed $vgpr0
	s_and_saveexec_b64 s[18:19], vcc
	s_xor_b64 s[78:79], exec, s[18:19]
	s_cbranch_execz .LBB6_10768
; %bb.10751:                            ;   in Loop: Header=BB6_10271 Depth=2
	v_and_b32_e32 v50, 0x7fffffff, v1
	v_cmp_gt_u64_e32 vcc, s[56:57], v[50:51]
	v_and_b32_sdwa v0, v1, s50 dst_sel:DWORD dst_unused:UNUSED_PAD src0_sel:BYTE_3 src1_sel:DWORD
                                        ; implicit-def: $vgpr2
                                        ; kill: killed $vgpr2
	s_and_saveexec_b64 s[18:19], vcc
	s_xor_b64 s[88:89], exec, s[18:19]
	s_cbranch_execz .LBB6_10765
; %bb.10752:                            ;   in Loop: Header=BB6_10271 Depth=2
	v_cmp_ne_u32_e32 vcc, 0, v1
	v_mov_b32_e32 v2, 0
	buffer_store_dword v2, off, s[0:3], s33 offset:152 ; 4-byte Folded Spill
	s_and_saveexec_b64 s[90:91], vcc
	s_cbranch_execz .LBB6_10764
; %bb.10753:                            ;   in Loop: Header=BB6_10271 Depth=2
	v_and_b32_e32 v3, 0x7fffff, v1
	v_bfe_u32 v1, v1, 23, 8
	v_cmp_gt_u32_e64 s[18:19], s51, v1
	v_sub_u32_e32 v2, 0x79, v1
	v_cmp_eq_u32_e32 vcc, 0, v1
	v_cndmask_b32_e64 v2, 0, v2, s[18:19]
	v_mov_b32_e32 v5, 0x78
	v_or_b32_e32 v4, 0x800000, v3
	v_cndmask_b32_e32 v2, v2, v5, vcc
	v_cndmask_b32_e32 v50, v4, v3, vcc
	v_add_u32_e32 v3, 20, v2
	v_lshlrev_b64 v[3:4], v3, -1
	v_add_u32_e32 v5, 19, v2
	v_lshlrev_b64 v[5:6], v5, 1
	v_lshrrev_b64 v[16:17], v2, v[50:51]
	v_bfi_b32 v4, v4, 0, 0
	v_bfi_b32 v3, v3, 0, v50
	v_cmp_eq_u64_e64 s[18:19], v[3:4], v[5:6]
	v_mov_b32_e32 v18, v17
	v_mov_b32_e32 v17, v16
	s_and_saveexec_b64 s[92:93], s[18:19]
; %bb.10754:                            ;   in Loop: Header=BB6_10271 Depth=2
	v_bfe_u32 v3, v16, 20, 1
	v_add_co_u32_e64 v3, s[18:19], v16, v3
	v_add_co_u32_e64 v17, s[18:19], -1, v3
; %bb.10755:                            ;   in Loop: Header=BB6_10271 Depth=2
	s_or_b64 exec, exec, s[92:93]
	v_add_u32_e32 v1, 0xffffff81, v1
	v_mov_b32_e32 v3, 0xffffff82
	v_cndmask_b32_e32 v1, v1, v3, vcc
	v_lshrrev_b32_e32 v3, 23, v16
	v_add3_u32 v3, v2, v1, v3
	v_add_u32_e32 v2, 6, v3
	v_and_b32_e32 v1, 0xfffff, v17
	v_add_u32_e32 v50, v1, v16
	v_cmp_ne_u32_e32 vcc, 0, v2
                                        ; implicit-def: $vgpr16_vgpr17
                                        ; implicit-def: $vgpr1
	s_and_saveexec_b64 s[18:19], vcc
	s_xor_b64 s[18:19], exec, s[18:19]
; %bb.10756:                            ;   in Loop: Header=BB6_10271 Depth=2
	v_cmp_lt_u64_e32 vcc, s[58:59], v[50:51]
	v_add_u32_e32 v1, 7, v3
	v_cndmask_b32_e32 v1, v2, v1, vcc
	v_cndmask_b32_e64 v2, 0, 1, vcc
	v_lshrrev_b64 v[16:17], v2, v[50:51]
; %bb.10757:                            ;   in Loop: Header=BB6_10271 Depth=2
	s_andn2_saveexec_b64 s[18:19], s[18:19]
; %bb.10758:                            ;   in Loop: Header=BB6_10271 Depth=2
	v_mov_b32_e32 v16, v50
	v_bfe_u32 v1, v50, 23, 1
	v_mov_b32_e32 v17, v51
; %bb.10759:                            ;   in Loop: Header=BB6_10271 Depth=2
	s_or_b64 exec, exec, s[18:19]
	v_lshrrev_b64 v[2:3], 20, v[16:17]
	v_cmp_gt_i32_e32 vcc, 16, v1
	v_cndmask_b32_e32 v17, 0, v3, vcc
	v_cndmask_b32_e32 v16, 7, v2, vcc
	v_cmp_ne_u64_e32 vcc, 0, v[16:17]
	v_cmp_ne_u32_e64 s[18:19], 0, v1
	s_or_b64 s[18:19], s[18:19], vcc
                                        ; implicit-def: $vgpr2
                                        ; kill: killed $vgpr2
	s_and_saveexec_b64 s[92:93], s[18:19]
	s_xor_b64 s[18:19], exec, s[92:93]
	s_cbranch_execz .LBB6_10761
; %bb.10760:                            ;   in Loop: Header=BB6_10271 Depth=2
	v_min_i32_e32 v1, 15, v1
	v_lshl_or_b32 v0, v1, 3, v0
	v_and_or_b32 v0, v16, 7, v0
	buffer_store_dword v0, off, s[0:3], s33 offset:152 ; 4-byte Folded Spill
                                        ; implicit-def: $vgpr0
.LBB6_10761:                            ;   in Loop: Header=BB6_10271 Depth=2
	s_andn2_saveexec_b64 s[18:19], s[18:19]
	s_cbranch_execz .LBB6_10763
; %bb.10762:                            ;   in Loop: Header=BB6_10271 Depth=2
	buffer_store_dword v0, off, s[0:3], s33 offset:152 ; 4-byte Folded Spill
.LBB6_10763:                            ;   in Loop: Header=BB6_10271 Depth=2
	s_or_b64 exec, exec, s[18:19]
.LBB6_10764:                            ;   in Loop: Header=BB6_10271 Depth=2
	s_or_b64 exec, exec, s[90:91]
                                        ; implicit-def: $vgpr0
.LBB6_10765:                            ;   in Loop: Header=BB6_10271 Depth=2
	s_andn2_saveexec_b64 s[18:19], s[88:89]
	s_cbranch_execz .LBB6_10767
; %bb.10766:                            ;   in Loop: Header=BB6_10271 Depth=2
	v_or_b32_e32 v0, 0x7e, v0
	buffer_store_dword v0, off, s[0:3], s33 offset:152 ; 4-byte Folded Spill
.LBB6_10767:                            ;   in Loop: Header=BB6_10271 Depth=2
	s_or_b64 exec, exec, s[18:19]
                                        ; implicit-def: $vgpr1
.LBB6_10768:                            ;   in Loop: Header=BB6_10271 Depth=2
	s_andn2_saveexec_b64 s[18:19], s[78:79]
	s_cbranch_execz .LBB6_10770
; %bb.10769:                            ;   in Loop: Header=BB6_10271 Depth=2
	v_or_b32_sdwa v0, v1, s39 dst_sel:DWORD dst_unused:UNUSED_PAD src0_sel:BYTE_3 src1_sel:DWORD
	buffer_store_dword v0, off, s[0:3], s33 offset:152 ; 4-byte Folded Spill
.LBB6_10770:                            ;   in Loop: Header=BB6_10271 Depth=2
	s_or_b64 exec, exec, s[18:19]
	flat_load_ubyte v0, v[10:11] offset:1216 glc slc
	v_mov_b32_e32 v1, 0
	s_waitcnt vmcnt(0) lgkmcnt(0)
	v_cmp_ne_u16_e32 vcc, 0, v0
	s_and_saveexec_b64 s[18:19], vcc
	s_cbranch_execz .LBB6_10776
; %bb.10771:                            ;   in Loop: Header=BB6_10271 Depth=2
	v_cmp_ne_u16_e32 vcc, s50, v0
	v_bfrev_b32_e32 v1, 1
	s_and_saveexec_b64 s[78:79], vcc
	s_cbranch_execz .LBB6_10775
; %bb.10772:                            ;   in Loop: Header=BB6_10271 Depth=2
	v_and_b32_e32 v16, 0xffff, v0
	v_and_b32_e32 v2, 0x7f, v16
	v_cmp_ne_u32_e32 vcc, s39, v2
	v_mov_b32_e32 v1, 0x7f800001
	s_and_saveexec_b64 s[88:89], vcc
	s_cbranch_execz .LBB6_10774
; %bb.10773:                            ;   in Loop: Header=BB6_10271 Depth=2
	v_and_b32_e32 v3, 7, v16
	v_ffbh_u32_e32 v1, v3
	v_min_u32_e32 v5, 32, v1
	v_subrev_u32_e32 v1, 28, v5
	v_lshrrev_b32_e32 v4, 3, v2
	v_cmp_gt_u32_e32 vcc, 8, v2
	v_lshlrev_b64 v[1:2], v1, v[16:17]
	v_sub_u32_e32 v2, 29, v5
	v_and_b32_e32 v1, 7, v1
	v_cndmask_b32_e32 v2, v4, v2, vcc
	v_cndmask_b32_e32 v1, v3, v1, vcc
	v_lshlrev_b32_e32 v0, 24, v0
	v_lshlrev_b32_e32 v1, 20, v1
	v_and_b32_e32 v0, 0x80000000, v0
	v_lshl_add_u32 v2, v2, 23, v62
	v_or3_b32 v1, v0, v2, v1
.LBB6_10774:                            ;   in Loop: Header=BB6_10271 Depth=2
	s_or_b64 exec, exec, s[88:89]
.LBB6_10775:                            ;   in Loop: Header=BB6_10271 Depth=2
	s_or_b64 exec, exec, s[78:79]
.LBB6_10776:                            ;   in Loop: Header=BB6_10271 Depth=2
	s_or_b64 exec, exec, s[18:19]
	v_mul_f32_e32 v1, s94, v1
	v_and_b32_e32 v50, 0x7f800000, v1
	v_cmp_ne_u64_e32 vcc, s[46:47], v[50:51]
                                        ; implicit-def: $vgpr0
                                        ; kill: killed $vgpr0
	s_and_saveexec_b64 s[18:19], vcc
	s_xor_b64 s[78:79], exec, s[18:19]
	s_cbranch_execz .LBB6_10794
; %bb.10777:                            ;   in Loop: Header=BB6_10271 Depth=2
	v_and_b32_e32 v50, 0x7fffffff, v1
	v_cmp_gt_u64_e32 vcc, s[56:57], v[50:51]
	v_and_b32_sdwa v0, v1, s50 dst_sel:DWORD dst_unused:UNUSED_PAD src0_sel:BYTE_3 src1_sel:DWORD
                                        ; implicit-def: $vgpr2
                                        ; kill: killed $vgpr2
	s_and_saveexec_b64 s[18:19], vcc
	s_xor_b64 s[88:89], exec, s[18:19]
	s_cbranch_execz .LBB6_10791
; %bb.10778:                            ;   in Loop: Header=BB6_10271 Depth=2
	v_cmp_ne_u32_e32 vcc, 0, v1
	v_mov_b32_e32 v2, 0
	buffer_store_dword v2, off, s[0:3], s33 offset:148 ; 4-byte Folded Spill
	s_and_saveexec_b64 s[90:91], vcc
	s_cbranch_execz .LBB6_10790
; %bb.10779:                            ;   in Loop: Header=BB6_10271 Depth=2
	v_and_b32_e32 v3, 0x7fffff, v1
	v_bfe_u32 v1, v1, 23, 8
	v_cmp_gt_u32_e64 s[18:19], s51, v1
	v_sub_u32_e32 v2, 0x79, v1
	v_cmp_eq_u32_e32 vcc, 0, v1
	v_cndmask_b32_e64 v2, 0, v2, s[18:19]
	v_mov_b32_e32 v5, 0x78
	v_or_b32_e32 v4, 0x800000, v3
	v_cndmask_b32_e32 v2, v2, v5, vcc
	v_cndmask_b32_e32 v50, v4, v3, vcc
	v_add_u32_e32 v3, 20, v2
	v_lshlrev_b64 v[3:4], v3, -1
	v_add_u32_e32 v5, 19, v2
	v_lshlrev_b64 v[5:6], v5, 1
	v_lshrrev_b64 v[16:17], v2, v[50:51]
	v_bfi_b32 v4, v4, 0, 0
	v_bfi_b32 v3, v3, 0, v50
	v_cmp_eq_u64_e64 s[18:19], v[3:4], v[5:6]
	v_mov_b32_e32 v18, v17
	v_mov_b32_e32 v17, v16
	s_and_saveexec_b64 s[92:93], s[18:19]
; %bb.10780:                            ;   in Loop: Header=BB6_10271 Depth=2
	v_bfe_u32 v3, v16, 20, 1
	v_add_co_u32_e64 v3, s[18:19], v16, v3
	v_add_co_u32_e64 v17, s[18:19], -1, v3
; %bb.10781:                            ;   in Loop: Header=BB6_10271 Depth=2
	s_or_b64 exec, exec, s[92:93]
	v_add_u32_e32 v1, 0xffffff81, v1
	v_mov_b32_e32 v3, 0xffffff82
	v_cndmask_b32_e32 v1, v1, v3, vcc
	v_lshrrev_b32_e32 v3, 23, v16
	v_add3_u32 v3, v2, v1, v3
	v_add_u32_e32 v2, 6, v3
	v_and_b32_e32 v1, 0xfffff, v17
	v_add_u32_e32 v50, v1, v16
	v_cmp_ne_u32_e32 vcc, 0, v2
                                        ; implicit-def: $vgpr16_vgpr17
                                        ; implicit-def: $vgpr1
	s_and_saveexec_b64 s[18:19], vcc
	s_xor_b64 s[18:19], exec, s[18:19]
; %bb.10782:                            ;   in Loop: Header=BB6_10271 Depth=2
	v_cmp_lt_u64_e32 vcc, s[58:59], v[50:51]
	v_add_u32_e32 v1, 7, v3
	v_cndmask_b32_e32 v1, v2, v1, vcc
	v_cndmask_b32_e64 v2, 0, 1, vcc
	v_lshrrev_b64 v[16:17], v2, v[50:51]
; %bb.10783:                            ;   in Loop: Header=BB6_10271 Depth=2
	s_andn2_saveexec_b64 s[18:19], s[18:19]
; %bb.10784:                            ;   in Loop: Header=BB6_10271 Depth=2
	v_mov_b32_e32 v16, v50
	v_bfe_u32 v1, v50, 23, 1
	v_mov_b32_e32 v17, v51
; %bb.10785:                            ;   in Loop: Header=BB6_10271 Depth=2
	s_or_b64 exec, exec, s[18:19]
	v_lshrrev_b64 v[2:3], 20, v[16:17]
	v_cmp_gt_i32_e32 vcc, 16, v1
	v_cndmask_b32_e32 v17, 0, v3, vcc
	v_cndmask_b32_e32 v16, 7, v2, vcc
	v_cmp_ne_u64_e32 vcc, 0, v[16:17]
	v_cmp_ne_u32_e64 s[18:19], 0, v1
	s_or_b64 s[18:19], s[18:19], vcc
                                        ; implicit-def: $vgpr2
                                        ; kill: killed $vgpr2
	s_and_saveexec_b64 s[92:93], s[18:19]
	s_xor_b64 s[18:19], exec, s[92:93]
	s_cbranch_execz .LBB6_10787
; %bb.10786:                            ;   in Loop: Header=BB6_10271 Depth=2
	v_min_i32_e32 v1, 15, v1
	v_lshl_or_b32 v0, v1, 3, v0
	v_and_or_b32 v0, v16, 7, v0
	buffer_store_dword v0, off, s[0:3], s33 offset:148 ; 4-byte Folded Spill
                                        ; implicit-def: $vgpr0
.LBB6_10787:                            ;   in Loop: Header=BB6_10271 Depth=2
	s_andn2_saveexec_b64 s[18:19], s[18:19]
	s_cbranch_execz .LBB6_10789
; %bb.10788:                            ;   in Loop: Header=BB6_10271 Depth=2
	buffer_store_dword v0, off, s[0:3], s33 offset:148 ; 4-byte Folded Spill
.LBB6_10789:                            ;   in Loop: Header=BB6_10271 Depth=2
	s_or_b64 exec, exec, s[18:19]
.LBB6_10790:                            ;   in Loop: Header=BB6_10271 Depth=2
	s_or_b64 exec, exec, s[90:91]
                                        ; implicit-def: $vgpr0
.LBB6_10791:                            ;   in Loop: Header=BB6_10271 Depth=2
	s_andn2_saveexec_b64 s[18:19], s[88:89]
	s_cbranch_execz .LBB6_10793
; %bb.10792:                            ;   in Loop: Header=BB6_10271 Depth=2
	v_or_b32_e32 v0, 0x7e, v0
	buffer_store_dword v0, off, s[0:3], s33 offset:148 ; 4-byte Folded Spill
.LBB6_10793:                            ;   in Loop: Header=BB6_10271 Depth=2
	s_or_b64 exec, exec, s[18:19]
                                        ; implicit-def: $vgpr1
.LBB6_10794:                            ;   in Loop: Header=BB6_10271 Depth=2
	s_andn2_saveexec_b64 s[18:19], s[78:79]
	s_cbranch_execz .LBB6_10796
; %bb.10795:                            ;   in Loop: Header=BB6_10271 Depth=2
	v_or_b32_sdwa v0, v1, s39 dst_sel:DWORD dst_unused:UNUSED_PAD src0_sel:BYTE_3 src1_sel:DWORD
	buffer_store_dword v0, off, s[0:3], s33 offset:148 ; 4-byte Folded Spill
.LBB6_10796:                            ;   in Loop: Header=BB6_10271 Depth=2
	s_or_b64 exec, exec, s[18:19]
	flat_load_ubyte v0, v[10:11] offset:1280 glc slc
	v_mov_b32_e32 v1, 0
	s_waitcnt vmcnt(0) lgkmcnt(0)
	v_cmp_ne_u16_e32 vcc, 0, v0
	s_and_saveexec_b64 s[18:19], vcc
	s_cbranch_execz .LBB6_10802
; %bb.10797:                            ;   in Loop: Header=BB6_10271 Depth=2
	v_cmp_ne_u16_e32 vcc, s50, v0
	v_bfrev_b32_e32 v1, 1
	s_and_saveexec_b64 s[78:79], vcc
	s_cbranch_execz .LBB6_10801
; %bb.10798:                            ;   in Loop: Header=BB6_10271 Depth=2
	v_and_b32_e32 v16, 0xffff, v0
	v_and_b32_e32 v2, 0x7f, v16
	v_cmp_ne_u32_e32 vcc, s39, v2
	v_mov_b32_e32 v1, 0x7f800001
	s_and_saveexec_b64 s[88:89], vcc
	s_cbranch_execz .LBB6_10800
; %bb.10799:                            ;   in Loop: Header=BB6_10271 Depth=2
	v_and_b32_e32 v3, 7, v16
	v_ffbh_u32_e32 v1, v3
	v_min_u32_e32 v5, 32, v1
	v_subrev_u32_e32 v1, 28, v5
	v_lshrrev_b32_e32 v4, 3, v2
	v_cmp_gt_u32_e32 vcc, 8, v2
	v_lshlrev_b64 v[1:2], v1, v[16:17]
	v_sub_u32_e32 v2, 29, v5
	v_and_b32_e32 v1, 7, v1
	v_cndmask_b32_e32 v2, v4, v2, vcc
	v_cndmask_b32_e32 v1, v3, v1, vcc
	v_lshlrev_b32_e32 v0, 24, v0
	v_lshlrev_b32_e32 v1, 20, v1
	v_and_b32_e32 v0, 0x80000000, v0
	v_lshl_add_u32 v2, v2, 23, v62
	v_or3_b32 v1, v0, v2, v1
.LBB6_10800:                            ;   in Loop: Header=BB6_10271 Depth=2
	s_or_b64 exec, exec, s[88:89]
.LBB6_10801:                            ;   in Loop: Header=BB6_10271 Depth=2
	s_or_b64 exec, exec, s[78:79]
.LBB6_10802:                            ;   in Loop: Header=BB6_10271 Depth=2
	s_or_b64 exec, exec, s[18:19]
	v_mul_f32_e32 v1, s94, v1
	v_and_b32_e32 v50, 0x7f800000, v1
	v_cmp_ne_u64_e32 vcc, s[46:47], v[50:51]
                                        ; implicit-def: $vgpr0
                                        ; kill: killed $vgpr0
	s_and_saveexec_b64 s[18:19], vcc
	s_xor_b64 s[78:79], exec, s[18:19]
	s_cbranch_execz .LBB6_10820
; %bb.10803:                            ;   in Loop: Header=BB6_10271 Depth=2
	v_and_b32_e32 v50, 0x7fffffff, v1
	v_cmp_gt_u64_e32 vcc, s[56:57], v[50:51]
	v_and_b32_sdwa v0, v1, s50 dst_sel:DWORD dst_unused:UNUSED_PAD src0_sel:BYTE_3 src1_sel:DWORD
                                        ; implicit-def: $vgpr2
                                        ; kill: killed $vgpr2
	s_and_saveexec_b64 s[18:19], vcc
	s_xor_b64 s[88:89], exec, s[18:19]
	s_cbranch_execz .LBB6_10817
; %bb.10804:                            ;   in Loop: Header=BB6_10271 Depth=2
	v_cmp_ne_u32_e32 vcc, 0, v1
	v_mov_b32_e32 v2, 0
	buffer_store_dword v2, off, s[0:3], s33 offset:144 ; 4-byte Folded Spill
	s_and_saveexec_b64 s[90:91], vcc
	s_cbranch_execz .LBB6_10816
; %bb.10805:                            ;   in Loop: Header=BB6_10271 Depth=2
	v_and_b32_e32 v3, 0x7fffff, v1
	v_bfe_u32 v1, v1, 23, 8
	v_cmp_gt_u32_e64 s[18:19], s51, v1
	v_sub_u32_e32 v2, 0x79, v1
	v_cmp_eq_u32_e32 vcc, 0, v1
	v_cndmask_b32_e64 v2, 0, v2, s[18:19]
	v_mov_b32_e32 v5, 0x78
	v_or_b32_e32 v4, 0x800000, v3
	v_cndmask_b32_e32 v2, v2, v5, vcc
	v_cndmask_b32_e32 v50, v4, v3, vcc
	v_add_u32_e32 v3, 20, v2
	v_lshlrev_b64 v[3:4], v3, -1
	v_add_u32_e32 v5, 19, v2
	v_lshlrev_b64 v[5:6], v5, 1
	v_lshrrev_b64 v[16:17], v2, v[50:51]
	v_bfi_b32 v4, v4, 0, 0
	v_bfi_b32 v3, v3, 0, v50
	v_cmp_eq_u64_e64 s[18:19], v[3:4], v[5:6]
	v_mov_b32_e32 v18, v17
	v_mov_b32_e32 v17, v16
	s_and_saveexec_b64 s[92:93], s[18:19]
; %bb.10806:                            ;   in Loop: Header=BB6_10271 Depth=2
	v_bfe_u32 v3, v16, 20, 1
	v_add_co_u32_e64 v3, s[18:19], v16, v3
	v_add_co_u32_e64 v17, s[18:19], -1, v3
; %bb.10807:                            ;   in Loop: Header=BB6_10271 Depth=2
	s_or_b64 exec, exec, s[92:93]
	v_add_u32_e32 v1, 0xffffff81, v1
	v_mov_b32_e32 v3, 0xffffff82
	v_cndmask_b32_e32 v1, v1, v3, vcc
	v_lshrrev_b32_e32 v3, 23, v16
	v_add3_u32 v3, v2, v1, v3
	v_add_u32_e32 v2, 6, v3
	v_and_b32_e32 v1, 0xfffff, v17
	v_add_u32_e32 v50, v1, v16
	v_cmp_ne_u32_e32 vcc, 0, v2
                                        ; implicit-def: $vgpr16_vgpr17
                                        ; implicit-def: $vgpr1
	s_and_saveexec_b64 s[18:19], vcc
	s_xor_b64 s[18:19], exec, s[18:19]
; %bb.10808:                            ;   in Loop: Header=BB6_10271 Depth=2
	v_cmp_lt_u64_e32 vcc, s[58:59], v[50:51]
	v_add_u32_e32 v1, 7, v3
	v_cndmask_b32_e32 v1, v2, v1, vcc
	v_cndmask_b32_e64 v2, 0, 1, vcc
	v_lshrrev_b64 v[16:17], v2, v[50:51]
; %bb.10809:                            ;   in Loop: Header=BB6_10271 Depth=2
	s_andn2_saveexec_b64 s[18:19], s[18:19]
; %bb.10810:                            ;   in Loop: Header=BB6_10271 Depth=2
	v_mov_b32_e32 v16, v50
	v_bfe_u32 v1, v50, 23, 1
	v_mov_b32_e32 v17, v51
; %bb.10811:                            ;   in Loop: Header=BB6_10271 Depth=2
	s_or_b64 exec, exec, s[18:19]
	v_lshrrev_b64 v[2:3], 20, v[16:17]
	v_cmp_gt_i32_e32 vcc, 16, v1
	v_cndmask_b32_e32 v17, 0, v3, vcc
	v_cndmask_b32_e32 v16, 7, v2, vcc
	v_cmp_ne_u64_e32 vcc, 0, v[16:17]
	v_cmp_ne_u32_e64 s[18:19], 0, v1
	s_or_b64 s[18:19], s[18:19], vcc
                                        ; implicit-def: $vgpr2
                                        ; kill: killed $vgpr2
	s_and_saveexec_b64 s[92:93], s[18:19]
	s_xor_b64 s[18:19], exec, s[92:93]
	s_cbranch_execz .LBB6_10813
; %bb.10812:                            ;   in Loop: Header=BB6_10271 Depth=2
	v_min_i32_e32 v1, 15, v1
	v_lshl_or_b32 v0, v1, 3, v0
	v_and_or_b32 v0, v16, 7, v0
	buffer_store_dword v0, off, s[0:3], s33 offset:144 ; 4-byte Folded Spill
                                        ; implicit-def: $vgpr0
.LBB6_10813:                            ;   in Loop: Header=BB6_10271 Depth=2
	s_andn2_saveexec_b64 s[18:19], s[18:19]
	s_cbranch_execz .LBB6_10815
; %bb.10814:                            ;   in Loop: Header=BB6_10271 Depth=2
	buffer_store_dword v0, off, s[0:3], s33 offset:144 ; 4-byte Folded Spill
.LBB6_10815:                            ;   in Loop: Header=BB6_10271 Depth=2
	s_or_b64 exec, exec, s[18:19]
.LBB6_10816:                            ;   in Loop: Header=BB6_10271 Depth=2
	s_or_b64 exec, exec, s[90:91]
                                        ; implicit-def: $vgpr0
.LBB6_10817:                            ;   in Loop: Header=BB6_10271 Depth=2
	s_andn2_saveexec_b64 s[18:19], s[88:89]
	s_cbranch_execz .LBB6_10819
; %bb.10818:                            ;   in Loop: Header=BB6_10271 Depth=2
	v_or_b32_e32 v0, 0x7e, v0
	buffer_store_dword v0, off, s[0:3], s33 offset:144 ; 4-byte Folded Spill
.LBB6_10819:                            ;   in Loop: Header=BB6_10271 Depth=2
	s_or_b64 exec, exec, s[18:19]
                                        ; implicit-def: $vgpr1
.LBB6_10820:                            ;   in Loop: Header=BB6_10271 Depth=2
	s_andn2_saveexec_b64 s[18:19], s[78:79]
	s_cbranch_execz .LBB6_10822
; %bb.10821:                            ;   in Loop: Header=BB6_10271 Depth=2
	v_or_b32_sdwa v0, v1, s39 dst_sel:DWORD dst_unused:UNUSED_PAD src0_sel:BYTE_3 src1_sel:DWORD
	buffer_store_dword v0, off, s[0:3], s33 offset:144 ; 4-byte Folded Spill
.LBB6_10822:                            ;   in Loop: Header=BB6_10271 Depth=2
	s_or_b64 exec, exec, s[18:19]
	flat_load_ubyte v0, v[10:11] offset:1344 glc slc
	v_mov_b32_e32 v1, 0
	s_waitcnt vmcnt(0) lgkmcnt(0)
	v_cmp_ne_u16_e32 vcc, 0, v0
	s_and_saveexec_b64 s[18:19], vcc
	s_cbranch_execz .LBB6_10828
; %bb.10823:                            ;   in Loop: Header=BB6_10271 Depth=2
	v_cmp_ne_u16_e32 vcc, s50, v0
	v_bfrev_b32_e32 v1, 1
	s_and_saveexec_b64 s[78:79], vcc
	s_cbranch_execz .LBB6_10827
; %bb.10824:                            ;   in Loop: Header=BB6_10271 Depth=2
	v_and_b32_e32 v16, 0xffff, v0
	v_and_b32_e32 v2, 0x7f, v16
	v_cmp_ne_u32_e32 vcc, s39, v2
	v_mov_b32_e32 v1, 0x7f800001
	s_and_saveexec_b64 s[88:89], vcc
	s_cbranch_execz .LBB6_10826
; %bb.10825:                            ;   in Loop: Header=BB6_10271 Depth=2
	v_and_b32_e32 v3, 7, v16
	v_ffbh_u32_e32 v1, v3
	v_min_u32_e32 v5, 32, v1
	v_subrev_u32_e32 v1, 28, v5
	v_lshrrev_b32_e32 v4, 3, v2
	v_cmp_gt_u32_e32 vcc, 8, v2
	v_lshlrev_b64 v[1:2], v1, v[16:17]
	v_sub_u32_e32 v2, 29, v5
	v_and_b32_e32 v1, 7, v1
	v_cndmask_b32_e32 v2, v4, v2, vcc
	v_cndmask_b32_e32 v1, v3, v1, vcc
	v_lshlrev_b32_e32 v0, 24, v0
	v_lshlrev_b32_e32 v1, 20, v1
	v_and_b32_e32 v0, 0x80000000, v0
	v_lshl_add_u32 v2, v2, 23, v62
	v_or3_b32 v1, v0, v2, v1
.LBB6_10826:                            ;   in Loop: Header=BB6_10271 Depth=2
	s_or_b64 exec, exec, s[88:89]
.LBB6_10827:                            ;   in Loop: Header=BB6_10271 Depth=2
	s_or_b64 exec, exec, s[78:79]
.LBB6_10828:                            ;   in Loop: Header=BB6_10271 Depth=2
	s_or_b64 exec, exec, s[18:19]
	v_mul_f32_e32 v1, s94, v1
	v_and_b32_e32 v50, 0x7f800000, v1
	v_cmp_ne_u64_e32 vcc, s[46:47], v[50:51]
                                        ; implicit-def: $vgpr0
                                        ; kill: killed $vgpr0
	s_and_saveexec_b64 s[18:19], vcc
	s_xor_b64 s[78:79], exec, s[18:19]
	s_cbranch_execz .LBB6_10846
; %bb.10829:                            ;   in Loop: Header=BB6_10271 Depth=2
	v_and_b32_e32 v50, 0x7fffffff, v1
	v_cmp_gt_u64_e32 vcc, s[56:57], v[50:51]
	v_and_b32_sdwa v0, v1, s50 dst_sel:DWORD dst_unused:UNUSED_PAD src0_sel:BYTE_3 src1_sel:DWORD
                                        ; implicit-def: $vgpr2
                                        ; kill: killed $vgpr2
	s_and_saveexec_b64 s[18:19], vcc
	s_xor_b64 s[88:89], exec, s[18:19]
	s_cbranch_execz .LBB6_10843
; %bb.10830:                            ;   in Loop: Header=BB6_10271 Depth=2
	v_cmp_ne_u32_e32 vcc, 0, v1
	v_mov_b32_e32 v2, 0
	buffer_store_dword v2, off, s[0:3], s33 offset:140 ; 4-byte Folded Spill
	s_and_saveexec_b64 s[90:91], vcc
	s_cbranch_execz .LBB6_10842
; %bb.10831:                            ;   in Loop: Header=BB6_10271 Depth=2
	v_and_b32_e32 v3, 0x7fffff, v1
	v_bfe_u32 v1, v1, 23, 8
	v_cmp_gt_u32_e64 s[18:19], s51, v1
	v_sub_u32_e32 v2, 0x79, v1
	v_cmp_eq_u32_e32 vcc, 0, v1
	v_cndmask_b32_e64 v2, 0, v2, s[18:19]
	v_mov_b32_e32 v5, 0x78
	v_or_b32_e32 v4, 0x800000, v3
	v_cndmask_b32_e32 v2, v2, v5, vcc
	v_cndmask_b32_e32 v50, v4, v3, vcc
	v_add_u32_e32 v3, 20, v2
	v_lshlrev_b64 v[3:4], v3, -1
	v_add_u32_e32 v5, 19, v2
	v_lshlrev_b64 v[5:6], v5, 1
	v_lshrrev_b64 v[16:17], v2, v[50:51]
	v_bfi_b32 v4, v4, 0, 0
	v_bfi_b32 v3, v3, 0, v50
	v_cmp_eq_u64_e64 s[18:19], v[3:4], v[5:6]
	v_mov_b32_e32 v18, v17
	v_mov_b32_e32 v17, v16
	s_and_saveexec_b64 s[92:93], s[18:19]
; %bb.10832:                            ;   in Loop: Header=BB6_10271 Depth=2
	v_bfe_u32 v3, v16, 20, 1
	v_add_co_u32_e64 v3, s[18:19], v16, v3
	v_add_co_u32_e64 v17, s[18:19], -1, v3
; %bb.10833:                            ;   in Loop: Header=BB6_10271 Depth=2
	s_or_b64 exec, exec, s[92:93]
	v_add_u32_e32 v1, 0xffffff81, v1
	v_mov_b32_e32 v3, 0xffffff82
	v_cndmask_b32_e32 v1, v1, v3, vcc
	v_lshrrev_b32_e32 v3, 23, v16
	v_add3_u32 v3, v2, v1, v3
	v_add_u32_e32 v2, 6, v3
	v_and_b32_e32 v1, 0xfffff, v17
	v_add_u32_e32 v50, v1, v16
	v_cmp_ne_u32_e32 vcc, 0, v2
                                        ; implicit-def: $vgpr16_vgpr17
                                        ; implicit-def: $vgpr1
	s_and_saveexec_b64 s[18:19], vcc
	s_xor_b64 s[18:19], exec, s[18:19]
; %bb.10834:                            ;   in Loop: Header=BB6_10271 Depth=2
	v_cmp_lt_u64_e32 vcc, s[58:59], v[50:51]
	v_add_u32_e32 v1, 7, v3
	v_cndmask_b32_e32 v1, v2, v1, vcc
	v_cndmask_b32_e64 v2, 0, 1, vcc
	v_lshrrev_b64 v[16:17], v2, v[50:51]
; %bb.10835:                            ;   in Loop: Header=BB6_10271 Depth=2
	s_andn2_saveexec_b64 s[18:19], s[18:19]
; %bb.10836:                            ;   in Loop: Header=BB6_10271 Depth=2
	v_mov_b32_e32 v16, v50
	v_bfe_u32 v1, v50, 23, 1
	v_mov_b32_e32 v17, v51
; %bb.10837:                            ;   in Loop: Header=BB6_10271 Depth=2
	s_or_b64 exec, exec, s[18:19]
	v_lshrrev_b64 v[2:3], 20, v[16:17]
	v_cmp_gt_i32_e32 vcc, 16, v1
	v_cndmask_b32_e32 v17, 0, v3, vcc
	v_cndmask_b32_e32 v16, 7, v2, vcc
	v_cmp_ne_u64_e32 vcc, 0, v[16:17]
	v_cmp_ne_u32_e64 s[18:19], 0, v1
	s_or_b64 s[18:19], s[18:19], vcc
                                        ; implicit-def: $vgpr2
                                        ; kill: killed $vgpr2
	s_and_saveexec_b64 s[92:93], s[18:19]
	s_xor_b64 s[18:19], exec, s[92:93]
	s_cbranch_execz .LBB6_10839
; %bb.10838:                            ;   in Loop: Header=BB6_10271 Depth=2
	v_min_i32_e32 v1, 15, v1
	v_lshl_or_b32 v0, v1, 3, v0
	v_and_or_b32 v0, v16, 7, v0
	buffer_store_dword v0, off, s[0:3], s33 offset:140 ; 4-byte Folded Spill
                                        ; implicit-def: $vgpr0
.LBB6_10839:                            ;   in Loop: Header=BB6_10271 Depth=2
	s_andn2_saveexec_b64 s[18:19], s[18:19]
	s_cbranch_execz .LBB6_10841
; %bb.10840:                            ;   in Loop: Header=BB6_10271 Depth=2
	buffer_store_dword v0, off, s[0:3], s33 offset:140 ; 4-byte Folded Spill
.LBB6_10841:                            ;   in Loop: Header=BB6_10271 Depth=2
	s_or_b64 exec, exec, s[18:19]
.LBB6_10842:                            ;   in Loop: Header=BB6_10271 Depth=2
	s_or_b64 exec, exec, s[90:91]
                                        ; implicit-def: $vgpr0
.LBB6_10843:                            ;   in Loop: Header=BB6_10271 Depth=2
	s_andn2_saveexec_b64 s[18:19], s[88:89]
	s_cbranch_execz .LBB6_10845
; %bb.10844:                            ;   in Loop: Header=BB6_10271 Depth=2
	v_or_b32_e32 v0, 0x7e, v0
	buffer_store_dword v0, off, s[0:3], s33 offset:140 ; 4-byte Folded Spill
.LBB6_10845:                            ;   in Loop: Header=BB6_10271 Depth=2
	s_or_b64 exec, exec, s[18:19]
                                        ; implicit-def: $vgpr1
.LBB6_10846:                            ;   in Loop: Header=BB6_10271 Depth=2
	s_andn2_saveexec_b64 s[18:19], s[78:79]
	s_cbranch_execz .LBB6_10848
; %bb.10847:                            ;   in Loop: Header=BB6_10271 Depth=2
	v_or_b32_sdwa v0, v1, s39 dst_sel:DWORD dst_unused:UNUSED_PAD src0_sel:BYTE_3 src1_sel:DWORD
	buffer_store_dword v0, off, s[0:3], s33 offset:140 ; 4-byte Folded Spill
.LBB6_10848:                            ;   in Loop: Header=BB6_10271 Depth=2
	s_or_b64 exec, exec, s[18:19]
	flat_load_ubyte v0, v[10:11] offset:1408 glc slc
	v_mov_b32_e32 v1, 0
	s_waitcnt vmcnt(0) lgkmcnt(0)
	v_cmp_ne_u16_e32 vcc, 0, v0
	s_and_saveexec_b64 s[18:19], vcc
	s_cbranch_execz .LBB6_10854
; %bb.10849:                            ;   in Loop: Header=BB6_10271 Depth=2
	v_cmp_ne_u16_e32 vcc, s50, v0
	v_bfrev_b32_e32 v1, 1
	s_and_saveexec_b64 s[78:79], vcc
	s_cbranch_execz .LBB6_10853
; %bb.10850:                            ;   in Loop: Header=BB6_10271 Depth=2
	v_and_b32_e32 v16, 0xffff, v0
	v_and_b32_e32 v2, 0x7f, v16
	v_cmp_ne_u32_e32 vcc, s39, v2
	v_mov_b32_e32 v1, 0x7f800001
	s_and_saveexec_b64 s[88:89], vcc
	s_cbranch_execz .LBB6_10852
; %bb.10851:                            ;   in Loop: Header=BB6_10271 Depth=2
	v_and_b32_e32 v3, 7, v16
	v_ffbh_u32_e32 v1, v3
	v_min_u32_e32 v5, 32, v1
	v_subrev_u32_e32 v1, 28, v5
	v_lshrrev_b32_e32 v4, 3, v2
	v_cmp_gt_u32_e32 vcc, 8, v2
	v_lshlrev_b64 v[1:2], v1, v[16:17]
	v_sub_u32_e32 v2, 29, v5
	v_and_b32_e32 v1, 7, v1
	v_cndmask_b32_e32 v2, v4, v2, vcc
	v_cndmask_b32_e32 v1, v3, v1, vcc
	v_lshlrev_b32_e32 v0, 24, v0
	v_lshlrev_b32_e32 v1, 20, v1
	v_and_b32_e32 v0, 0x80000000, v0
	v_lshl_add_u32 v2, v2, 23, v62
	v_or3_b32 v1, v0, v2, v1
.LBB6_10852:                            ;   in Loop: Header=BB6_10271 Depth=2
	s_or_b64 exec, exec, s[88:89]
.LBB6_10853:                            ;   in Loop: Header=BB6_10271 Depth=2
	s_or_b64 exec, exec, s[78:79]
.LBB6_10854:                            ;   in Loop: Header=BB6_10271 Depth=2
	s_or_b64 exec, exec, s[18:19]
	v_mul_f32_e32 v1, s94, v1
	v_and_b32_e32 v50, 0x7f800000, v1
	v_cmp_ne_u64_e32 vcc, s[46:47], v[50:51]
                                        ; implicit-def: $vgpr0
                                        ; kill: killed $vgpr0
	s_and_saveexec_b64 s[18:19], vcc
	s_xor_b64 s[78:79], exec, s[18:19]
	s_cbranch_execz .LBB6_10872
; %bb.10855:                            ;   in Loop: Header=BB6_10271 Depth=2
	v_and_b32_e32 v50, 0x7fffffff, v1
	v_cmp_gt_u64_e32 vcc, s[56:57], v[50:51]
	v_and_b32_sdwa v0, v1, s50 dst_sel:DWORD dst_unused:UNUSED_PAD src0_sel:BYTE_3 src1_sel:DWORD
                                        ; implicit-def: $vgpr2
                                        ; kill: killed $vgpr2
	s_and_saveexec_b64 s[18:19], vcc
	s_xor_b64 s[88:89], exec, s[18:19]
	s_cbranch_execz .LBB6_10869
; %bb.10856:                            ;   in Loop: Header=BB6_10271 Depth=2
	v_cmp_ne_u32_e32 vcc, 0, v1
	v_mov_b32_e32 v2, 0
	buffer_store_dword v2, off, s[0:3], s33 offset:136 ; 4-byte Folded Spill
	s_and_saveexec_b64 s[90:91], vcc
	s_cbranch_execz .LBB6_10868
; %bb.10857:                            ;   in Loop: Header=BB6_10271 Depth=2
	v_and_b32_e32 v3, 0x7fffff, v1
	v_bfe_u32 v1, v1, 23, 8
	v_cmp_gt_u32_e64 s[18:19], s51, v1
	v_sub_u32_e32 v2, 0x79, v1
	v_cmp_eq_u32_e32 vcc, 0, v1
	v_cndmask_b32_e64 v2, 0, v2, s[18:19]
	v_mov_b32_e32 v5, 0x78
	v_or_b32_e32 v4, 0x800000, v3
	v_cndmask_b32_e32 v2, v2, v5, vcc
	v_cndmask_b32_e32 v50, v4, v3, vcc
	v_add_u32_e32 v3, 20, v2
	v_lshlrev_b64 v[3:4], v3, -1
	v_add_u32_e32 v5, 19, v2
	v_lshlrev_b64 v[5:6], v5, 1
	v_lshrrev_b64 v[16:17], v2, v[50:51]
	v_bfi_b32 v4, v4, 0, 0
	v_bfi_b32 v3, v3, 0, v50
	v_cmp_eq_u64_e64 s[18:19], v[3:4], v[5:6]
	v_mov_b32_e32 v18, v17
	v_mov_b32_e32 v17, v16
	s_and_saveexec_b64 s[92:93], s[18:19]
; %bb.10858:                            ;   in Loop: Header=BB6_10271 Depth=2
	v_bfe_u32 v3, v16, 20, 1
	v_add_co_u32_e64 v3, s[18:19], v16, v3
	v_add_co_u32_e64 v17, s[18:19], -1, v3
; %bb.10859:                            ;   in Loop: Header=BB6_10271 Depth=2
	s_or_b64 exec, exec, s[92:93]
	v_add_u32_e32 v1, 0xffffff81, v1
	v_mov_b32_e32 v3, 0xffffff82
	v_cndmask_b32_e32 v1, v1, v3, vcc
	v_lshrrev_b32_e32 v3, 23, v16
	v_add3_u32 v3, v2, v1, v3
	v_add_u32_e32 v2, 6, v3
	v_and_b32_e32 v1, 0xfffff, v17
	v_add_u32_e32 v50, v1, v16
	v_cmp_ne_u32_e32 vcc, 0, v2
                                        ; implicit-def: $vgpr16_vgpr17
                                        ; implicit-def: $vgpr1
	s_and_saveexec_b64 s[18:19], vcc
	s_xor_b64 s[18:19], exec, s[18:19]
; %bb.10860:                            ;   in Loop: Header=BB6_10271 Depth=2
	v_cmp_lt_u64_e32 vcc, s[58:59], v[50:51]
	v_add_u32_e32 v1, 7, v3
	v_cndmask_b32_e32 v1, v2, v1, vcc
	v_cndmask_b32_e64 v2, 0, 1, vcc
	v_lshrrev_b64 v[16:17], v2, v[50:51]
; %bb.10861:                            ;   in Loop: Header=BB6_10271 Depth=2
	s_andn2_saveexec_b64 s[18:19], s[18:19]
; %bb.10862:                            ;   in Loop: Header=BB6_10271 Depth=2
	v_mov_b32_e32 v16, v50
	v_bfe_u32 v1, v50, 23, 1
	v_mov_b32_e32 v17, v51
; %bb.10863:                            ;   in Loop: Header=BB6_10271 Depth=2
	s_or_b64 exec, exec, s[18:19]
	v_lshrrev_b64 v[2:3], 20, v[16:17]
	v_cmp_gt_i32_e32 vcc, 16, v1
	v_cndmask_b32_e32 v17, 0, v3, vcc
	v_cndmask_b32_e32 v16, 7, v2, vcc
	v_cmp_ne_u64_e32 vcc, 0, v[16:17]
	v_cmp_ne_u32_e64 s[18:19], 0, v1
	s_or_b64 s[18:19], s[18:19], vcc
                                        ; implicit-def: $vgpr2
                                        ; kill: killed $vgpr2
	s_and_saveexec_b64 s[92:93], s[18:19]
	s_xor_b64 s[18:19], exec, s[92:93]
	s_cbranch_execz .LBB6_10865
; %bb.10864:                            ;   in Loop: Header=BB6_10271 Depth=2
	v_min_i32_e32 v1, 15, v1
	v_lshl_or_b32 v0, v1, 3, v0
	v_and_or_b32 v0, v16, 7, v0
	buffer_store_dword v0, off, s[0:3], s33 offset:136 ; 4-byte Folded Spill
                                        ; implicit-def: $vgpr0
.LBB6_10865:                            ;   in Loop: Header=BB6_10271 Depth=2
	s_andn2_saveexec_b64 s[18:19], s[18:19]
	s_cbranch_execz .LBB6_10867
; %bb.10866:                            ;   in Loop: Header=BB6_10271 Depth=2
	buffer_store_dword v0, off, s[0:3], s33 offset:136 ; 4-byte Folded Spill
.LBB6_10867:                            ;   in Loop: Header=BB6_10271 Depth=2
	s_or_b64 exec, exec, s[18:19]
.LBB6_10868:                            ;   in Loop: Header=BB6_10271 Depth=2
	s_or_b64 exec, exec, s[90:91]
                                        ; implicit-def: $vgpr0
.LBB6_10869:                            ;   in Loop: Header=BB6_10271 Depth=2
	s_andn2_saveexec_b64 s[18:19], s[88:89]
	s_cbranch_execz .LBB6_10871
; %bb.10870:                            ;   in Loop: Header=BB6_10271 Depth=2
	v_or_b32_e32 v0, 0x7e, v0
	buffer_store_dword v0, off, s[0:3], s33 offset:136 ; 4-byte Folded Spill
.LBB6_10871:                            ;   in Loop: Header=BB6_10271 Depth=2
	s_or_b64 exec, exec, s[18:19]
                                        ; implicit-def: $vgpr1
.LBB6_10872:                            ;   in Loop: Header=BB6_10271 Depth=2
	s_andn2_saveexec_b64 s[18:19], s[78:79]
	s_cbranch_execz .LBB6_10874
; %bb.10873:                            ;   in Loop: Header=BB6_10271 Depth=2
	v_or_b32_sdwa v0, v1, s39 dst_sel:DWORD dst_unused:UNUSED_PAD src0_sel:BYTE_3 src1_sel:DWORD
	buffer_store_dword v0, off, s[0:3], s33 offset:136 ; 4-byte Folded Spill
.LBB6_10874:                            ;   in Loop: Header=BB6_10271 Depth=2
	s_or_b64 exec, exec, s[18:19]
	flat_load_ubyte v0, v[10:11] offset:1472 glc slc
	v_mov_b32_e32 v1, 0
	s_waitcnt vmcnt(0) lgkmcnt(0)
	v_cmp_ne_u16_e32 vcc, 0, v0
	s_and_saveexec_b64 s[18:19], vcc
	s_cbranch_execz .LBB6_10880
; %bb.10875:                            ;   in Loop: Header=BB6_10271 Depth=2
	v_cmp_ne_u16_e32 vcc, s50, v0
	v_bfrev_b32_e32 v1, 1
	s_and_saveexec_b64 s[78:79], vcc
	s_cbranch_execz .LBB6_10879
; %bb.10876:                            ;   in Loop: Header=BB6_10271 Depth=2
	v_and_b32_e32 v16, 0xffff, v0
	v_and_b32_e32 v2, 0x7f, v16
	v_cmp_ne_u32_e32 vcc, s39, v2
	v_mov_b32_e32 v1, 0x7f800001
	s_and_saveexec_b64 s[88:89], vcc
	s_cbranch_execz .LBB6_10878
; %bb.10877:                            ;   in Loop: Header=BB6_10271 Depth=2
	v_and_b32_e32 v3, 7, v16
	v_ffbh_u32_e32 v1, v3
	v_min_u32_e32 v5, 32, v1
	v_subrev_u32_e32 v1, 28, v5
	v_lshrrev_b32_e32 v4, 3, v2
	v_cmp_gt_u32_e32 vcc, 8, v2
	v_lshlrev_b64 v[1:2], v1, v[16:17]
	v_sub_u32_e32 v2, 29, v5
	v_and_b32_e32 v1, 7, v1
	v_cndmask_b32_e32 v2, v4, v2, vcc
	v_cndmask_b32_e32 v1, v3, v1, vcc
	v_lshlrev_b32_e32 v0, 24, v0
	v_lshlrev_b32_e32 v1, 20, v1
	v_and_b32_e32 v0, 0x80000000, v0
	v_lshl_add_u32 v2, v2, 23, v62
	v_or3_b32 v1, v0, v2, v1
.LBB6_10878:                            ;   in Loop: Header=BB6_10271 Depth=2
	s_or_b64 exec, exec, s[88:89]
.LBB6_10879:                            ;   in Loop: Header=BB6_10271 Depth=2
	s_or_b64 exec, exec, s[78:79]
.LBB6_10880:                            ;   in Loop: Header=BB6_10271 Depth=2
	s_or_b64 exec, exec, s[18:19]
	v_mul_f32_e32 v1, s94, v1
	v_and_b32_e32 v50, 0x7f800000, v1
	v_cmp_ne_u64_e32 vcc, s[46:47], v[50:51]
                                        ; implicit-def: $vgpr0
                                        ; kill: killed $vgpr0
	s_and_saveexec_b64 s[18:19], vcc
	s_xor_b64 s[78:79], exec, s[18:19]
	s_cbranch_execz .LBB6_10898
; %bb.10881:                            ;   in Loop: Header=BB6_10271 Depth=2
	v_and_b32_e32 v50, 0x7fffffff, v1
	v_cmp_gt_u64_e32 vcc, s[56:57], v[50:51]
	v_and_b32_sdwa v0, v1, s50 dst_sel:DWORD dst_unused:UNUSED_PAD src0_sel:BYTE_3 src1_sel:DWORD
                                        ; implicit-def: $vgpr2
                                        ; kill: killed $vgpr2
	s_and_saveexec_b64 s[18:19], vcc
	s_xor_b64 s[88:89], exec, s[18:19]
	s_cbranch_execz .LBB6_10895
; %bb.10882:                            ;   in Loop: Header=BB6_10271 Depth=2
	v_cmp_ne_u32_e32 vcc, 0, v1
	v_mov_b32_e32 v2, 0
	buffer_store_dword v2, off, s[0:3], s33 offset:132 ; 4-byte Folded Spill
	s_and_saveexec_b64 s[90:91], vcc
	s_cbranch_execz .LBB6_10894
; %bb.10883:                            ;   in Loop: Header=BB6_10271 Depth=2
	v_and_b32_e32 v3, 0x7fffff, v1
	v_bfe_u32 v1, v1, 23, 8
	v_cmp_gt_u32_e64 s[18:19], s51, v1
	v_sub_u32_e32 v2, 0x79, v1
	v_cmp_eq_u32_e32 vcc, 0, v1
	v_cndmask_b32_e64 v2, 0, v2, s[18:19]
	v_mov_b32_e32 v5, 0x78
	v_or_b32_e32 v4, 0x800000, v3
	v_cndmask_b32_e32 v2, v2, v5, vcc
	v_cndmask_b32_e32 v50, v4, v3, vcc
	v_add_u32_e32 v3, 20, v2
	v_lshlrev_b64 v[3:4], v3, -1
	v_add_u32_e32 v5, 19, v2
	v_lshlrev_b64 v[5:6], v5, 1
	v_lshrrev_b64 v[16:17], v2, v[50:51]
	v_bfi_b32 v4, v4, 0, 0
	v_bfi_b32 v3, v3, 0, v50
	v_cmp_eq_u64_e64 s[18:19], v[3:4], v[5:6]
	v_mov_b32_e32 v18, v17
	v_mov_b32_e32 v17, v16
	s_and_saveexec_b64 s[92:93], s[18:19]
; %bb.10884:                            ;   in Loop: Header=BB6_10271 Depth=2
	v_bfe_u32 v3, v16, 20, 1
	v_add_co_u32_e64 v3, s[18:19], v16, v3
	v_add_co_u32_e64 v17, s[18:19], -1, v3
; %bb.10885:                            ;   in Loop: Header=BB6_10271 Depth=2
	s_or_b64 exec, exec, s[92:93]
	v_add_u32_e32 v1, 0xffffff81, v1
	v_mov_b32_e32 v3, 0xffffff82
	v_cndmask_b32_e32 v1, v1, v3, vcc
	v_lshrrev_b32_e32 v3, 23, v16
	v_add3_u32 v3, v2, v1, v3
	v_add_u32_e32 v2, 6, v3
	v_and_b32_e32 v1, 0xfffff, v17
	v_add_u32_e32 v50, v1, v16
	v_cmp_ne_u32_e32 vcc, 0, v2
                                        ; implicit-def: $vgpr16_vgpr17
                                        ; implicit-def: $vgpr1
	s_and_saveexec_b64 s[18:19], vcc
	s_xor_b64 s[18:19], exec, s[18:19]
; %bb.10886:                            ;   in Loop: Header=BB6_10271 Depth=2
	v_cmp_lt_u64_e32 vcc, s[58:59], v[50:51]
	v_add_u32_e32 v1, 7, v3
	v_cndmask_b32_e32 v1, v2, v1, vcc
	v_cndmask_b32_e64 v2, 0, 1, vcc
	v_lshrrev_b64 v[16:17], v2, v[50:51]
; %bb.10887:                            ;   in Loop: Header=BB6_10271 Depth=2
	s_andn2_saveexec_b64 s[18:19], s[18:19]
; %bb.10888:                            ;   in Loop: Header=BB6_10271 Depth=2
	v_mov_b32_e32 v16, v50
	v_bfe_u32 v1, v50, 23, 1
	v_mov_b32_e32 v17, v51
; %bb.10889:                            ;   in Loop: Header=BB6_10271 Depth=2
	s_or_b64 exec, exec, s[18:19]
	v_lshrrev_b64 v[2:3], 20, v[16:17]
	v_cmp_gt_i32_e32 vcc, 16, v1
	v_cndmask_b32_e32 v17, 0, v3, vcc
	v_cndmask_b32_e32 v16, 7, v2, vcc
	v_cmp_ne_u64_e32 vcc, 0, v[16:17]
	v_cmp_ne_u32_e64 s[18:19], 0, v1
	s_or_b64 s[18:19], s[18:19], vcc
                                        ; implicit-def: $vgpr2
                                        ; kill: killed $vgpr2
	s_and_saveexec_b64 s[92:93], s[18:19]
	s_xor_b64 s[18:19], exec, s[92:93]
	s_cbranch_execz .LBB6_10891
; %bb.10890:                            ;   in Loop: Header=BB6_10271 Depth=2
	v_min_i32_e32 v1, 15, v1
	v_lshl_or_b32 v0, v1, 3, v0
	v_and_or_b32 v0, v16, 7, v0
	buffer_store_dword v0, off, s[0:3], s33 offset:132 ; 4-byte Folded Spill
                                        ; implicit-def: $vgpr0
.LBB6_10891:                            ;   in Loop: Header=BB6_10271 Depth=2
	s_andn2_saveexec_b64 s[18:19], s[18:19]
	s_cbranch_execz .LBB6_10893
; %bb.10892:                            ;   in Loop: Header=BB6_10271 Depth=2
	buffer_store_dword v0, off, s[0:3], s33 offset:132 ; 4-byte Folded Spill
.LBB6_10893:                            ;   in Loop: Header=BB6_10271 Depth=2
	s_or_b64 exec, exec, s[18:19]
.LBB6_10894:                            ;   in Loop: Header=BB6_10271 Depth=2
	s_or_b64 exec, exec, s[90:91]
                                        ; implicit-def: $vgpr0
.LBB6_10895:                            ;   in Loop: Header=BB6_10271 Depth=2
	s_andn2_saveexec_b64 s[18:19], s[88:89]
	s_cbranch_execz .LBB6_10897
; %bb.10896:                            ;   in Loop: Header=BB6_10271 Depth=2
	v_or_b32_e32 v0, 0x7e, v0
	buffer_store_dword v0, off, s[0:3], s33 offset:132 ; 4-byte Folded Spill
.LBB6_10897:                            ;   in Loop: Header=BB6_10271 Depth=2
	s_or_b64 exec, exec, s[18:19]
                                        ; implicit-def: $vgpr1
.LBB6_10898:                            ;   in Loop: Header=BB6_10271 Depth=2
	s_andn2_saveexec_b64 s[18:19], s[78:79]
	s_cbranch_execz .LBB6_10900
; %bb.10899:                            ;   in Loop: Header=BB6_10271 Depth=2
	v_or_b32_sdwa v0, v1, s39 dst_sel:DWORD dst_unused:UNUSED_PAD src0_sel:BYTE_3 src1_sel:DWORD
	buffer_store_dword v0, off, s[0:3], s33 offset:132 ; 4-byte Folded Spill
.LBB6_10900:                            ;   in Loop: Header=BB6_10271 Depth=2
	s_or_b64 exec, exec, s[18:19]
	flat_load_ubyte v0, v[10:11] offset:1536 glc slc
	v_mov_b32_e32 v1, 0
	s_waitcnt vmcnt(0) lgkmcnt(0)
	v_cmp_ne_u16_e32 vcc, 0, v0
	s_and_saveexec_b64 s[18:19], vcc
	s_cbranch_execz .LBB6_10906
; %bb.10901:                            ;   in Loop: Header=BB6_10271 Depth=2
	v_cmp_ne_u16_e32 vcc, s50, v0
	v_bfrev_b32_e32 v1, 1
	s_and_saveexec_b64 s[78:79], vcc
	s_cbranch_execz .LBB6_10905
; %bb.10902:                            ;   in Loop: Header=BB6_10271 Depth=2
	v_and_b32_e32 v16, 0xffff, v0
	v_and_b32_e32 v2, 0x7f, v16
	v_cmp_ne_u32_e32 vcc, s39, v2
	v_mov_b32_e32 v1, 0x7f800001
	s_and_saveexec_b64 s[88:89], vcc
	s_cbranch_execz .LBB6_10904
; %bb.10903:                            ;   in Loop: Header=BB6_10271 Depth=2
	v_and_b32_e32 v3, 7, v16
	v_ffbh_u32_e32 v1, v3
	v_min_u32_e32 v5, 32, v1
	v_subrev_u32_e32 v1, 28, v5
	v_lshrrev_b32_e32 v4, 3, v2
	v_cmp_gt_u32_e32 vcc, 8, v2
	v_lshlrev_b64 v[1:2], v1, v[16:17]
	v_sub_u32_e32 v2, 29, v5
	v_and_b32_e32 v1, 7, v1
	v_cndmask_b32_e32 v2, v4, v2, vcc
	v_cndmask_b32_e32 v1, v3, v1, vcc
	v_lshlrev_b32_e32 v0, 24, v0
	v_lshlrev_b32_e32 v1, 20, v1
	v_and_b32_e32 v0, 0x80000000, v0
	v_lshl_add_u32 v2, v2, 23, v62
	v_or3_b32 v1, v0, v2, v1
.LBB6_10904:                            ;   in Loop: Header=BB6_10271 Depth=2
	s_or_b64 exec, exec, s[88:89]
.LBB6_10905:                            ;   in Loop: Header=BB6_10271 Depth=2
	s_or_b64 exec, exec, s[78:79]
.LBB6_10906:                            ;   in Loop: Header=BB6_10271 Depth=2
	s_or_b64 exec, exec, s[18:19]
	v_mul_f32_e32 v1, s94, v1
	v_and_b32_e32 v50, 0x7f800000, v1
	v_cmp_ne_u64_e32 vcc, s[46:47], v[50:51]
                                        ; implicit-def: $vgpr0
                                        ; kill: killed $vgpr0
	s_and_saveexec_b64 s[18:19], vcc
	s_xor_b64 s[78:79], exec, s[18:19]
	s_cbranch_execz .LBB6_10924
; %bb.10907:                            ;   in Loop: Header=BB6_10271 Depth=2
	v_and_b32_e32 v50, 0x7fffffff, v1
	v_cmp_gt_u64_e32 vcc, s[56:57], v[50:51]
	v_and_b32_sdwa v0, v1, s50 dst_sel:DWORD dst_unused:UNUSED_PAD src0_sel:BYTE_3 src1_sel:DWORD
                                        ; implicit-def: $vgpr2
                                        ; kill: killed $vgpr2
	s_and_saveexec_b64 s[18:19], vcc
	s_xor_b64 s[88:89], exec, s[18:19]
	s_cbranch_execz .LBB6_10921
; %bb.10908:                            ;   in Loop: Header=BB6_10271 Depth=2
	v_cmp_ne_u32_e32 vcc, 0, v1
	v_mov_b32_e32 v2, 0
	buffer_store_dword v2, off, s[0:3], s33 offset:128 ; 4-byte Folded Spill
	s_and_saveexec_b64 s[90:91], vcc
	s_cbranch_execz .LBB6_10920
; %bb.10909:                            ;   in Loop: Header=BB6_10271 Depth=2
	v_and_b32_e32 v3, 0x7fffff, v1
	v_bfe_u32 v1, v1, 23, 8
	v_cmp_gt_u32_e64 s[18:19], s51, v1
	v_sub_u32_e32 v2, 0x79, v1
	v_cmp_eq_u32_e32 vcc, 0, v1
	v_cndmask_b32_e64 v2, 0, v2, s[18:19]
	v_mov_b32_e32 v5, 0x78
	v_or_b32_e32 v4, 0x800000, v3
	v_cndmask_b32_e32 v2, v2, v5, vcc
	v_cndmask_b32_e32 v50, v4, v3, vcc
	v_add_u32_e32 v3, 20, v2
	v_lshlrev_b64 v[3:4], v3, -1
	v_add_u32_e32 v5, 19, v2
	v_lshlrev_b64 v[5:6], v5, 1
	v_lshrrev_b64 v[16:17], v2, v[50:51]
	v_bfi_b32 v4, v4, 0, 0
	v_bfi_b32 v3, v3, 0, v50
	v_cmp_eq_u64_e64 s[18:19], v[3:4], v[5:6]
	v_mov_b32_e32 v18, v17
	v_mov_b32_e32 v17, v16
	s_and_saveexec_b64 s[92:93], s[18:19]
; %bb.10910:                            ;   in Loop: Header=BB6_10271 Depth=2
	v_bfe_u32 v3, v16, 20, 1
	v_add_co_u32_e64 v3, s[18:19], v16, v3
	v_add_co_u32_e64 v17, s[18:19], -1, v3
; %bb.10911:                            ;   in Loop: Header=BB6_10271 Depth=2
	s_or_b64 exec, exec, s[92:93]
	v_add_u32_e32 v1, 0xffffff81, v1
	v_mov_b32_e32 v3, 0xffffff82
	v_cndmask_b32_e32 v1, v1, v3, vcc
	v_lshrrev_b32_e32 v3, 23, v16
	v_add3_u32 v3, v2, v1, v3
	v_add_u32_e32 v2, 6, v3
	v_and_b32_e32 v1, 0xfffff, v17
	v_add_u32_e32 v50, v1, v16
	v_cmp_ne_u32_e32 vcc, 0, v2
                                        ; implicit-def: $vgpr16_vgpr17
                                        ; implicit-def: $vgpr1
	s_and_saveexec_b64 s[18:19], vcc
	s_xor_b64 s[18:19], exec, s[18:19]
; %bb.10912:                            ;   in Loop: Header=BB6_10271 Depth=2
	v_cmp_lt_u64_e32 vcc, s[58:59], v[50:51]
	v_add_u32_e32 v1, 7, v3
	v_cndmask_b32_e32 v1, v2, v1, vcc
	v_cndmask_b32_e64 v2, 0, 1, vcc
	v_lshrrev_b64 v[16:17], v2, v[50:51]
; %bb.10913:                            ;   in Loop: Header=BB6_10271 Depth=2
	s_andn2_saveexec_b64 s[18:19], s[18:19]
; %bb.10914:                            ;   in Loop: Header=BB6_10271 Depth=2
	v_mov_b32_e32 v16, v50
	v_bfe_u32 v1, v50, 23, 1
	v_mov_b32_e32 v17, v51
; %bb.10915:                            ;   in Loop: Header=BB6_10271 Depth=2
	s_or_b64 exec, exec, s[18:19]
	v_lshrrev_b64 v[2:3], 20, v[16:17]
	v_cmp_gt_i32_e32 vcc, 16, v1
	v_cndmask_b32_e32 v17, 0, v3, vcc
	v_cndmask_b32_e32 v16, 7, v2, vcc
	v_cmp_ne_u64_e32 vcc, 0, v[16:17]
	v_cmp_ne_u32_e64 s[18:19], 0, v1
	s_or_b64 s[18:19], s[18:19], vcc
                                        ; implicit-def: $vgpr2
                                        ; kill: killed $vgpr2
	s_and_saveexec_b64 s[92:93], s[18:19]
	s_xor_b64 s[18:19], exec, s[92:93]
	s_cbranch_execz .LBB6_10917
; %bb.10916:                            ;   in Loop: Header=BB6_10271 Depth=2
	v_min_i32_e32 v1, 15, v1
	v_lshl_or_b32 v0, v1, 3, v0
	v_and_or_b32 v0, v16, 7, v0
	buffer_store_dword v0, off, s[0:3], s33 offset:128 ; 4-byte Folded Spill
                                        ; implicit-def: $vgpr0
.LBB6_10917:                            ;   in Loop: Header=BB6_10271 Depth=2
	s_andn2_saveexec_b64 s[18:19], s[18:19]
	s_cbranch_execz .LBB6_10919
; %bb.10918:                            ;   in Loop: Header=BB6_10271 Depth=2
	buffer_store_dword v0, off, s[0:3], s33 offset:128 ; 4-byte Folded Spill
.LBB6_10919:                            ;   in Loop: Header=BB6_10271 Depth=2
	s_or_b64 exec, exec, s[18:19]
.LBB6_10920:                            ;   in Loop: Header=BB6_10271 Depth=2
	s_or_b64 exec, exec, s[90:91]
                                        ; implicit-def: $vgpr0
.LBB6_10921:                            ;   in Loop: Header=BB6_10271 Depth=2
	s_andn2_saveexec_b64 s[18:19], s[88:89]
	s_cbranch_execz .LBB6_10923
; %bb.10922:                            ;   in Loop: Header=BB6_10271 Depth=2
	v_or_b32_e32 v0, 0x7e, v0
	buffer_store_dword v0, off, s[0:3], s33 offset:128 ; 4-byte Folded Spill
.LBB6_10923:                            ;   in Loop: Header=BB6_10271 Depth=2
	s_or_b64 exec, exec, s[18:19]
                                        ; implicit-def: $vgpr1
.LBB6_10924:                            ;   in Loop: Header=BB6_10271 Depth=2
	s_andn2_saveexec_b64 s[18:19], s[78:79]
	s_cbranch_execz .LBB6_10926
; %bb.10925:                            ;   in Loop: Header=BB6_10271 Depth=2
	v_or_b32_sdwa v0, v1, s39 dst_sel:DWORD dst_unused:UNUSED_PAD src0_sel:BYTE_3 src1_sel:DWORD
	buffer_store_dword v0, off, s[0:3], s33 offset:128 ; 4-byte Folded Spill
.LBB6_10926:                            ;   in Loop: Header=BB6_10271 Depth=2
	s_or_b64 exec, exec, s[18:19]
	flat_load_ubyte v0, v[10:11] offset:1600 glc slc
	v_mov_b32_e32 v1, 0
	s_waitcnt vmcnt(0) lgkmcnt(0)
	v_cmp_ne_u16_e32 vcc, 0, v0
	s_and_saveexec_b64 s[18:19], vcc
	s_cbranch_execz .LBB6_10932
; %bb.10927:                            ;   in Loop: Header=BB6_10271 Depth=2
	v_cmp_ne_u16_e32 vcc, s50, v0
	v_bfrev_b32_e32 v1, 1
	s_and_saveexec_b64 s[78:79], vcc
	s_cbranch_execz .LBB6_10931
; %bb.10928:                            ;   in Loop: Header=BB6_10271 Depth=2
	v_and_b32_e32 v16, 0xffff, v0
	v_and_b32_e32 v2, 0x7f, v16
	v_cmp_ne_u32_e32 vcc, s39, v2
	v_mov_b32_e32 v1, 0x7f800001
	s_and_saveexec_b64 s[88:89], vcc
	s_cbranch_execz .LBB6_10930
; %bb.10929:                            ;   in Loop: Header=BB6_10271 Depth=2
	v_and_b32_e32 v3, 7, v16
	v_ffbh_u32_e32 v1, v3
	v_min_u32_e32 v5, 32, v1
	v_subrev_u32_e32 v1, 28, v5
	v_lshrrev_b32_e32 v4, 3, v2
	v_cmp_gt_u32_e32 vcc, 8, v2
	v_lshlrev_b64 v[1:2], v1, v[16:17]
	v_sub_u32_e32 v2, 29, v5
	v_and_b32_e32 v1, 7, v1
	v_cndmask_b32_e32 v2, v4, v2, vcc
	v_cndmask_b32_e32 v1, v3, v1, vcc
	v_lshlrev_b32_e32 v0, 24, v0
	v_lshlrev_b32_e32 v1, 20, v1
	v_and_b32_e32 v0, 0x80000000, v0
	v_lshl_add_u32 v2, v2, 23, v62
	v_or3_b32 v1, v0, v2, v1
.LBB6_10930:                            ;   in Loop: Header=BB6_10271 Depth=2
	s_or_b64 exec, exec, s[88:89]
.LBB6_10931:                            ;   in Loop: Header=BB6_10271 Depth=2
	s_or_b64 exec, exec, s[78:79]
.LBB6_10932:                            ;   in Loop: Header=BB6_10271 Depth=2
	s_or_b64 exec, exec, s[18:19]
	v_mul_f32_e32 v1, s94, v1
	v_and_b32_e32 v50, 0x7f800000, v1
	v_cmp_ne_u64_e32 vcc, s[46:47], v[50:51]
                                        ; implicit-def: $vgpr0
                                        ; kill: killed $vgpr0
	s_and_saveexec_b64 s[18:19], vcc
	s_xor_b64 s[78:79], exec, s[18:19]
	s_cbranch_execz .LBB6_10950
; %bb.10933:                            ;   in Loop: Header=BB6_10271 Depth=2
	v_and_b32_e32 v50, 0x7fffffff, v1
	v_cmp_gt_u64_e32 vcc, s[56:57], v[50:51]
	v_and_b32_sdwa v0, v1, s50 dst_sel:DWORD dst_unused:UNUSED_PAD src0_sel:BYTE_3 src1_sel:DWORD
                                        ; implicit-def: $vgpr2
                                        ; kill: killed $vgpr2
	s_and_saveexec_b64 s[18:19], vcc
	s_xor_b64 s[88:89], exec, s[18:19]
	s_cbranch_execz .LBB6_10947
; %bb.10934:                            ;   in Loop: Header=BB6_10271 Depth=2
	v_cmp_ne_u32_e32 vcc, 0, v1
	v_mov_b32_e32 v2, 0
	buffer_store_dword v2, off, s[0:3], s33 offset:124 ; 4-byte Folded Spill
	s_and_saveexec_b64 s[90:91], vcc
	s_cbranch_execz .LBB6_10946
; %bb.10935:                            ;   in Loop: Header=BB6_10271 Depth=2
	v_and_b32_e32 v3, 0x7fffff, v1
	v_bfe_u32 v1, v1, 23, 8
	v_cmp_gt_u32_e64 s[18:19], s51, v1
	v_sub_u32_e32 v2, 0x79, v1
	v_cmp_eq_u32_e32 vcc, 0, v1
	v_cndmask_b32_e64 v2, 0, v2, s[18:19]
	v_mov_b32_e32 v5, 0x78
	v_or_b32_e32 v4, 0x800000, v3
	v_cndmask_b32_e32 v2, v2, v5, vcc
	v_cndmask_b32_e32 v50, v4, v3, vcc
	v_add_u32_e32 v3, 20, v2
	v_lshlrev_b64 v[3:4], v3, -1
	v_add_u32_e32 v5, 19, v2
	v_lshlrev_b64 v[5:6], v5, 1
	v_lshrrev_b64 v[16:17], v2, v[50:51]
	v_bfi_b32 v4, v4, 0, 0
	v_bfi_b32 v3, v3, 0, v50
	v_cmp_eq_u64_e64 s[18:19], v[3:4], v[5:6]
	v_mov_b32_e32 v18, v17
	v_mov_b32_e32 v17, v16
	s_and_saveexec_b64 s[92:93], s[18:19]
; %bb.10936:                            ;   in Loop: Header=BB6_10271 Depth=2
	v_bfe_u32 v3, v16, 20, 1
	v_add_co_u32_e64 v3, s[18:19], v16, v3
	v_add_co_u32_e64 v17, s[18:19], -1, v3
; %bb.10937:                            ;   in Loop: Header=BB6_10271 Depth=2
	s_or_b64 exec, exec, s[92:93]
	v_add_u32_e32 v1, 0xffffff81, v1
	v_mov_b32_e32 v3, 0xffffff82
	v_cndmask_b32_e32 v1, v1, v3, vcc
	v_lshrrev_b32_e32 v3, 23, v16
	v_add3_u32 v3, v2, v1, v3
	v_add_u32_e32 v2, 6, v3
	v_and_b32_e32 v1, 0xfffff, v17
	v_add_u32_e32 v50, v1, v16
	v_cmp_ne_u32_e32 vcc, 0, v2
                                        ; implicit-def: $vgpr16_vgpr17
                                        ; implicit-def: $vgpr1
	s_and_saveexec_b64 s[18:19], vcc
	s_xor_b64 s[18:19], exec, s[18:19]
; %bb.10938:                            ;   in Loop: Header=BB6_10271 Depth=2
	v_cmp_lt_u64_e32 vcc, s[58:59], v[50:51]
	v_add_u32_e32 v1, 7, v3
	v_cndmask_b32_e32 v1, v2, v1, vcc
	v_cndmask_b32_e64 v2, 0, 1, vcc
	v_lshrrev_b64 v[16:17], v2, v[50:51]
; %bb.10939:                            ;   in Loop: Header=BB6_10271 Depth=2
	s_andn2_saveexec_b64 s[18:19], s[18:19]
; %bb.10940:                            ;   in Loop: Header=BB6_10271 Depth=2
	v_mov_b32_e32 v16, v50
	v_bfe_u32 v1, v50, 23, 1
	v_mov_b32_e32 v17, v51
; %bb.10941:                            ;   in Loop: Header=BB6_10271 Depth=2
	s_or_b64 exec, exec, s[18:19]
	v_lshrrev_b64 v[2:3], 20, v[16:17]
	v_cmp_gt_i32_e32 vcc, 16, v1
	v_cndmask_b32_e32 v17, 0, v3, vcc
	v_cndmask_b32_e32 v16, 7, v2, vcc
	v_cmp_ne_u64_e32 vcc, 0, v[16:17]
	v_cmp_ne_u32_e64 s[18:19], 0, v1
	s_or_b64 s[18:19], s[18:19], vcc
                                        ; implicit-def: $vgpr2
                                        ; kill: killed $vgpr2
	s_and_saveexec_b64 s[92:93], s[18:19]
	s_xor_b64 s[18:19], exec, s[92:93]
	s_cbranch_execz .LBB6_10943
; %bb.10942:                            ;   in Loop: Header=BB6_10271 Depth=2
	v_min_i32_e32 v1, 15, v1
	v_lshl_or_b32 v0, v1, 3, v0
	v_and_or_b32 v0, v16, 7, v0
	buffer_store_dword v0, off, s[0:3], s33 offset:124 ; 4-byte Folded Spill
                                        ; implicit-def: $vgpr0
.LBB6_10943:                            ;   in Loop: Header=BB6_10271 Depth=2
	s_andn2_saveexec_b64 s[18:19], s[18:19]
	s_cbranch_execz .LBB6_10945
; %bb.10944:                            ;   in Loop: Header=BB6_10271 Depth=2
	buffer_store_dword v0, off, s[0:3], s33 offset:124 ; 4-byte Folded Spill
.LBB6_10945:                            ;   in Loop: Header=BB6_10271 Depth=2
	s_or_b64 exec, exec, s[18:19]
.LBB6_10946:                            ;   in Loop: Header=BB6_10271 Depth=2
	s_or_b64 exec, exec, s[90:91]
                                        ; implicit-def: $vgpr0
.LBB6_10947:                            ;   in Loop: Header=BB6_10271 Depth=2
	s_andn2_saveexec_b64 s[18:19], s[88:89]
	s_cbranch_execz .LBB6_10949
; %bb.10948:                            ;   in Loop: Header=BB6_10271 Depth=2
	v_or_b32_e32 v0, 0x7e, v0
	buffer_store_dword v0, off, s[0:3], s33 offset:124 ; 4-byte Folded Spill
.LBB6_10949:                            ;   in Loop: Header=BB6_10271 Depth=2
	s_or_b64 exec, exec, s[18:19]
                                        ; implicit-def: $vgpr1
.LBB6_10950:                            ;   in Loop: Header=BB6_10271 Depth=2
	s_andn2_saveexec_b64 s[18:19], s[78:79]
	s_cbranch_execz .LBB6_10952
; %bb.10951:                            ;   in Loop: Header=BB6_10271 Depth=2
	v_or_b32_sdwa v0, v1, s39 dst_sel:DWORD dst_unused:UNUSED_PAD src0_sel:BYTE_3 src1_sel:DWORD
	buffer_store_dword v0, off, s[0:3], s33 offset:124 ; 4-byte Folded Spill
.LBB6_10952:                            ;   in Loop: Header=BB6_10271 Depth=2
	s_or_b64 exec, exec, s[18:19]
	flat_load_ubyte v0, v[10:11] offset:1664 glc slc
	v_mov_b32_e32 v1, 0
	s_waitcnt vmcnt(0) lgkmcnt(0)
	v_cmp_ne_u16_e32 vcc, 0, v0
	s_and_saveexec_b64 s[18:19], vcc
	s_cbranch_execz .LBB6_10958
; %bb.10953:                            ;   in Loop: Header=BB6_10271 Depth=2
	v_cmp_ne_u16_e32 vcc, s50, v0
	v_bfrev_b32_e32 v1, 1
	s_and_saveexec_b64 s[78:79], vcc
	s_cbranch_execz .LBB6_10957
; %bb.10954:                            ;   in Loop: Header=BB6_10271 Depth=2
	v_and_b32_e32 v16, 0xffff, v0
	v_and_b32_e32 v2, 0x7f, v16
	v_cmp_ne_u32_e32 vcc, s39, v2
	v_mov_b32_e32 v1, 0x7f800001
	s_and_saveexec_b64 s[88:89], vcc
	s_cbranch_execz .LBB6_10956
; %bb.10955:                            ;   in Loop: Header=BB6_10271 Depth=2
	v_and_b32_e32 v3, 7, v16
	v_ffbh_u32_e32 v1, v3
	v_min_u32_e32 v5, 32, v1
	v_subrev_u32_e32 v1, 28, v5
	v_lshrrev_b32_e32 v4, 3, v2
	v_cmp_gt_u32_e32 vcc, 8, v2
	v_lshlrev_b64 v[1:2], v1, v[16:17]
	v_sub_u32_e32 v2, 29, v5
	v_and_b32_e32 v1, 7, v1
	v_cndmask_b32_e32 v2, v4, v2, vcc
	v_cndmask_b32_e32 v1, v3, v1, vcc
	v_lshlrev_b32_e32 v0, 24, v0
	v_lshlrev_b32_e32 v1, 20, v1
	v_and_b32_e32 v0, 0x80000000, v0
	v_lshl_add_u32 v2, v2, 23, v62
	v_or3_b32 v1, v0, v2, v1
.LBB6_10956:                            ;   in Loop: Header=BB6_10271 Depth=2
	s_or_b64 exec, exec, s[88:89]
.LBB6_10957:                            ;   in Loop: Header=BB6_10271 Depth=2
	s_or_b64 exec, exec, s[78:79]
.LBB6_10958:                            ;   in Loop: Header=BB6_10271 Depth=2
	s_or_b64 exec, exec, s[18:19]
	v_mul_f32_e32 v1, s94, v1
	v_and_b32_e32 v50, 0x7f800000, v1
	v_cmp_ne_u64_e32 vcc, s[46:47], v[50:51]
                                        ; implicit-def: $vgpr0
                                        ; kill: killed $vgpr0
	s_and_saveexec_b64 s[18:19], vcc
	s_xor_b64 s[78:79], exec, s[18:19]
	s_cbranch_execz .LBB6_10976
; %bb.10959:                            ;   in Loop: Header=BB6_10271 Depth=2
	v_and_b32_e32 v50, 0x7fffffff, v1
	v_cmp_gt_u64_e32 vcc, s[56:57], v[50:51]
	v_and_b32_sdwa v0, v1, s50 dst_sel:DWORD dst_unused:UNUSED_PAD src0_sel:BYTE_3 src1_sel:DWORD
                                        ; implicit-def: $vgpr2
                                        ; kill: killed $vgpr2
	s_and_saveexec_b64 s[18:19], vcc
	s_xor_b64 s[88:89], exec, s[18:19]
	s_cbranch_execz .LBB6_10973
; %bb.10960:                            ;   in Loop: Header=BB6_10271 Depth=2
	v_cmp_ne_u32_e32 vcc, 0, v1
	v_mov_b32_e32 v2, 0
	buffer_store_dword v2, off, s[0:3], s33 offset:120 ; 4-byte Folded Spill
	s_and_saveexec_b64 s[90:91], vcc
	s_cbranch_execz .LBB6_10972
; %bb.10961:                            ;   in Loop: Header=BB6_10271 Depth=2
	v_and_b32_e32 v3, 0x7fffff, v1
	v_bfe_u32 v1, v1, 23, 8
	v_cmp_gt_u32_e64 s[18:19], s51, v1
	v_sub_u32_e32 v2, 0x79, v1
	v_cmp_eq_u32_e32 vcc, 0, v1
	v_cndmask_b32_e64 v2, 0, v2, s[18:19]
	v_mov_b32_e32 v5, 0x78
	v_or_b32_e32 v4, 0x800000, v3
	v_cndmask_b32_e32 v2, v2, v5, vcc
	v_cndmask_b32_e32 v50, v4, v3, vcc
	v_add_u32_e32 v3, 20, v2
	v_lshlrev_b64 v[3:4], v3, -1
	v_add_u32_e32 v5, 19, v2
	v_lshlrev_b64 v[5:6], v5, 1
	v_lshrrev_b64 v[16:17], v2, v[50:51]
	v_bfi_b32 v4, v4, 0, 0
	v_bfi_b32 v3, v3, 0, v50
	v_cmp_eq_u64_e64 s[18:19], v[3:4], v[5:6]
	v_mov_b32_e32 v18, v17
	v_mov_b32_e32 v17, v16
	s_and_saveexec_b64 s[92:93], s[18:19]
; %bb.10962:                            ;   in Loop: Header=BB6_10271 Depth=2
	v_bfe_u32 v3, v16, 20, 1
	v_add_co_u32_e64 v3, s[18:19], v16, v3
	v_add_co_u32_e64 v17, s[18:19], -1, v3
; %bb.10963:                            ;   in Loop: Header=BB6_10271 Depth=2
	s_or_b64 exec, exec, s[92:93]
	v_add_u32_e32 v1, 0xffffff81, v1
	v_mov_b32_e32 v3, 0xffffff82
	v_cndmask_b32_e32 v1, v1, v3, vcc
	v_lshrrev_b32_e32 v3, 23, v16
	v_add3_u32 v3, v2, v1, v3
	v_add_u32_e32 v2, 6, v3
	v_and_b32_e32 v1, 0xfffff, v17
	v_add_u32_e32 v50, v1, v16
	v_cmp_ne_u32_e32 vcc, 0, v2
                                        ; implicit-def: $vgpr16_vgpr17
                                        ; implicit-def: $vgpr1
	s_and_saveexec_b64 s[18:19], vcc
	s_xor_b64 s[18:19], exec, s[18:19]
; %bb.10964:                            ;   in Loop: Header=BB6_10271 Depth=2
	v_cmp_lt_u64_e32 vcc, s[58:59], v[50:51]
	v_add_u32_e32 v1, 7, v3
	v_cndmask_b32_e32 v1, v2, v1, vcc
	v_cndmask_b32_e64 v2, 0, 1, vcc
	v_lshrrev_b64 v[16:17], v2, v[50:51]
; %bb.10965:                            ;   in Loop: Header=BB6_10271 Depth=2
	s_andn2_saveexec_b64 s[18:19], s[18:19]
; %bb.10966:                            ;   in Loop: Header=BB6_10271 Depth=2
	v_mov_b32_e32 v16, v50
	v_bfe_u32 v1, v50, 23, 1
	v_mov_b32_e32 v17, v51
; %bb.10967:                            ;   in Loop: Header=BB6_10271 Depth=2
	s_or_b64 exec, exec, s[18:19]
	v_lshrrev_b64 v[2:3], 20, v[16:17]
	v_cmp_gt_i32_e32 vcc, 16, v1
	v_cndmask_b32_e32 v17, 0, v3, vcc
	v_cndmask_b32_e32 v16, 7, v2, vcc
	v_cmp_ne_u64_e32 vcc, 0, v[16:17]
	v_cmp_ne_u32_e64 s[18:19], 0, v1
	s_or_b64 s[18:19], s[18:19], vcc
                                        ; implicit-def: $vgpr2
                                        ; kill: killed $vgpr2
	s_and_saveexec_b64 s[92:93], s[18:19]
	s_xor_b64 s[18:19], exec, s[92:93]
	s_cbranch_execz .LBB6_10969
; %bb.10968:                            ;   in Loop: Header=BB6_10271 Depth=2
	v_min_i32_e32 v1, 15, v1
	v_lshl_or_b32 v0, v1, 3, v0
	v_and_or_b32 v0, v16, 7, v0
	buffer_store_dword v0, off, s[0:3], s33 offset:120 ; 4-byte Folded Spill
                                        ; implicit-def: $vgpr0
.LBB6_10969:                            ;   in Loop: Header=BB6_10271 Depth=2
	s_andn2_saveexec_b64 s[18:19], s[18:19]
	s_cbranch_execz .LBB6_10971
; %bb.10970:                            ;   in Loop: Header=BB6_10271 Depth=2
	buffer_store_dword v0, off, s[0:3], s33 offset:120 ; 4-byte Folded Spill
.LBB6_10971:                            ;   in Loop: Header=BB6_10271 Depth=2
	s_or_b64 exec, exec, s[18:19]
.LBB6_10972:                            ;   in Loop: Header=BB6_10271 Depth=2
	s_or_b64 exec, exec, s[90:91]
                                        ; implicit-def: $vgpr0
.LBB6_10973:                            ;   in Loop: Header=BB6_10271 Depth=2
	s_andn2_saveexec_b64 s[18:19], s[88:89]
	s_cbranch_execz .LBB6_10975
; %bb.10974:                            ;   in Loop: Header=BB6_10271 Depth=2
	v_or_b32_e32 v0, 0x7e, v0
	buffer_store_dword v0, off, s[0:3], s33 offset:120 ; 4-byte Folded Spill
.LBB6_10975:                            ;   in Loop: Header=BB6_10271 Depth=2
	s_or_b64 exec, exec, s[18:19]
                                        ; implicit-def: $vgpr1
.LBB6_10976:                            ;   in Loop: Header=BB6_10271 Depth=2
	s_andn2_saveexec_b64 s[18:19], s[78:79]
	s_cbranch_execz .LBB6_10978
; %bb.10977:                            ;   in Loop: Header=BB6_10271 Depth=2
	v_or_b32_sdwa v0, v1, s39 dst_sel:DWORD dst_unused:UNUSED_PAD src0_sel:BYTE_3 src1_sel:DWORD
	buffer_store_dword v0, off, s[0:3], s33 offset:120 ; 4-byte Folded Spill
.LBB6_10978:                            ;   in Loop: Header=BB6_10271 Depth=2
	s_or_b64 exec, exec, s[18:19]
	flat_load_ubyte v0, v[10:11] offset:1728 glc slc
	v_mov_b32_e32 v1, 0
	s_waitcnt vmcnt(0) lgkmcnt(0)
	v_cmp_ne_u16_e32 vcc, 0, v0
	s_and_saveexec_b64 s[18:19], vcc
	s_cbranch_execz .LBB6_10984
; %bb.10979:                            ;   in Loop: Header=BB6_10271 Depth=2
	v_cmp_ne_u16_e32 vcc, s50, v0
	v_bfrev_b32_e32 v1, 1
	s_and_saveexec_b64 s[78:79], vcc
	s_cbranch_execz .LBB6_10983
; %bb.10980:                            ;   in Loop: Header=BB6_10271 Depth=2
	v_and_b32_e32 v16, 0xffff, v0
	v_and_b32_e32 v2, 0x7f, v16
	v_cmp_ne_u32_e32 vcc, s39, v2
	v_mov_b32_e32 v1, 0x7f800001
	s_and_saveexec_b64 s[88:89], vcc
	s_cbranch_execz .LBB6_10982
; %bb.10981:                            ;   in Loop: Header=BB6_10271 Depth=2
	v_and_b32_e32 v3, 7, v16
	v_ffbh_u32_e32 v1, v3
	v_min_u32_e32 v5, 32, v1
	v_subrev_u32_e32 v1, 28, v5
	v_lshrrev_b32_e32 v4, 3, v2
	v_cmp_gt_u32_e32 vcc, 8, v2
	v_lshlrev_b64 v[1:2], v1, v[16:17]
	v_sub_u32_e32 v2, 29, v5
	v_and_b32_e32 v1, 7, v1
	v_cndmask_b32_e32 v2, v4, v2, vcc
	v_cndmask_b32_e32 v1, v3, v1, vcc
	v_lshlrev_b32_e32 v0, 24, v0
	v_lshlrev_b32_e32 v1, 20, v1
	v_and_b32_e32 v0, 0x80000000, v0
	v_lshl_add_u32 v2, v2, 23, v62
	v_or3_b32 v1, v0, v2, v1
.LBB6_10982:                            ;   in Loop: Header=BB6_10271 Depth=2
	s_or_b64 exec, exec, s[88:89]
.LBB6_10983:                            ;   in Loop: Header=BB6_10271 Depth=2
	s_or_b64 exec, exec, s[78:79]
.LBB6_10984:                            ;   in Loop: Header=BB6_10271 Depth=2
	s_or_b64 exec, exec, s[18:19]
	v_mul_f32_e32 v1, s94, v1
	v_and_b32_e32 v50, 0x7f800000, v1
	v_cmp_ne_u64_e32 vcc, s[46:47], v[50:51]
                                        ; implicit-def: $vgpr0
                                        ; kill: killed $vgpr0
	s_and_saveexec_b64 s[18:19], vcc
	s_xor_b64 s[78:79], exec, s[18:19]
	s_cbranch_execz .LBB6_11002
; %bb.10985:                            ;   in Loop: Header=BB6_10271 Depth=2
	v_and_b32_e32 v50, 0x7fffffff, v1
	v_cmp_gt_u64_e32 vcc, s[56:57], v[50:51]
	v_and_b32_sdwa v0, v1, s50 dst_sel:DWORD dst_unused:UNUSED_PAD src0_sel:BYTE_3 src1_sel:DWORD
                                        ; implicit-def: $vgpr2
                                        ; kill: killed $vgpr2
	s_and_saveexec_b64 s[18:19], vcc
	s_xor_b64 s[88:89], exec, s[18:19]
	s_cbranch_execz .LBB6_10999
; %bb.10986:                            ;   in Loop: Header=BB6_10271 Depth=2
	v_cmp_ne_u32_e32 vcc, 0, v1
	v_mov_b32_e32 v2, 0
	buffer_store_dword v2, off, s[0:3], s33 offset:116 ; 4-byte Folded Spill
	s_and_saveexec_b64 s[90:91], vcc
	s_cbranch_execz .LBB6_10998
; %bb.10987:                            ;   in Loop: Header=BB6_10271 Depth=2
	v_and_b32_e32 v3, 0x7fffff, v1
	v_bfe_u32 v1, v1, 23, 8
	v_cmp_gt_u32_e64 s[18:19], s51, v1
	v_sub_u32_e32 v2, 0x79, v1
	v_cmp_eq_u32_e32 vcc, 0, v1
	v_cndmask_b32_e64 v2, 0, v2, s[18:19]
	v_mov_b32_e32 v5, 0x78
	v_or_b32_e32 v4, 0x800000, v3
	v_cndmask_b32_e32 v2, v2, v5, vcc
	v_cndmask_b32_e32 v50, v4, v3, vcc
	v_add_u32_e32 v3, 20, v2
	v_lshlrev_b64 v[3:4], v3, -1
	v_add_u32_e32 v5, 19, v2
	v_lshlrev_b64 v[5:6], v5, 1
	v_lshrrev_b64 v[16:17], v2, v[50:51]
	v_bfi_b32 v4, v4, 0, 0
	v_bfi_b32 v3, v3, 0, v50
	v_cmp_eq_u64_e64 s[18:19], v[3:4], v[5:6]
	v_mov_b32_e32 v18, v17
	v_mov_b32_e32 v17, v16
	s_and_saveexec_b64 s[92:93], s[18:19]
; %bb.10988:                            ;   in Loop: Header=BB6_10271 Depth=2
	v_bfe_u32 v3, v16, 20, 1
	v_add_co_u32_e64 v3, s[18:19], v16, v3
	v_add_co_u32_e64 v17, s[18:19], -1, v3
; %bb.10989:                            ;   in Loop: Header=BB6_10271 Depth=2
	s_or_b64 exec, exec, s[92:93]
	v_add_u32_e32 v1, 0xffffff81, v1
	v_mov_b32_e32 v3, 0xffffff82
	v_cndmask_b32_e32 v1, v1, v3, vcc
	v_lshrrev_b32_e32 v3, 23, v16
	v_add3_u32 v3, v2, v1, v3
	v_add_u32_e32 v2, 6, v3
	v_and_b32_e32 v1, 0xfffff, v17
	v_add_u32_e32 v50, v1, v16
	v_cmp_ne_u32_e32 vcc, 0, v2
                                        ; implicit-def: $vgpr16_vgpr17
                                        ; implicit-def: $vgpr1
	s_and_saveexec_b64 s[18:19], vcc
	s_xor_b64 s[18:19], exec, s[18:19]
; %bb.10990:                            ;   in Loop: Header=BB6_10271 Depth=2
	v_cmp_lt_u64_e32 vcc, s[58:59], v[50:51]
	v_add_u32_e32 v1, 7, v3
	v_cndmask_b32_e32 v1, v2, v1, vcc
	v_cndmask_b32_e64 v2, 0, 1, vcc
	v_lshrrev_b64 v[16:17], v2, v[50:51]
; %bb.10991:                            ;   in Loop: Header=BB6_10271 Depth=2
	s_andn2_saveexec_b64 s[18:19], s[18:19]
; %bb.10992:                            ;   in Loop: Header=BB6_10271 Depth=2
	v_mov_b32_e32 v16, v50
	v_bfe_u32 v1, v50, 23, 1
	v_mov_b32_e32 v17, v51
; %bb.10993:                            ;   in Loop: Header=BB6_10271 Depth=2
	s_or_b64 exec, exec, s[18:19]
	v_lshrrev_b64 v[2:3], 20, v[16:17]
	v_cmp_gt_i32_e32 vcc, 16, v1
	v_cndmask_b32_e32 v17, 0, v3, vcc
	v_cndmask_b32_e32 v16, 7, v2, vcc
	v_cmp_ne_u64_e32 vcc, 0, v[16:17]
	v_cmp_ne_u32_e64 s[18:19], 0, v1
	s_or_b64 s[18:19], s[18:19], vcc
                                        ; implicit-def: $vgpr2
                                        ; kill: killed $vgpr2
	s_and_saveexec_b64 s[92:93], s[18:19]
	s_xor_b64 s[18:19], exec, s[92:93]
	s_cbranch_execz .LBB6_10995
; %bb.10994:                            ;   in Loop: Header=BB6_10271 Depth=2
	v_min_i32_e32 v1, 15, v1
	v_lshl_or_b32 v0, v1, 3, v0
	v_and_or_b32 v0, v16, 7, v0
	buffer_store_dword v0, off, s[0:3], s33 offset:116 ; 4-byte Folded Spill
                                        ; implicit-def: $vgpr0
.LBB6_10995:                            ;   in Loop: Header=BB6_10271 Depth=2
	s_andn2_saveexec_b64 s[18:19], s[18:19]
	s_cbranch_execz .LBB6_10997
; %bb.10996:                            ;   in Loop: Header=BB6_10271 Depth=2
	buffer_store_dword v0, off, s[0:3], s33 offset:116 ; 4-byte Folded Spill
.LBB6_10997:                            ;   in Loop: Header=BB6_10271 Depth=2
	s_or_b64 exec, exec, s[18:19]
.LBB6_10998:                            ;   in Loop: Header=BB6_10271 Depth=2
	s_or_b64 exec, exec, s[90:91]
                                        ; implicit-def: $vgpr0
.LBB6_10999:                            ;   in Loop: Header=BB6_10271 Depth=2
	s_andn2_saveexec_b64 s[18:19], s[88:89]
	s_cbranch_execz .LBB6_11001
; %bb.11000:                            ;   in Loop: Header=BB6_10271 Depth=2
	v_or_b32_e32 v0, 0x7e, v0
	buffer_store_dword v0, off, s[0:3], s33 offset:116 ; 4-byte Folded Spill
.LBB6_11001:                            ;   in Loop: Header=BB6_10271 Depth=2
	s_or_b64 exec, exec, s[18:19]
                                        ; implicit-def: $vgpr1
.LBB6_11002:                            ;   in Loop: Header=BB6_10271 Depth=2
	s_andn2_saveexec_b64 s[18:19], s[78:79]
	s_cbranch_execz .LBB6_11004
; %bb.11003:                            ;   in Loop: Header=BB6_10271 Depth=2
	v_or_b32_sdwa v0, v1, s39 dst_sel:DWORD dst_unused:UNUSED_PAD src0_sel:BYTE_3 src1_sel:DWORD
	buffer_store_dword v0, off, s[0:3], s33 offset:116 ; 4-byte Folded Spill
.LBB6_11004:                            ;   in Loop: Header=BB6_10271 Depth=2
	s_or_b64 exec, exec, s[18:19]
	flat_load_ubyte v0, v[10:11] offset:1792 glc slc
	v_mov_b32_e32 v1, 0
	s_waitcnt vmcnt(0) lgkmcnt(0)
	v_cmp_ne_u16_e32 vcc, 0, v0
	s_and_saveexec_b64 s[18:19], vcc
	s_cbranch_execz .LBB6_11010
; %bb.11005:                            ;   in Loop: Header=BB6_10271 Depth=2
	v_cmp_ne_u16_e32 vcc, s50, v0
	v_bfrev_b32_e32 v1, 1
	s_and_saveexec_b64 s[78:79], vcc
	s_cbranch_execz .LBB6_11009
; %bb.11006:                            ;   in Loop: Header=BB6_10271 Depth=2
	v_and_b32_e32 v16, 0xffff, v0
	v_and_b32_e32 v2, 0x7f, v16
	v_cmp_ne_u32_e32 vcc, s39, v2
	v_mov_b32_e32 v1, 0x7f800001
	s_and_saveexec_b64 s[88:89], vcc
	s_cbranch_execz .LBB6_11008
; %bb.11007:                            ;   in Loop: Header=BB6_10271 Depth=2
	v_and_b32_e32 v3, 7, v16
	v_ffbh_u32_e32 v1, v3
	v_min_u32_e32 v5, 32, v1
	v_subrev_u32_e32 v1, 28, v5
	v_lshrrev_b32_e32 v4, 3, v2
	v_cmp_gt_u32_e32 vcc, 8, v2
	v_lshlrev_b64 v[1:2], v1, v[16:17]
	v_sub_u32_e32 v2, 29, v5
	v_and_b32_e32 v1, 7, v1
	v_cndmask_b32_e32 v2, v4, v2, vcc
	v_cndmask_b32_e32 v1, v3, v1, vcc
	v_lshlrev_b32_e32 v0, 24, v0
	v_lshlrev_b32_e32 v1, 20, v1
	v_and_b32_e32 v0, 0x80000000, v0
	v_lshl_add_u32 v2, v2, 23, v62
	v_or3_b32 v1, v0, v2, v1
.LBB6_11008:                            ;   in Loop: Header=BB6_10271 Depth=2
	s_or_b64 exec, exec, s[88:89]
.LBB6_11009:                            ;   in Loop: Header=BB6_10271 Depth=2
	s_or_b64 exec, exec, s[78:79]
.LBB6_11010:                            ;   in Loop: Header=BB6_10271 Depth=2
	s_or_b64 exec, exec, s[18:19]
	v_mul_f32_e32 v1, s94, v1
	v_and_b32_e32 v50, 0x7f800000, v1
	v_cmp_ne_u64_e32 vcc, s[46:47], v[50:51]
                                        ; implicit-def: $vgpr0
                                        ; kill: killed $vgpr0
	s_and_saveexec_b64 s[18:19], vcc
	s_xor_b64 s[78:79], exec, s[18:19]
	s_cbranch_execz .LBB6_11028
; %bb.11011:                            ;   in Loop: Header=BB6_10271 Depth=2
	v_and_b32_e32 v50, 0x7fffffff, v1
	v_cmp_gt_u64_e32 vcc, s[56:57], v[50:51]
	v_and_b32_sdwa v0, v1, s50 dst_sel:DWORD dst_unused:UNUSED_PAD src0_sel:BYTE_3 src1_sel:DWORD
                                        ; implicit-def: $vgpr2
                                        ; kill: killed $vgpr2
	s_and_saveexec_b64 s[18:19], vcc
	s_xor_b64 s[88:89], exec, s[18:19]
	s_cbranch_execz .LBB6_11025
; %bb.11012:                            ;   in Loop: Header=BB6_10271 Depth=2
	v_cmp_ne_u32_e32 vcc, 0, v1
	v_mov_b32_e32 v2, 0
	buffer_store_dword v2, off, s[0:3], s33 offset:112 ; 4-byte Folded Spill
	s_and_saveexec_b64 s[90:91], vcc
	s_cbranch_execz .LBB6_11024
; %bb.11013:                            ;   in Loop: Header=BB6_10271 Depth=2
	v_and_b32_e32 v3, 0x7fffff, v1
	v_bfe_u32 v1, v1, 23, 8
	v_cmp_gt_u32_e64 s[18:19], s51, v1
	v_sub_u32_e32 v2, 0x79, v1
	v_cmp_eq_u32_e32 vcc, 0, v1
	v_cndmask_b32_e64 v2, 0, v2, s[18:19]
	v_mov_b32_e32 v5, 0x78
	v_or_b32_e32 v4, 0x800000, v3
	v_cndmask_b32_e32 v2, v2, v5, vcc
	v_cndmask_b32_e32 v50, v4, v3, vcc
	v_add_u32_e32 v3, 20, v2
	v_lshlrev_b64 v[3:4], v3, -1
	v_add_u32_e32 v5, 19, v2
	v_lshlrev_b64 v[5:6], v5, 1
	v_lshrrev_b64 v[16:17], v2, v[50:51]
	v_bfi_b32 v4, v4, 0, 0
	v_bfi_b32 v3, v3, 0, v50
	v_cmp_eq_u64_e64 s[18:19], v[3:4], v[5:6]
	v_mov_b32_e32 v18, v17
	v_mov_b32_e32 v17, v16
	s_and_saveexec_b64 s[92:93], s[18:19]
; %bb.11014:                            ;   in Loop: Header=BB6_10271 Depth=2
	v_bfe_u32 v3, v16, 20, 1
	v_add_co_u32_e64 v3, s[18:19], v16, v3
	v_add_co_u32_e64 v17, s[18:19], -1, v3
; %bb.11015:                            ;   in Loop: Header=BB6_10271 Depth=2
	s_or_b64 exec, exec, s[92:93]
	v_add_u32_e32 v1, 0xffffff81, v1
	v_mov_b32_e32 v3, 0xffffff82
	v_cndmask_b32_e32 v1, v1, v3, vcc
	v_lshrrev_b32_e32 v3, 23, v16
	v_add3_u32 v3, v2, v1, v3
	v_add_u32_e32 v2, 6, v3
	v_and_b32_e32 v1, 0xfffff, v17
	v_add_u32_e32 v50, v1, v16
	v_cmp_ne_u32_e32 vcc, 0, v2
                                        ; implicit-def: $vgpr16_vgpr17
                                        ; implicit-def: $vgpr1
	s_and_saveexec_b64 s[18:19], vcc
	s_xor_b64 s[18:19], exec, s[18:19]
; %bb.11016:                            ;   in Loop: Header=BB6_10271 Depth=2
	v_cmp_lt_u64_e32 vcc, s[58:59], v[50:51]
	v_add_u32_e32 v1, 7, v3
	v_cndmask_b32_e32 v1, v2, v1, vcc
	v_cndmask_b32_e64 v2, 0, 1, vcc
	v_lshrrev_b64 v[16:17], v2, v[50:51]
; %bb.11017:                            ;   in Loop: Header=BB6_10271 Depth=2
	s_andn2_saveexec_b64 s[18:19], s[18:19]
; %bb.11018:                            ;   in Loop: Header=BB6_10271 Depth=2
	v_mov_b32_e32 v16, v50
	v_bfe_u32 v1, v50, 23, 1
	v_mov_b32_e32 v17, v51
; %bb.11019:                            ;   in Loop: Header=BB6_10271 Depth=2
	s_or_b64 exec, exec, s[18:19]
	v_lshrrev_b64 v[2:3], 20, v[16:17]
	v_cmp_gt_i32_e32 vcc, 16, v1
	v_cndmask_b32_e32 v17, 0, v3, vcc
	v_cndmask_b32_e32 v16, 7, v2, vcc
	v_cmp_ne_u64_e32 vcc, 0, v[16:17]
	v_cmp_ne_u32_e64 s[18:19], 0, v1
	s_or_b64 s[18:19], s[18:19], vcc
                                        ; implicit-def: $vgpr2
                                        ; kill: killed $vgpr2
	s_and_saveexec_b64 s[92:93], s[18:19]
	s_xor_b64 s[18:19], exec, s[92:93]
	s_cbranch_execz .LBB6_11021
; %bb.11020:                            ;   in Loop: Header=BB6_10271 Depth=2
	v_min_i32_e32 v1, 15, v1
	v_lshl_or_b32 v0, v1, 3, v0
	v_and_or_b32 v0, v16, 7, v0
	buffer_store_dword v0, off, s[0:3], s33 offset:112 ; 4-byte Folded Spill
                                        ; implicit-def: $vgpr0
.LBB6_11021:                            ;   in Loop: Header=BB6_10271 Depth=2
	s_andn2_saveexec_b64 s[18:19], s[18:19]
	s_cbranch_execz .LBB6_11023
; %bb.11022:                            ;   in Loop: Header=BB6_10271 Depth=2
	buffer_store_dword v0, off, s[0:3], s33 offset:112 ; 4-byte Folded Spill
.LBB6_11023:                            ;   in Loop: Header=BB6_10271 Depth=2
	s_or_b64 exec, exec, s[18:19]
.LBB6_11024:                            ;   in Loop: Header=BB6_10271 Depth=2
	s_or_b64 exec, exec, s[90:91]
                                        ; implicit-def: $vgpr0
.LBB6_11025:                            ;   in Loop: Header=BB6_10271 Depth=2
	s_andn2_saveexec_b64 s[18:19], s[88:89]
	s_cbranch_execz .LBB6_11027
; %bb.11026:                            ;   in Loop: Header=BB6_10271 Depth=2
	v_or_b32_e32 v0, 0x7e, v0
	buffer_store_dword v0, off, s[0:3], s33 offset:112 ; 4-byte Folded Spill
.LBB6_11027:                            ;   in Loop: Header=BB6_10271 Depth=2
	s_or_b64 exec, exec, s[18:19]
                                        ; implicit-def: $vgpr1
.LBB6_11028:                            ;   in Loop: Header=BB6_10271 Depth=2
	s_andn2_saveexec_b64 s[18:19], s[78:79]
	s_cbranch_execz .LBB6_11030
; %bb.11029:                            ;   in Loop: Header=BB6_10271 Depth=2
	v_or_b32_sdwa v0, v1, s39 dst_sel:DWORD dst_unused:UNUSED_PAD src0_sel:BYTE_3 src1_sel:DWORD
	buffer_store_dword v0, off, s[0:3], s33 offset:112 ; 4-byte Folded Spill
.LBB6_11030:                            ;   in Loop: Header=BB6_10271 Depth=2
	s_or_b64 exec, exec, s[18:19]
	flat_load_ubyte v0, v[10:11] offset:1856 glc slc
	v_mov_b32_e32 v1, 0
	s_waitcnt vmcnt(0) lgkmcnt(0)
	v_cmp_ne_u16_e32 vcc, 0, v0
	s_and_saveexec_b64 s[18:19], vcc
	s_cbranch_execz .LBB6_11036
; %bb.11031:                            ;   in Loop: Header=BB6_10271 Depth=2
	v_cmp_ne_u16_e32 vcc, s50, v0
	v_bfrev_b32_e32 v1, 1
	s_and_saveexec_b64 s[78:79], vcc
	s_cbranch_execz .LBB6_11035
; %bb.11032:                            ;   in Loop: Header=BB6_10271 Depth=2
	v_and_b32_e32 v16, 0xffff, v0
	v_and_b32_e32 v2, 0x7f, v16
	v_cmp_ne_u32_e32 vcc, s39, v2
	v_mov_b32_e32 v1, 0x7f800001
	s_and_saveexec_b64 s[88:89], vcc
	s_cbranch_execz .LBB6_11034
; %bb.11033:                            ;   in Loop: Header=BB6_10271 Depth=2
	v_and_b32_e32 v3, 7, v16
	v_ffbh_u32_e32 v1, v3
	v_min_u32_e32 v5, 32, v1
	v_subrev_u32_e32 v1, 28, v5
	v_lshrrev_b32_e32 v4, 3, v2
	v_cmp_gt_u32_e32 vcc, 8, v2
	v_lshlrev_b64 v[1:2], v1, v[16:17]
	v_sub_u32_e32 v2, 29, v5
	v_and_b32_e32 v1, 7, v1
	v_cndmask_b32_e32 v2, v4, v2, vcc
	v_cndmask_b32_e32 v1, v3, v1, vcc
	v_lshlrev_b32_e32 v0, 24, v0
	v_lshlrev_b32_e32 v1, 20, v1
	v_and_b32_e32 v0, 0x80000000, v0
	v_lshl_add_u32 v2, v2, 23, v62
	v_or3_b32 v1, v0, v2, v1
.LBB6_11034:                            ;   in Loop: Header=BB6_10271 Depth=2
	s_or_b64 exec, exec, s[88:89]
.LBB6_11035:                            ;   in Loop: Header=BB6_10271 Depth=2
	s_or_b64 exec, exec, s[78:79]
.LBB6_11036:                            ;   in Loop: Header=BB6_10271 Depth=2
	s_or_b64 exec, exec, s[18:19]
	v_mul_f32_e32 v1, s94, v1
	v_and_b32_e32 v50, 0x7f800000, v1
	v_cmp_ne_u64_e32 vcc, s[46:47], v[50:51]
                                        ; implicit-def: $vgpr0
                                        ; kill: killed $vgpr0
	s_and_saveexec_b64 s[18:19], vcc
	s_xor_b64 s[78:79], exec, s[18:19]
	s_cbranch_execz .LBB6_11054
; %bb.11037:                            ;   in Loop: Header=BB6_10271 Depth=2
	v_and_b32_e32 v50, 0x7fffffff, v1
	v_cmp_gt_u64_e32 vcc, s[56:57], v[50:51]
	v_and_b32_sdwa v0, v1, s50 dst_sel:DWORD dst_unused:UNUSED_PAD src0_sel:BYTE_3 src1_sel:DWORD
                                        ; implicit-def: $vgpr2
                                        ; kill: killed $vgpr2
	s_and_saveexec_b64 s[18:19], vcc
	s_xor_b64 s[88:89], exec, s[18:19]
	s_cbranch_execz .LBB6_11051
; %bb.11038:                            ;   in Loop: Header=BB6_10271 Depth=2
	v_cmp_ne_u32_e32 vcc, 0, v1
	v_mov_b32_e32 v2, 0
	buffer_store_dword v2, off, s[0:3], s33 offset:108 ; 4-byte Folded Spill
	s_and_saveexec_b64 s[90:91], vcc
	s_cbranch_execz .LBB6_11050
; %bb.11039:                            ;   in Loop: Header=BB6_10271 Depth=2
	v_and_b32_e32 v3, 0x7fffff, v1
	v_bfe_u32 v1, v1, 23, 8
	v_cmp_gt_u32_e64 s[18:19], s51, v1
	v_sub_u32_e32 v2, 0x79, v1
	v_cmp_eq_u32_e32 vcc, 0, v1
	v_cndmask_b32_e64 v2, 0, v2, s[18:19]
	v_mov_b32_e32 v5, 0x78
	v_or_b32_e32 v4, 0x800000, v3
	v_cndmask_b32_e32 v2, v2, v5, vcc
	v_cndmask_b32_e32 v50, v4, v3, vcc
	v_add_u32_e32 v3, 20, v2
	v_lshlrev_b64 v[3:4], v3, -1
	v_add_u32_e32 v5, 19, v2
	v_lshlrev_b64 v[5:6], v5, 1
	v_lshrrev_b64 v[16:17], v2, v[50:51]
	v_bfi_b32 v4, v4, 0, 0
	v_bfi_b32 v3, v3, 0, v50
	v_cmp_eq_u64_e64 s[18:19], v[3:4], v[5:6]
	v_mov_b32_e32 v18, v17
	v_mov_b32_e32 v17, v16
	s_and_saveexec_b64 s[92:93], s[18:19]
; %bb.11040:                            ;   in Loop: Header=BB6_10271 Depth=2
	v_bfe_u32 v3, v16, 20, 1
	v_add_co_u32_e64 v3, s[18:19], v16, v3
	v_add_co_u32_e64 v17, s[18:19], -1, v3
; %bb.11041:                            ;   in Loop: Header=BB6_10271 Depth=2
	s_or_b64 exec, exec, s[92:93]
	v_add_u32_e32 v1, 0xffffff81, v1
	v_mov_b32_e32 v3, 0xffffff82
	v_cndmask_b32_e32 v1, v1, v3, vcc
	v_lshrrev_b32_e32 v3, 23, v16
	v_add3_u32 v3, v2, v1, v3
	v_add_u32_e32 v2, 6, v3
	v_and_b32_e32 v1, 0xfffff, v17
	v_add_u32_e32 v50, v1, v16
	v_cmp_ne_u32_e32 vcc, 0, v2
                                        ; implicit-def: $vgpr16_vgpr17
                                        ; implicit-def: $vgpr1
	s_and_saveexec_b64 s[18:19], vcc
	s_xor_b64 s[18:19], exec, s[18:19]
; %bb.11042:                            ;   in Loop: Header=BB6_10271 Depth=2
	v_cmp_lt_u64_e32 vcc, s[58:59], v[50:51]
	v_add_u32_e32 v1, 7, v3
	v_cndmask_b32_e32 v1, v2, v1, vcc
	v_cndmask_b32_e64 v2, 0, 1, vcc
	v_lshrrev_b64 v[16:17], v2, v[50:51]
; %bb.11043:                            ;   in Loop: Header=BB6_10271 Depth=2
	s_andn2_saveexec_b64 s[18:19], s[18:19]
; %bb.11044:                            ;   in Loop: Header=BB6_10271 Depth=2
	v_mov_b32_e32 v16, v50
	v_bfe_u32 v1, v50, 23, 1
	v_mov_b32_e32 v17, v51
; %bb.11045:                            ;   in Loop: Header=BB6_10271 Depth=2
	s_or_b64 exec, exec, s[18:19]
	v_lshrrev_b64 v[2:3], 20, v[16:17]
	v_cmp_gt_i32_e32 vcc, 16, v1
	v_cndmask_b32_e32 v17, 0, v3, vcc
	v_cndmask_b32_e32 v16, 7, v2, vcc
	v_cmp_ne_u64_e32 vcc, 0, v[16:17]
	v_cmp_ne_u32_e64 s[18:19], 0, v1
	s_or_b64 s[18:19], s[18:19], vcc
                                        ; implicit-def: $vgpr2
                                        ; kill: killed $vgpr2
	s_and_saveexec_b64 s[92:93], s[18:19]
	s_xor_b64 s[18:19], exec, s[92:93]
	s_cbranch_execz .LBB6_11047
; %bb.11046:                            ;   in Loop: Header=BB6_10271 Depth=2
	v_min_i32_e32 v1, 15, v1
	v_lshl_or_b32 v0, v1, 3, v0
	v_and_or_b32 v0, v16, 7, v0
	buffer_store_dword v0, off, s[0:3], s33 offset:108 ; 4-byte Folded Spill
                                        ; implicit-def: $vgpr0
.LBB6_11047:                            ;   in Loop: Header=BB6_10271 Depth=2
	s_andn2_saveexec_b64 s[18:19], s[18:19]
	s_cbranch_execz .LBB6_11049
; %bb.11048:                            ;   in Loop: Header=BB6_10271 Depth=2
	buffer_store_dword v0, off, s[0:3], s33 offset:108 ; 4-byte Folded Spill
.LBB6_11049:                            ;   in Loop: Header=BB6_10271 Depth=2
	s_or_b64 exec, exec, s[18:19]
.LBB6_11050:                            ;   in Loop: Header=BB6_10271 Depth=2
	s_or_b64 exec, exec, s[90:91]
                                        ; implicit-def: $vgpr0
.LBB6_11051:                            ;   in Loop: Header=BB6_10271 Depth=2
	s_andn2_saveexec_b64 s[18:19], s[88:89]
	s_cbranch_execz .LBB6_11053
; %bb.11052:                            ;   in Loop: Header=BB6_10271 Depth=2
	v_or_b32_e32 v0, 0x7e, v0
	buffer_store_dword v0, off, s[0:3], s33 offset:108 ; 4-byte Folded Spill
.LBB6_11053:                            ;   in Loop: Header=BB6_10271 Depth=2
	s_or_b64 exec, exec, s[18:19]
                                        ; implicit-def: $vgpr1
.LBB6_11054:                            ;   in Loop: Header=BB6_10271 Depth=2
	s_andn2_saveexec_b64 s[18:19], s[78:79]
	s_cbranch_execz .LBB6_11056
; %bb.11055:                            ;   in Loop: Header=BB6_10271 Depth=2
	v_or_b32_sdwa v0, v1, s39 dst_sel:DWORD dst_unused:UNUSED_PAD src0_sel:BYTE_3 src1_sel:DWORD
	buffer_store_dword v0, off, s[0:3], s33 offset:108 ; 4-byte Folded Spill
.LBB6_11056:                            ;   in Loop: Header=BB6_10271 Depth=2
	s_or_b64 exec, exec, s[18:19]
	flat_load_ubyte v0, v[10:11] offset:1920 glc slc
	v_mov_b32_e32 v1, 0
	s_waitcnt vmcnt(0) lgkmcnt(0)
	v_cmp_ne_u16_e32 vcc, 0, v0
	s_and_saveexec_b64 s[18:19], vcc
	s_cbranch_execz .LBB6_11062
; %bb.11057:                            ;   in Loop: Header=BB6_10271 Depth=2
	v_cmp_ne_u16_e32 vcc, s50, v0
	v_bfrev_b32_e32 v1, 1
	s_and_saveexec_b64 s[78:79], vcc
	s_cbranch_execz .LBB6_11061
; %bb.11058:                            ;   in Loop: Header=BB6_10271 Depth=2
	v_and_b32_e32 v16, 0xffff, v0
	v_and_b32_e32 v2, 0x7f, v16
	v_cmp_ne_u32_e32 vcc, s39, v2
	v_mov_b32_e32 v1, 0x7f800001
	s_and_saveexec_b64 s[88:89], vcc
	s_cbranch_execz .LBB6_11060
; %bb.11059:                            ;   in Loop: Header=BB6_10271 Depth=2
	v_and_b32_e32 v3, 7, v16
	v_ffbh_u32_e32 v1, v3
	v_min_u32_e32 v5, 32, v1
	v_subrev_u32_e32 v1, 28, v5
	v_lshrrev_b32_e32 v4, 3, v2
	v_cmp_gt_u32_e32 vcc, 8, v2
	v_lshlrev_b64 v[1:2], v1, v[16:17]
	v_sub_u32_e32 v2, 29, v5
	v_and_b32_e32 v1, 7, v1
	v_cndmask_b32_e32 v2, v4, v2, vcc
	v_cndmask_b32_e32 v1, v3, v1, vcc
	v_lshlrev_b32_e32 v0, 24, v0
	v_lshlrev_b32_e32 v1, 20, v1
	v_and_b32_e32 v0, 0x80000000, v0
	v_lshl_add_u32 v2, v2, 23, v62
	v_or3_b32 v1, v0, v2, v1
.LBB6_11060:                            ;   in Loop: Header=BB6_10271 Depth=2
	s_or_b64 exec, exec, s[88:89]
.LBB6_11061:                            ;   in Loop: Header=BB6_10271 Depth=2
	s_or_b64 exec, exec, s[78:79]
.LBB6_11062:                            ;   in Loop: Header=BB6_10271 Depth=2
	s_or_b64 exec, exec, s[18:19]
	v_mul_f32_e32 v1, s94, v1
	v_and_b32_e32 v50, 0x7f800000, v1
	v_cmp_ne_u64_e32 vcc, s[46:47], v[50:51]
                                        ; implicit-def: $vgpr0
                                        ; kill: killed $vgpr0
	s_and_saveexec_b64 s[18:19], vcc
	s_xor_b64 s[78:79], exec, s[18:19]
	s_cbranch_execz .LBB6_11080
; %bb.11063:                            ;   in Loop: Header=BB6_10271 Depth=2
	v_and_b32_e32 v50, 0x7fffffff, v1
	v_cmp_gt_u64_e32 vcc, s[56:57], v[50:51]
	v_and_b32_sdwa v0, v1, s50 dst_sel:DWORD dst_unused:UNUSED_PAD src0_sel:BYTE_3 src1_sel:DWORD
                                        ; implicit-def: $vgpr2
                                        ; kill: killed $vgpr2
	s_and_saveexec_b64 s[18:19], vcc
	s_xor_b64 s[88:89], exec, s[18:19]
	s_cbranch_execz .LBB6_11077
; %bb.11064:                            ;   in Loop: Header=BB6_10271 Depth=2
	v_cmp_ne_u32_e32 vcc, 0, v1
	v_mov_b32_e32 v2, 0
	buffer_store_dword v2, off, s[0:3], s33 offset:104 ; 4-byte Folded Spill
	s_and_saveexec_b64 s[90:91], vcc
	s_cbranch_execz .LBB6_11076
; %bb.11065:                            ;   in Loop: Header=BB6_10271 Depth=2
	v_and_b32_e32 v3, 0x7fffff, v1
	v_bfe_u32 v1, v1, 23, 8
	v_cmp_gt_u32_e64 s[18:19], s51, v1
	v_sub_u32_e32 v2, 0x79, v1
	v_cmp_eq_u32_e32 vcc, 0, v1
	v_cndmask_b32_e64 v2, 0, v2, s[18:19]
	v_mov_b32_e32 v5, 0x78
	v_or_b32_e32 v4, 0x800000, v3
	v_cndmask_b32_e32 v2, v2, v5, vcc
	v_cndmask_b32_e32 v50, v4, v3, vcc
	v_add_u32_e32 v3, 20, v2
	v_lshlrev_b64 v[3:4], v3, -1
	v_add_u32_e32 v5, 19, v2
	v_lshlrev_b64 v[5:6], v5, 1
	v_lshrrev_b64 v[16:17], v2, v[50:51]
	v_bfi_b32 v4, v4, 0, 0
	v_bfi_b32 v3, v3, 0, v50
	v_cmp_eq_u64_e64 s[18:19], v[3:4], v[5:6]
	v_mov_b32_e32 v18, v17
	v_mov_b32_e32 v17, v16
	s_and_saveexec_b64 s[92:93], s[18:19]
; %bb.11066:                            ;   in Loop: Header=BB6_10271 Depth=2
	v_bfe_u32 v3, v16, 20, 1
	v_add_co_u32_e64 v3, s[18:19], v16, v3
	v_add_co_u32_e64 v17, s[18:19], -1, v3
; %bb.11067:                            ;   in Loop: Header=BB6_10271 Depth=2
	s_or_b64 exec, exec, s[92:93]
	v_add_u32_e32 v1, 0xffffff81, v1
	v_mov_b32_e32 v3, 0xffffff82
	v_cndmask_b32_e32 v1, v1, v3, vcc
	v_lshrrev_b32_e32 v3, 23, v16
	v_add3_u32 v3, v2, v1, v3
	v_add_u32_e32 v2, 6, v3
	v_and_b32_e32 v1, 0xfffff, v17
	v_add_u32_e32 v50, v1, v16
	v_cmp_ne_u32_e32 vcc, 0, v2
                                        ; implicit-def: $vgpr16_vgpr17
                                        ; implicit-def: $vgpr1
	s_and_saveexec_b64 s[18:19], vcc
	s_xor_b64 s[18:19], exec, s[18:19]
; %bb.11068:                            ;   in Loop: Header=BB6_10271 Depth=2
	v_cmp_lt_u64_e32 vcc, s[58:59], v[50:51]
	v_add_u32_e32 v1, 7, v3
	v_cndmask_b32_e32 v1, v2, v1, vcc
	v_cndmask_b32_e64 v2, 0, 1, vcc
	v_lshrrev_b64 v[16:17], v2, v[50:51]
; %bb.11069:                            ;   in Loop: Header=BB6_10271 Depth=2
	s_andn2_saveexec_b64 s[18:19], s[18:19]
; %bb.11070:                            ;   in Loop: Header=BB6_10271 Depth=2
	v_mov_b32_e32 v16, v50
	v_bfe_u32 v1, v50, 23, 1
	v_mov_b32_e32 v17, v51
; %bb.11071:                            ;   in Loop: Header=BB6_10271 Depth=2
	s_or_b64 exec, exec, s[18:19]
	v_lshrrev_b64 v[2:3], 20, v[16:17]
	v_cmp_gt_i32_e32 vcc, 16, v1
	v_cndmask_b32_e32 v17, 0, v3, vcc
	v_cndmask_b32_e32 v16, 7, v2, vcc
	v_cmp_ne_u64_e32 vcc, 0, v[16:17]
	v_cmp_ne_u32_e64 s[18:19], 0, v1
	s_or_b64 s[18:19], s[18:19], vcc
                                        ; implicit-def: $vgpr2
                                        ; kill: killed $vgpr2
	s_and_saveexec_b64 s[92:93], s[18:19]
	s_xor_b64 s[18:19], exec, s[92:93]
	s_cbranch_execz .LBB6_11073
; %bb.11072:                            ;   in Loop: Header=BB6_10271 Depth=2
	v_min_i32_e32 v1, 15, v1
	v_lshl_or_b32 v0, v1, 3, v0
	v_and_or_b32 v0, v16, 7, v0
	buffer_store_dword v0, off, s[0:3], s33 offset:104 ; 4-byte Folded Spill
                                        ; implicit-def: $vgpr0
.LBB6_11073:                            ;   in Loop: Header=BB6_10271 Depth=2
	s_andn2_saveexec_b64 s[18:19], s[18:19]
	s_cbranch_execz .LBB6_11075
; %bb.11074:                            ;   in Loop: Header=BB6_10271 Depth=2
	buffer_store_dword v0, off, s[0:3], s33 offset:104 ; 4-byte Folded Spill
.LBB6_11075:                            ;   in Loop: Header=BB6_10271 Depth=2
	s_or_b64 exec, exec, s[18:19]
.LBB6_11076:                            ;   in Loop: Header=BB6_10271 Depth=2
	s_or_b64 exec, exec, s[90:91]
                                        ; implicit-def: $vgpr0
.LBB6_11077:                            ;   in Loop: Header=BB6_10271 Depth=2
	s_andn2_saveexec_b64 s[18:19], s[88:89]
	s_cbranch_execz .LBB6_11079
; %bb.11078:                            ;   in Loop: Header=BB6_10271 Depth=2
	v_or_b32_e32 v0, 0x7e, v0
	buffer_store_dword v0, off, s[0:3], s33 offset:104 ; 4-byte Folded Spill
.LBB6_11079:                            ;   in Loop: Header=BB6_10271 Depth=2
	s_or_b64 exec, exec, s[18:19]
                                        ; implicit-def: $vgpr1
.LBB6_11080:                            ;   in Loop: Header=BB6_10271 Depth=2
	s_andn2_saveexec_b64 s[18:19], s[78:79]
	s_cbranch_execz .LBB6_11082
; %bb.11081:                            ;   in Loop: Header=BB6_10271 Depth=2
	v_or_b32_sdwa v0, v1, s39 dst_sel:DWORD dst_unused:UNUSED_PAD src0_sel:BYTE_3 src1_sel:DWORD
	buffer_store_dword v0, off, s[0:3], s33 offset:104 ; 4-byte Folded Spill
.LBB6_11082:                            ;   in Loop: Header=BB6_10271 Depth=2
	s_or_b64 exec, exec, s[18:19]
	flat_load_ubyte v0, v[10:11] offset:1984 glc slc
	v_mov_b32_e32 v1, 0
	s_waitcnt vmcnt(0) lgkmcnt(0)
	v_cmp_ne_u16_e32 vcc, 0, v0
	s_and_saveexec_b64 s[18:19], vcc
	s_cbranch_execz .LBB6_11088
; %bb.11083:                            ;   in Loop: Header=BB6_10271 Depth=2
	v_cmp_ne_u16_e32 vcc, s50, v0
	v_bfrev_b32_e32 v1, 1
	s_and_saveexec_b64 s[78:79], vcc
	s_cbranch_execz .LBB6_11087
; %bb.11084:                            ;   in Loop: Header=BB6_10271 Depth=2
	v_and_b32_e32 v16, 0xffff, v0
	v_and_b32_e32 v2, 0x7f, v16
	v_cmp_ne_u32_e32 vcc, s39, v2
	v_mov_b32_e32 v1, 0x7f800001
	s_and_saveexec_b64 s[88:89], vcc
	s_cbranch_execz .LBB6_11086
; %bb.11085:                            ;   in Loop: Header=BB6_10271 Depth=2
	v_and_b32_e32 v3, 7, v16
	v_ffbh_u32_e32 v1, v3
	v_min_u32_e32 v5, 32, v1
	v_subrev_u32_e32 v1, 28, v5
	v_lshrrev_b32_e32 v4, 3, v2
	v_cmp_gt_u32_e32 vcc, 8, v2
	v_lshlrev_b64 v[1:2], v1, v[16:17]
	v_sub_u32_e32 v2, 29, v5
	v_and_b32_e32 v1, 7, v1
	v_cndmask_b32_e32 v2, v4, v2, vcc
	v_cndmask_b32_e32 v1, v3, v1, vcc
	v_lshlrev_b32_e32 v0, 24, v0
	v_lshlrev_b32_e32 v1, 20, v1
	v_and_b32_e32 v0, 0x80000000, v0
	v_lshl_add_u32 v2, v2, 23, v62
	v_or3_b32 v1, v0, v2, v1
.LBB6_11086:                            ;   in Loop: Header=BB6_10271 Depth=2
	s_or_b64 exec, exec, s[88:89]
.LBB6_11087:                            ;   in Loop: Header=BB6_10271 Depth=2
	s_or_b64 exec, exec, s[78:79]
.LBB6_11088:                            ;   in Loop: Header=BB6_10271 Depth=2
	s_or_b64 exec, exec, s[18:19]
	v_mul_f32_e32 v1, s94, v1
	v_and_b32_e32 v50, 0x7f800000, v1
	v_cmp_ne_u64_e32 vcc, s[46:47], v[50:51]
                                        ; implicit-def: $vgpr31
	s_and_saveexec_b64 s[18:19], vcc
	s_xor_b64 s[78:79], exec, s[18:19]
	s_cbranch_execz .LBB6_11106
; %bb.11089:                            ;   in Loop: Header=BB6_10271 Depth=2
	v_and_b32_e32 v50, 0x7fffffff, v1
	v_cmp_gt_u64_e32 vcc, s[56:57], v[50:51]
	v_and_b32_sdwa v0, v1, s50 dst_sel:DWORD dst_unused:UNUSED_PAD src0_sel:BYTE_3 src1_sel:DWORD
                                        ; implicit-def: $vgpr31
	s_and_saveexec_b64 s[18:19], vcc
	s_xor_b64 s[88:89], exec, s[18:19]
	s_cbranch_execz .LBB6_11103
; %bb.11090:                            ;   in Loop: Header=BB6_10271 Depth=2
	v_cmp_ne_u32_e32 vcc, 0, v1
	v_mov_b32_e32 v31, 0
	s_and_saveexec_b64 s[90:91], vcc
	s_cbranch_execz .LBB6_11102
; %bb.11091:                            ;   in Loop: Header=BB6_10271 Depth=2
	v_and_b32_e32 v3, 0x7fffff, v1
	v_bfe_u32 v1, v1, 23, 8
	v_cmp_gt_u32_e64 s[18:19], s51, v1
	v_sub_u32_e32 v2, 0x79, v1
	v_cmp_eq_u32_e32 vcc, 0, v1
	v_cndmask_b32_e64 v2, 0, v2, s[18:19]
	v_mov_b32_e32 v5, 0x78
	v_or_b32_e32 v4, 0x800000, v3
	v_cndmask_b32_e32 v2, v2, v5, vcc
	v_cndmask_b32_e32 v50, v4, v3, vcc
	v_add_u32_e32 v3, 20, v2
	v_lshlrev_b64 v[3:4], v3, -1
	v_add_u32_e32 v5, 19, v2
	v_lshlrev_b64 v[5:6], v5, 1
	v_lshrrev_b64 v[16:17], v2, v[50:51]
	v_bfi_b32 v4, v4, 0, 0
	v_bfi_b32 v3, v3, 0, v50
	v_cmp_eq_u64_e64 s[18:19], v[3:4], v[5:6]
	v_mov_b32_e32 v18, v17
	v_mov_b32_e32 v17, v16
	s_and_saveexec_b64 s[92:93], s[18:19]
; %bb.11092:                            ;   in Loop: Header=BB6_10271 Depth=2
	v_bfe_u32 v3, v16, 20, 1
	v_add_co_u32_e64 v3, s[18:19], v16, v3
	v_add_co_u32_e64 v17, s[18:19], -1, v3
; %bb.11093:                            ;   in Loop: Header=BB6_10271 Depth=2
	s_or_b64 exec, exec, s[92:93]
	v_add_u32_e32 v1, 0xffffff81, v1
	v_mov_b32_e32 v3, 0xffffff82
	v_cndmask_b32_e32 v1, v1, v3, vcc
	v_lshrrev_b32_e32 v3, 23, v16
	v_add3_u32 v3, v2, v1, v3
	v_add_u32_e32 v2, 6, v3
	v_and_b32_e32 v1, 0xfffff, v17
	v_add_u32_e32 v50, v1, v16
	v_cmp_ne_u32_e32 vcc, 0, v2
                                        ; implicit-def: $vgpr16_vgpr17
                                        ; implicit-def: $vgpr1
	s_and_saveexec_b64 s[18:19], vcc
	s_xor_b64 s[18:19], exec, s[18:19]
; %bb.11094:                            ;   in Loop: Header=BB6_10271 Depth=2
	v_cmp_lt_u64_e32 vcc, s[58:59], v[50:51]
	v_add_u32_e32 v1, 7, v3
	v_cndmask_b32_e32 v1, v2, v1, vcc
	v_cndmask_b32_e64 v2, 0, 1, vcc
	v_lshrrev_b64 v[16:17], v2, v[50:51]
; %bb.11095:                            ;   in Loop: Header=BB6_10271 Depth=2
	s_andn2_saveexec_b64 s[18:19], s[18:19]
; %bb.11096:                            ;   in Loop: Header=BB6_10271 Depth=2
	v_mov_b32_e32 v16, v50
	v_bfe_u32 v1, v50, 23, 1
	v_mov_b32_e32 v17, v51
; %bb.11097:                            ;   in Loop: Header=BB6_10271 Depth=2
	s_or_b64 exec, exec, s[18:19]
	v_lshrrev_b64 v[2:3], 20, v[16:17]
	v_cmp_gt_i32_e32 vcc, 16, v1
	v_cndmask_b32_e32 v17, 0, v3, vcc
	v_cndmask_b32_e32 v16, 7, v2, vcc
	v_cmp_ne_u64_e32 vcc, 0, v[16:17]
	v_cmp_ne_u32_e64 s[18:19], 0, v1
	s_or_b64 s[18:19], s[18:19], vcc
                                        ; implicit-def: $vgpr31
	s_and_saveexec_b64 s[92:93], s[18:19]
	s_xor_b64 s[18:19], exec, s[92:93]
; %bb.11098:                            ;   in Loop: Header=BB6_10271 Depth=2
	v_min_i32_e32 v1, 15, v1
	v_lshl_or_b32 v0, v1, 3, v0
	v_and_or_b32 v31, v16, 7, v0
                                        ; implicit-def: $vgpr0
; %bb.11099:                            ;   in Loop: Header=BB6_10271 Depth=2
	s_andn2_saveexec_b64 s[18:19], s[18:19]
; %bb.11100:                            ;   in Loop: Header=BB6_10271 Depth=2
	v_mov_b32_e32 v31, v0
; %bb.11101:                            ;   in Loop: Header=BB6_10271 Depth=2
	s_or_b64 exec, exec, s[18:19]
.LBB6_11102:                            ;   in Loop: Header=BB6_10271 Depth=2
	s_or_b64 exec, exec, s[90:91]
                                        ; implicit-def: $vgpr0
.LBB6_11103:                            ;   in Loop: Header=BB6_10271 Depth=2
	s_andn2_saveexec_b64 s[18:19], s[88:89]
; %bb.11104:                            ;   in Loop: Header=BB6_10271 Depth=2
	v_or_b32_e32 v31, 0x7e, v0
; %bb.11105:                            ;   in Loop: Header=BB6_10271 Depth=2
	s_or_b64 exec, exec, s[18:19]
                                        ; implicit-def: $vgpr1
.LBB6_11106:                            ;   in Loop: Header=BB6_10271 Depth=2
	s_andn2_saveexec_b64 s[18:19], s[78:79]
; %bb.11107:                            ;   in Loop: Header=BB6_10271 Depth=2
	v_or_b32_sdwa v31, v1, s39 dst_sel:DWORD dst_unused:UNUSED_PAD src0_sel:BYTE_3 src1_sel:DWORD
; %bb.11108:                            ;   in Loop: Header=BB6_10271 Depth=2
	s_or_b64 exec, exec, s[18:19]
	flat_load_ubyte v17, v[12:13] glc slc
	flat_load_ubyte v49, v[12:13] offset:64 glc slc
	flat_load_ubyte v27, v[12:13] offset:128 glc slc
	flat_load_ubyte v25, v[12:13] offset:192 glc slc
	flat_load_ubyte v23, v[12:13] offset:256 glc slc
	flat_load_ubyte v22, v[12:13] offset:320 glc slc
	flat_load_ubyte v21, v[12:13] offset:384 glc slc
	flat_load_ubyte v20, v[12:13] offset:448 glc slc
	flat_load_ubyte v19, v[12:13] offset:512 glc slc
	flat_load_ubyte v32, v[12:13] offset:576 glc slc
	flat_load_ubyte v8, v[12:13] offset:640 glc slc
	flat_load_ubyte v0, v[12:13] offset:704 glc slc
	flat_load_ubyte v24, v[12:13] offset:768 glc slc
	flat_load_ubyte v1, v[12:13] offset:832 glc slc
	flat_load_ubyte v2, v[12:13] offset:896 glc slc
	flat_load_ubyte v60, v[12:13] offset:960 glc slc
	flat_load_ubyte v53, v[12:13] offset:1024 glc slc
	flat_load_ubyte v52, v[12:13] offset:1088 glc slc
	flat_load_ubyte v4, v[12:13] offset:1152 glc slc
	flat_load_ubyte v5, v[12:13] offset:1216 glc slc
	flat_load_ubyte v3, v[12:13] offset:1280 glc slc
	flat_load_ubyte v6, v[12:13] offset:1344 glc slc
	flat_load_ubyte v61, v[12:13] offset:1408 glc slc
	flat_load_ubyte v59, v[12:13] offset:1472 glc slc
	flat_load_ubyte v58, v[12:13] offset:1536 glc slc
	flat_load_ubyte v57, v[12:13] offset:1600 glc slc
	flat_load_ubyte v56, v[12:13] offset:1664 glc slc
	flat_load_ubyte v45, v[12:13] offset:1728 glc slc
	flat_load_ubyte v16, v[12:13] offset:1792 glc slc
	v_mov_b32_e32 v18, 0
	v_mov_b32_e32 v50, 0
	flat_load_ubyte v30, v[12:13] offset:1984 glc slc
	s_waitcnt vmcnt(0) lgkmcnt(0)
	buffer_store_dword v16, off, s[0:3], s33 offset:172 ; 4-byte Folded Spill
	flat_load_ubyte v16, v[12:13] offset:1856 glc slc
	s_waitcnt vmcnt(0) lgkmcnt(0)
	buffer_store_dword v16, off, s[0:3], s33 offset:168 ; 4-byte Folded Spill
	;; [unrolled: 3-line block ×3, first 2 shown]
	v_and_b32_e32 v16, 0xff, v9
	v_cmp_ne_u16_e32 vcc, 0, v16
	s_and_saveexec_b64 s[18:19], vcc
	s_cbranch_execz .LBB6_11114
; %bb.11109:                            ;   in Loop: Header=BB6_10271 Depth=2
	v_cmp_ne_u16_e32 vcc, s50, v16
	v_bfrev_b32_e32 v50, 1
	s_and_saveexec_b64 s[78:79], vcc
	s_cbranch_execz .LBB6_11113
; %bb.11110:                            ;   in Loop: Header=BB6_10271 Depth=2
	v_and_b32_e32 v28, 0x7f, v9
	v_cmp_ne_u32_e32 vcc, s39, v28
	v_mov_b32_e32 v50, 0x7f800001
	s_and_saveexec_b64 s[88:89], vcc
	s_cbranch_execz .LBB6_11112
; %bb.11111:                            ;   in Loop: Header=BB6_10271 Depth=2
	v_mov_b32_e32 v35, v30
	v_and_b32_e32 v30, 7, v16
	v_mov_b32_e32 v34, v31
	v_lshrrev_b32_e32 v31, 3, v28
	v_cmp_gt_u32_e32 vcc, 8, v28
	v_ffbh_u32_e32 v28, v30
	v_min_u32_e32 v50, 32, v28
	v_subrev_u32_e32 v28, 28, v50
	v_lshlrev_b64 v[28:29], v28, v[16:17]
	v_sub_u32_e32 v16, 29, v50
	v_and_b32_e32 v28, 7, v28
	v_cndmask_b32_e32 v16, v31, v16, vcc
	v_cndmask_b32_e32 v28, v30, v28, vcc
	v_lshlrev_b32_e32 v9, 24, v9
	v_lshlrev_b32_e32 v28, 20, v28
	v_and_b32_e32 v9, 0x80000000, v9
	v_lshl_add_u32 v16, v16, 23, v62
	v_mov_b32_e32 v31, v34
	v_mov_b32_e32 v30, v35
	v_or3_b32 v50, v9, v16, v28
.LBB6_11112:                            ;   in Loop: Header=BB6_10271 Depth=2
	s_or_b64 exec, exec, s[88:89]
.LBB6_11113:                            ;   in Loop: Header=BB6_10271 Depth=2
	s_or_b64 exec, exec, s[78:79]
.LBB6_11114:                            ;   in Loop: Header=BB6_10271 Depth=2
	s_or_b64 exec, exec, s[18:19]
	v_and_b32_e32 v16, 0xff, v17
	v_cmp_ne_u16_e32 vcc, 0, v16
	s_and_saveexec_b64 s[18:19], vcc
	s_cbranch_execz .LBB6_11120
; %bb.11115:                            ;   in Loop: Header=BB6_10271 Depth=2
	v_cmp_ne_u16_e32 vcc, s50, v16
	v_bfrev_b32_e32 v18, 1
	s_and_saveexec_b64 s[78:79], vcc
	s_cbranch_execz .LBB6_11119
; %bb.11116:                            ;   in Loop: Header=BB6_10271 Depth=2
	v_and_b32_e32 v9, 0x7f, v17
	v_cmp_ne_u32_e32 vcc, s39, v9
	v_mov_b32_e32 v18, 0x7f800001
	s_and_saveexec_b64 s[88:89], vcc
	s_cbranch_execz .LBB6_11118
; %bb.11117:                            ;   in Loop: Header=BB6_10271 Depth=2
	v_and_b32_e32 v18, 7, v16
	v_mov_b32_e32 v34, v30
	v_lshrrev_b32_e32 v30, 3, v9
	v_cmp_gt_u32_e32 vcc, 8, v9
	v_ffbh_u32_e32 v9, v18
	v_min_u32_e32 v9, 32, v9
	v_subrev_u32_e32 v28, 28, v9
	v_lshlrev_b64 v[28:29], v28, v[16:17]
	v_sub_u32_e32 v9, 29, v9
	v_and_b32_e32 v16, 7, v28
	v_cndmask_b32_e32 v9, v30, v9, vcc
	v_cndmask_b32_e32 v16, v18, v16, vcc
	v_lshlrev_b32_e32 v17, 24, v17
	v_lshlrev_b32_e32 v16, 20, v16
	v_and_b32_e32 v17, 0x80000000, v17
	v_lshl_add_u32 v9, v9, 23, v62
	v_mov_b32_e32 v30, v34
	v_or3_b32 v18, v17, v9, v16
.LBB6_11118:                            ;   in Loop: Header=BB6_10271 Depth=2
	s_or_b64 exec, exec, s[88:89]
.LBB6_11119:                            ;   in Loop: Header=BB6_10271 Depth=2
	s_or_b64 exec, exec, s[78:79]
.LBB6_11120:                            ;   in Loop: Header=BB6_10271 Depth=2
	s_or_b64 exec, exec, s[18:19]
	v_add_f32_e32 v16, v50, v18
	v_and_b32_e32 v50, 0x7f800000, v16
	v_cmp_ne_u64_e32 vcc, s[46:47], v[50:51]
                                        ; implicit-def: $vgpr29
	s_and_saveexec_b64 s[18:19], vcc
	s_xor_b64 s[78:79], exec, s[18:19]
	s_cbranch_execz .LBB6_11138
; %bb.11121:                            ;   in Loop: Header=BB6_10271 Depth=2
	v_and_b32_e32 v50, 0x7fffffff, v16
	v_cmp_gt_u64_e32 vcc, s[56:57], v[50:51]
	v_and_b32_sdwa v9, v16, s50 dst_sel:DWORD dst_unused:UNUSED_PAD src0_sel:BYTE_3 src1_sel:DWORD
                                        ; implicit-def: $vgpr29
	s_and_saveexec_b64 s[18:19], vcc
	s_xor_b64 s[88:89], exec, s[18:19]
	s_cbranch_execz .LBB6_11135
; %bb.11122:                            ;   in Loop: Header=BB6_10271 Depth=2
	v_cmp_ne_u32_e32 vcc, 0, v16
	v_mov_b32_e32 v29, 0
	s_and_saveexec_b64 s[90:91], vcc
	s_cbranch_execz .LBB6_11134
; %bb.11123:                            ;   in Loop: Header=BB6_10271 Depth=2
	v_bfe_u32 v28, v16, 23, 8
	v_and_b32_e32 v17, 0x7fffff, v16
	v_cmp_gt_u32_e64 s[18:19], s51, v28
	v_sub_u32_e32 v16, 0x79, v28
	v_cmp_eq_u32_e32 vcc, 0, v28
	v_cndmask_b32_e64 v16, 0, v16, s[18:19]
	v_mov_b32_e32 v29, 0x78
	v_cndmask_b32_e32 v29, v16, v29, vcc
	v_or_b32_e32 v18, 0x800000, v17
	v_add_u32_e32 v16, 20, v29
	v_cndmask_b32_e32 v50, v18, v17, vcc
	v_lshlrev_b64 v[16:17], v16, -1
	v_add_u32_e32 v18, 19, v29
	v_mov_b32_e32 v35, v30
	v_mov_b32_e32 v34, v31
	v_lshlrev_b64 v[30:31], v18, 1
	v_bfi_b32 v17, v17, 0, 0
	v_bfi_b32 v16, v16, 0, v50
	v_cmp_eq_u64_e64 s[18:19], v[16:17], v[30:31]
	v_lshrrev_b64 v[16:17], v29, v[50:51]
	v_mov_b32_e32 v18, v17
	v_mov_b32_e32 v17, v16
	s_and_saveexec_b64 s[92:93], s[18:19]
; %bb.11124:                            ;   in Loop: Header=BB6_10271 Depth=2
	v_bfe_u32 v17, v16, 20, 1
	v_add_co_u32_e64 v17, s[18:19], v16, v17
	v_add_co_u32_e64 v17, s[18:19], -1, v17
; %bb.11125:                            ;   in Loop: Header=BB6_10271 Depth=2
	s_or_b64 exec, exec, s[92:93]
	v_add_u32_e32 v18, 0xffffff81, v28
	v_mov_b32_e32 v28, 0xffffff82
	v_cndmask_b32_e32 v18, v18, v28, vcc
	v_lshrrev_b32_e32 v28, 23, v16
	v_add3_u32 v29, v29, v18, v28
	v_add_u32_e32 v28, 6, v29
	v_and_b32_e32 v17, 0xfffff, v17
	v_add_u32_e32 v50, v17, v16
	v_cmp_ne_u32_e32 vcc, 0, v28
                                        ; implicit-def: $vgpr16_vgpr17
                                        ; implicit-def: $vgpr18
	s_and_saveexec_b64 s[18:19], vcc
	s_xor_b64 s[18:19], exec, s[18:19]
; %bb.11126:                            ;   in Loop: Header=BB6_10271 Depth=2
	v_cmp_lt_u64_e32 vcc, s[58:59], v[50:51]
	v_add_u32_e32 v16, 7, v29
	v_cndmask_b32_e32 v18, v28, v16, vcc
	v_cndmask_b32_e64 v16, 0, 1, vcc
	v_lshrrev_b64 v[16:17], v16, v[50:51]
; %bb.11127:                            ;   in Loop: Header=BB6_10271 Depth=2
	s_or_saveexec_b64 s[18:19], s[18:19]
	v_mov_b32_e32 v31, v34
	v_mov_b32_e32 v30, v35
	s_xor_b64 exec, exec, s[18:19]
; %bb.11128:                            ;   in Loop: Header=BB6_10271 Depth=2
	v_mov_b32_e32 v16, v50
	v_mov_b32_e32 v17, v51
	v_bfe_u32 v18, v50, 23, 1
; %bb.11129:                            ;   in Loop: Header=BB6_10271 Depth=2
	s_or_b64 exec, exec, s[18:19]
	v_lshrrev_b64 v[16:17], 20, v[16:17]
	v_cmp_gt_i32_e32 vcc, 16, v18
	v_cndmask_b32_e32 v17, 0, v17, vcc
	v_cndmask_b32_e32 v16, 7, v16, vcc
	v_cmp_ne_u64_e32 vcc, 0, v[16:17]
	v_cmp_ne_u32_e64 s[18:19], 0, v18
	s_or_b64 s[18:19], s[18:19], vcc
                                        ; implicit-def: $vgpr29
	s_and_saveexec_b64 s[92:93], s[18:19]
	s_xor_b64 s[18:19], exec, s[92:93]
; %bb.11130:                            ;   in Loop: Header=BB6_10271 Depth=2
	v_min_i32_e32 v17, 15, v18
	v_lshl_or_b32 v9, v17, 3, v9
	v_and_or_b32 v29, v16, 7, v9
                                        ; implicit-def: $vgpr9
; %bb.11131:                            ;   in Loop: Header=BB6_10271 Depth=2
	s_andn2_saveexec_b64 s[18:19], s[18:19]
; %bb.11132:                            ;   in Loop: Header=BB6_10271 Depth=2
	v_mov_b32_e32 v29, v9
; %bb.11133:                            ;   in Loop: Header=BB6_10271 Depth=2
	s_or_b64 exec, exec, s[18:19]
.LBB6_11134:                            ;   in Loop: Header=BB6_10271 Depth=2
	s_or_b64 exec, exec, s[90:91]
                                        ; implicit-def: $vgpr9
.LBB6_11135:                            ;   in Loop: Header=BB6_10271 Depth=2
	s_andn2_saveexec_b64 s[18:19], s[88:89]
; %bb.11136:                            ;   in Loop: Header=BB6_10271 Depth=2
	v_or_b32_e32 v29, 0x7e, v9
; %bb.11137:                            ;   in Loop: Header=BB6_10271 Depth=2
	s_or_b64 exec, exec, s[18:19]
                                        ; implicit-def: $vgpr16
.LBB6_11138:                            ;   in Loop: Header=BB6_10271 Depth=2
	s_andn2_saveexec_b64 s[18:19], s[78:79]
; %bb.11139:                            ;   in Loop: Header=BB6_10271 Depth=2
	v_or_b32_sdwa v29, v16, s39 dst_sel:DWORD dst_unused:UNUSED_PAD src0_sel:BYTE_3 src1_sel:DWORD
; %bb.11140:                            ;   in Loop: Header=BB6_10271 Depth=2
	s_or_b64 exec, exec, s[18:19]
	v_and_b32_e32 v16, 0xff, v26
	v_cmp_ne_u16_e32 vcc, 0, v16
	v_mov_b32_e32 v9, 0
	v_mov_b32_e32 v17, 0
	s_and_saveexec_b64 s[18:19], vcc
	s_cbranch_execz .LBB6_11146
; %bb.11141:                            ;   in Loop: Header=BB6_10271 Depth=2
	v_cmp_ne_u16_e32 vcc, s50, v16
	v_bfrev_b32_e32 v17, 1
	s_and_saveexec_b64 s[78:79], vcc
	s_cbranch_execz .LBB6_11145
; %bb.11142:                            ;   in Loop: Header=BB6_10271 Depth=2
	v_and_b32_e32 v18, 0x7f, v26
	v_cmp_ne_u32_e32 vcc, s39, v18
	v_mov_b32_e32 v17, 0x7f800001
	s_and_saveexec_b64 s[88:89], vcc
	s_cbranch_execz .LBB6_11144
; %bb.11143:                            ;   in Loop: Header=BB6_10271 Depth=2
	v_and_b32_e32 v28, 7, v16
	v_ffbh_u32_e32 v17, v28
	v_mov_b32_e32 v34, v29
	v_lshrrev_b32_e32 v29, 3, v18
	v_cmp_gt_u32_e32 vcc, 8, v18
	v_min_u32_e32 v18, 32, v17
	v_subrev_u32_e32 v17, 28, v18
	v_lshlrev_b64 v[16:17], v17, v[16:17]
	v_sub_u32_e32 v17, 29, v18
	v_and_b32_e32 v16, 7, v16
	v_cndmask_b32_e32 v17, v29, v17, vcc
	v_cndmask_b32_e32 v16, v28, v16, vcc
	v_lshlrev_b32_e32 v18, 24, v26
	v_lshlrev_b32_e32 v16, 20, v16
	v_and_b32_e32 v18, 0x80000000, v18
	v_lshl_add_u32 v17, v17, 23, v62
	v_mov_b32_e32 v29, v34
	v_or3_b32 v17, v18, v17, v16
.LBB6_11144:                            ;   in Loop: Header=BB6_10271 Depth=2
	s_or_b64 exec, exec, s[88:89]
.LBB6_11145:                            ;   in Loop: Header=BB6_10271 Depth=2
	s_or_b64 exec, exec, s[78:79]
.LBB6_11146:                            ;   in Loop: Header=BB6_10271 Depth=2
	s_or_b64 exec, exec, s[18:19]
	v_and_b32_e32 v16, 0xff, v49
	v_cmp_ne_u16_e32 vcc, 0, v16
	s_and_saveexec_b64 s[18:19], vcc
	s_cbranch_execz .LBB6_11152
; %bb.11147:                            ;   in Loop: Header=BB6_10271 Depth=2
	v_cmp_ne_u16_e32 vcc, s50, v16
	v_bfrev_b32_e32 v9, 1
	s_and_saveexec_b64 s[78:79], vcc
	s_cbranch_execz .LBB6_11151
; %bb.11148:                            ;   in Loop: Header=BB6_10271 Depth=2
	v_and_b32_e32 v18, 0x7f, v49
	v_cmp_ne_u32_e32 vcc, s39, v18
	v_mov_b32_e32 v9, 0x7f800001
	s_and_saveexec_b64 s[88:89], vcc
	s_cbranch_execz .LBB6_11150
; %bb.11149:                            ;   in Loop: Header=BB6_10271 Depth=2
	v_and_b32_e32 v9, 7, v16
	v_lshrrev_b32_e32 v26, 3, v18
	v_cmp_gt_u32_e32 vcc, 8, v18
	v_ffbh_u32_e32 v18, v9
	v_min_u32_e32 v18, 32, v18
	v_subrev_u32_e32 v28, 28, v18
	v_mov_b32_e32 v34, v29
	v_lshlrev_b64 v[28:29], v28, v[16:17]
	v_sub_u32_e32 v16, 29, v18
	v_and_b32_e32 v18, 7, v28
	v_cndmask_b32_e32 v16, v26, v16, vcc
	v_cndmask_b32_e32 v9, v9, v18, vcc
	v_lshlrev_b32_e32 v18, 24, v49
	v_lshlrev_b32_e32 v9, 20, v9
	v_and_b32_e32 v18, 0x80000000, v18
	v_lshl_add_u32 v16, v16, 23, v62
	v_mov_b32_e32 v29, v34
	v_or3_b32 v9, v18, v16, v9
.LBB6_11150:                            ;   in Loop: Header=BB6_10271 Depth=2
	s_or_b64 exec, exec, s[88:89]
.LBB6_11151:                            ;   in Loop: Header=BB6_10271 Depth=2
	s_or_b64 exec, exec, s[78:79]
.LBB6_11152:                            ;   in Loop: Header=BB6_10271 Depth=2
	s_or_b64 exec, exec, s[18:19]
	v_add_f32_e32 v16, v17, v9
	v_and_b32_e32 v50, 0x7f800000, v16
	v_cmp_ne_u64_e32 vcc, s[46:47], v[50:51]
                                        ; implicit-def: $vgpr26
	s_and_saveexec_b64 s[18:19], vcc
	s_xor_b64 s[78:79], exec, s[18:19]
	s_cbranch_execz .LBB6_11170
; %bb.11153:                            ;   in Loop: Header=BB6_10271 Depth=2
	v_and_b32_e32 v50, 0x7fffffff, v16
	v_cmp_gt_u64_e32 vcc, s[56:57], v[50:51]
	v_and_b32_sdwa v9, v16, s50 dst_sel:DWORD dst_unused:UNUSED_PAD src0_sel:BYTE_3 src1_sel:DWORD
                                        ; implicit-def: $vgpr26
	s_and_saveexec_b64 s[18:19], vcc
	s_xor_b64 s[88:89], exec, s[18:19]
	s_cbranch_execz .LBB6_11167
; %bb.11154:                            ;   in Loop: Header=BB6_10271 Depth=2
	v_cmp_ne_u32_e32 vcc, 0, v16
	v_mov_b32_e32 v26, 0
	s_and_saveexec_b64 s[90:91], vcc
	s_cbranch_execz .LBB6_11166
; %bb.11155:                            ;   in Loop: Header=BB6_10271 Depth=2
	v_bfe_u32 v26, v16, 23, 8
	v_and_b32_e32 v17, 0x7fffff, v16
	v_cmp_gt_u32_e64 s[18:19], s51, v26
	v_sub_u32_e32 v16, 0x79, v26
	v_cmp_eq_u32_e32 vcc, 0, v26
	v_cndmask_b32_e64 v16, 0, v16, s[18:19]
	v_mov_b32_e32 v28, 0x78
	v_cndmask_b32_e32 v28, v16, v28, vcc
	v_or_b32_e32 v18, 0x800000, v17
	v_add_u32_e32 v16, 20, v28
	v_cndmask_b32_e32 v50, v18, v17, vcc
	v_lshlrev_b64 v[16:17], v16, -1
	v_add_u32_e32 v18, 19, v28
	v_mov_b32_e32 v35, v29
	v_mov_b32_e32 v34, v30
	v_lshlrev_b64 v[29:30], v18, 1
	v_bfi_b32 v17, v17, 0, 0
	v_bfi_b32 v16, v16, 0, v50
	v_cmp_eq_u64_e64 s[18:19], v[16:17], v[29:30]
	v_lshrrev_b64 v[16:17], v28, v[50:51]
	v_mov_b32_e32 v18, v17
	v_mov_b32_e32 v17, v16
	s_and_saveexec_b64 s[92:93], s[18:19]
; %bb.11156:                            ;   in Loop: Header=BB6_10271 Depth=2
	v_bfe_u32 v17, v16, 20, 1
	v_add_co_u32_e64 v17, s[18:19], v16, v17
	v_add_co_u32_e64 v17, s[18:19], -1, v17
; %bb.11157:                            ;   in Loop: Header=BB6_10271 Depth=2
	s_or_b64 exec, exec, s[92:93]
	v_add_u32_e32 v18, 0xffffff81, v26
	v_mov_b32_e32 v26, 0xffffff82
	v_cndmask_b32_e32 v18, v18, v26, vcc
	v_lshrrev_b32_e32 v26, 23, v16
	v_add3_u32 v28, v28, v18, v26
	v_add_u32_e32 v26, 6, v28
	v_and_b32_e32 v17, 0xfffff, v17
	v_add_u32_e32 v50, v17, v16
	v_cmp_ne_u32_e32 vcc, 0, v26
                                        ; implicit-def: $vgpr16_vgpr17
                                        ; implicit-def: $vgpr18
	s_and_saveexec_b64 s[18:19], vcc
	s_xor_b64 s[18:19], exec, s[18:19]
; %bb.11158:                            ;   in Loop: Header=BB6_10271 Depth=2
	v_cmp_lt_u64_e32 vcc, s[58:59], v[50:51]
	v_add_u32_e32 v16, 7, v28
	v_cndmask_b32_e32 v18, v26, v16, vcc
	v_cndmask_b32_e64 v16, 0, 1, vcc
	v_lshrrev_b64 v[16:17], v16, v[50:51]
; %bb.11159:                            ;   in Loop: Header=BB6_10271 Depth=2
	s_or_saveexec_b64 s[18:19], s[18:19]
	v_mov_b32_e32 v30, v34
	v_mov_b32_e32 v29, v35
	s_xor_b64 exec, exec, s[18:19]
; %bb.11160:                            ;   in Loop: Header=BB6_10271 Depth=2
	v_mov_b32_e32 v16, v50
	v_mov_b32_e32 v17, v51
	v_bfe_u32 v18, v50, 23, 1
; %bb.11161:                            ;   in Loop: Header=BB6_10271 Depth=2
	s_or_b64 exec, exec, s[18:19]
	v_lshrrev_b64 v[16:17], 20, v[16:17]
	v_cmp_gt_i32_e32 vcc, 16, v18
	v_cndmask_b32_e32 v17, 0, v17, vcc
	v_cndmask_b32_e32 v16, 7, v16, vcc
	v_cmp_ne_u64_e32 vcc, 0, v[16:17]
	v_cmp_ne_u32_e64 s[18:19], 0, v18
	s_or_b64 s[18:19], s[18:19], vcc
                                        ; implicit-def: $vgpr26
	s_and_saveexec_b64 s[92:93], s[18:19]
	s_xor_b64 s[18:19], exec, s[92:93]
; %bb.11162:                            ;   in Loop: Header=BB6_10271 Depth=2
	v_min_i32_e32 v17, 15, v18
	v_lshl_or_b32 v9, v17, 3, v9
	v_and_or_b32 v26, v16, 7, v9
                                        ; implicit-def: $vgpr9
; %bb.11163:                            ;   in Loop: Header=BB6_10271 Depth=2
	s_andn2_saveexec_b64 s[18:19], s[18:19]
; %bb.11164:                            ;   in Loop: Header=BB6_10271 Depth=2
	v_mov_b32_e32 v26, v9
; %bb.11165:                            ;   in Loop: Header=BB6_10271 Depth=2
	s_or_b64 exec, exec, s[18:19]
.LBB6_11166:                            ;   in Loop: Header=BB6_10271 Depth=2
	s_or_b64 exec, exec, s[90:91]
                                        ; implicit-def: $vgpr9
.LBB6_11167:                            ;   in Loop: Header=BB6_10271 Depth=2
	s_andn2_saveexec_b64 s[18:19], s[88:89]
; %bb.11168:                            ;   in Loop: Header=BB6_10271 Depth=2
	v_or_b32_e32 v26, 0x7e, v9
; %bb.11169:                            ;   in Loop: Header=BB6_10271 Depth=2
	s_or_b64 exec, exec, s[18:19]
                                        ; implicit-def: $vgpr16
.LBB6_11170:                            ;   in Loop: Header=BB6_10271 Depth=2
	s_andn2_saveexec_b64 s[18:19], s[78:79]
; %bb.11171:                            ;   in Loop: Header=BB6_10271 Depth=2
	v_or_b32_sdwa v26, v16, s39 dst_sel:DWORD dst_unused:UNUSED_PAD src0_sel:BYTE_3 src1_sel:DWORD
; %bb.11172:                            ;   in Loop: Header=BB6_10271 Depth=2
	s_or_b64 exec, exec, s[18:19]
	v_and_b32_e32 v16, 0xff, v33
	v_cmp_ne_u16_e32 vcc, 0, v16
	v_mov_b32_e32 v9, 0
	v_mov_b32_e32 v17, 0
	s_and_saveexec_b64 s[18:19], vcc
	s_cbranch_execz .LBB6_11178
; %bb.11173:                            ;   in Loop: Header=BB6_10271 Depth=2
	v_cmp_ne_u16_e32 vcc, s50, v16
	v_bfrev_b32_e32 v17, 1
	s_and_saveexec_b64 s[78:79], vcc
	s_cbranch_execz .LBB6_11177
; %bb.11174:                            ;   in Loop: Header=BB6_10271 Depth=2
	v_and_b32_e32 v18, 0x7f, v33
	v_cmp_ne_u32_e32 vcc, s39, v18
	v_mov_b32_e32 v17, 0x7f800001
	s_and_saveexec_b64 s[88:89], vcc
	s_cbranch_execz .LBB6_11176
; %bb.11175:                            ;   in Loop: Header=BB6_10271 Depth=2
	v_and_b32_e32 v28, 7, v16
	v_ffbh_u32_e32 v17, v28
	v_mov_b32_e32 v34, v29
	v_lshrrev_b32_e32 v29, 3, v18
	v_cmp_gt_u32_e32 vcc, 8, v18
	v_min_u32_e32 v18, 32, v17
	v_subrev_u32_e32 v17, 28, v18
	v_lshlrev_b64 v[16:17], v17, v[16:17]
	v_sub_u32_e32 v17, 29, v18
	v_and_b32_e32 v16, 7, v16
	v_cndmask_b32_e32 v17, v29, v17, vcc
	v_cndmask_b32_e32 v16, v28, v16, vcc
	v_lshlrev_b32_e32 v18, 24, v33
	v_lshlrev_b32_e32 v16, 20, v16
	v_and_b32_e32 v18, 0x80000000, v18
	v_lshl_add_u32 v17, v17, 23, v62
	v_mov_b32_e32 v29, v34
	v_or3_b32 v17, v18, v17, v16
.LBB6_11176:                            ;   in Loop: Header=BB6_10271 Depth=2
	s_or_b64 exec, exec, s[88:89]
.LBB6_11177:                            ;   in Loop: Header=BB6_10271 Depth=2
	s_or_b64 exec, exec, s[78:79]
.LBB6_11178:                            ;   in Loop: Header=BB6_10271 Depth=2
	s_or_b64 exec, exec, s[18:19]
	v_and_b32_e32 v16, 0xff, v27
	v_cmp_ne_u16_e32 vcc, 0, v16
	s_and_saveexec_b64 s[18:19], vcc
	s_cbranch_execz .LBB6_11184
; %bb.11179:                            ;   in Loop: Header=BB6_10271 Depth=2
	v_cmp_ne_u16_e32 vcc, s50, v16
	v_bfrev_b32_e32 v9, 1
	s_and_saveexec_b64 s[78:79], vcc
	s_cbranch_execz .LBB6_11183
; %bb.11180:                            ;   in Loop: Header=BB6_10271 Depth=2
	v_and_b32_e32 v18, 0x7f, v27
	v_cmp_ne_u32_e32 vcc, s39, v18
	v_mov_b32_e32 v9, 0x7f800001
	s_and_saveexec_b64 s[88:89], vcc
	s_cbranch_execz .LBB6_11182
; %bb.11181:                            ;   in Loop: Header=BB6_10271 Depth=2
	v_and_b32_e32 v9, 7, v16
	v_mov_b32_e32 v33, v30
	v_lshrrev_b32_e32 v30, 3, v18
	v_cmp_gt_u32_e32 vcc, 8, v18
	v_ffbh_u32_e32 v18, v9
	v_min_u32_e32 v18, 32, v18
	v_subrev_u32_e32 v28, 28, v18
	v_mov_b32_e32 v34, v29
	v_lshlrev_b64 v[28:29], v28, v[16:17]
	v_sub_u32_e32 v16, 29, v18
	v_and_b32_e32 v18, 7, v28
	v_cndmask_b32_e32 v16, v30, v16, vcc
	v_cndmask_b32_e32 v9, v9, v18, vcc
	v_lshlrev_b32_e32 v18, 24, v27
	v_lshlrev_b32_e32 v9, 20, v9
	v_and_b32_e32 v18, 0x80000000, v18
	v_lshl_add_u32 v16, v16, 23, v62
	v_mov_b32_e32 v29, v34
	v_mov_b32_e32 v30, v33
	v_or3_b32 v9, v18, v16, v9
.LBB6_11182:                            ;   in Loop: Header=BB6_10271 Depth=2
	s_or_b64 exec, exec, s[88:89]
.LBB6_11183:                            ;   in Loop: Header=BB6_10271 Depth=2
	s_or_b64 exec, exec, s[78:79]
.LBB6_11184:                            ;   in Loop: Header=BB6_10271 Depth=2
	s_or_b64 exec, exec, s[18:19]
	v_add_f32_e32 v16, v17, v9
	v_and_b32_e32 v50, 0x7f800000, v16
	v_cmp_ne_u64_e32 vcc, s[46:47], v[50:51]
                                        ; implicit-def: $vgpr33
	s_and_saveexec_b64 s[18:19], vcc
	s_xor_b64 s[78:79], exec, s[18:19]
	s_cbranch_execz .LBB6_11202
; %bb.11185:                            ;   in Loop: Header=BB6_10271 Depth=2
	v_and_b32_e32 v50, 0x7fffffff, v16
	v_cmp_gt_u64_e32 vcc, s[56:57], v[50:51]
	v_and_b32_sdwa v9, v16, s50 dst_sel:DWORD dst_unused:UNUSED_PAD src0_sel:BYTE_3 src1_sel:DWORD
                                        ; implicit-def: $vgpr33
	s_and_saveexec_b64 s[18:19], vcc
	s_xor_b64 s[88:89], exec, s[18:19]
	s_cbranch_execz .LBB6_11199
; %bb.11186:                            ;   in Loop: Header=BB6_10271 Depth=2
	v_cmp_ne_u32_e32 vcc, 0, v16
	v_mov_b32_e32 v33, 0
	s_and_saveexec_b64 s[90:91], vcc
	s_cbranch_execz .LBB6_11198
; %bb.11187:                            ;   in Loop: Header=BB6_10271 Depth=2
	v_bfe_u32 v27, v16, 23, 8
	v_and_b32_e32 v17, 0x7fffff, v16
	v_cmp_gt_u32_e64 s[18:19], s51, v27
	v_sub_u32_e32 v16, 0x79, v27
	v_cmp_eq_u32_e32 vcc, 0, v27
	v_cndmask_b32_e64 v16, 0, v16, s[18:19]
	v_mov_b32_e32 v28, 0x78
	v_cndmask_b32_e32 v28, v16, v28, vcc
	v_or_b32_e32 v18, 0x800000, v17
	v_add_u32_e32 v16, 20, v28
	v_cndmask_b32_e32 v50, v18, v17, vcc
	v_lshlrev_b64 v[16:17], v16, -1
	v_add_u32_e32 v18, 19, v28
	v_mov_b32_e32 v34, v29
	v_mov_b32_e32 v33, v30
	v_lshlrev_b64 v[29:30], v18, 1
	v_bfi_b32 v17, v17, 0, 0
	v_bfi_b32 v16, v16, 0, v50
	v_cmp_eq_u64_e64 s[18:19], v[16:17], v[29:30]
	v_lshrrev_b64 v[16:17], v28, v[50:51]
	v_mov_b32_e32 v18, v17
	v_mov_b32_e32 v17, v16
	s_and_saveexec_b64 s[92:93], s[18:19]
; %bb.11188:                            ;   in Loop: Header=BB6_10271 Depth=2
	v_bfe_u32 v17, v16, 20, 1
	v_add_co_u32_e64 v17, s[18:19], v16, v17
	v_add_co_u32_e64 v17, s[18:19], -1, v17
; %bb.11189:                            ;   in Loop: Header=BB6_10271 Depth=2
	s_or_b64 exec, exec, s[92:93]
	v_add_u32_e32 v18, 0xffffff81, v27
	v_mov_b32_e32 v27, 0xffffff82
	v_cndmask_b32_e32 v18, v18, v27, vcc
	v_lshrrev_b32_e32 v27, 23, v16
	v_add3_u32 v28, v28, v18, v27
	v_add_u32_e32 v27, 6, v28
	v_and_b32_e32 v17, 0xfffff, v17
	v_add_u32_e32 v50, v17, v16
	v_cmp_ne_u32_e32 vcc, 0, v27
                                        ; implicit-def: $vgpr16_vgpr17
                                        ; implicit-def: $vgpr18
	s_and_saveexec_b64 s[18:19], vcc
	s_xor_b64 s[18:19], exec, s[18:19]
; %bb.11190:                            ;   in Loop: Header=BB6_10271 Depth=2
	v_cmp_lt_u64_e32 vcc, s[58:59], v[50:51]
	v_add_u32_e32 v16, 7, v28
	v_cndmask_b32_e32 v18, v27, v16, vcc
	v_cndmask_b32_e64 v16, 0, 1, vcc
	v_lshrrev_b64 v[16:17], v16, v[50:51]
; %bb.11191:                            ;   in Loop: Header=BB6_10271 Depth=2
	s_or_saveexec_b64 s[18:19], s[18:19]
	v_mov_b32_e32 v30, v33
	v_mov_b32_e32 v29, v34
	s_xor_b64 exec, exec, s[18:19]
; %bb.11192:                            ;   in Loop: Header=BB6_10271 Depth=2
	v_mov_b32_e32 v16, v50
	v_mov_b32_e32 v17, v51
	v_bfe_u32 v18, v50, 23, 1
; %bb.11193:                            ;   in Loop: Header=BB6_10271 Depth=2
	s_or_b64 exec, exec, s[18:19]
	v_lshrrev_b64 v[16:17], 20, v[16:17]
	v_cmp_gt_i32_e32 vcc, 16, v18
	v_cndmask_b32_e32 v17, 0, v17, vcc
	v_cndmask_b32_e32 v16, 7, v16, vcc
	v_cmp_ne_u64_e32 vcc, 0, v[16:17]
	v_cmp_ne_u32_e64 s[18:19], 0, v18
	s_or_b64 s[18:19], s[18:19], vcc
                                        ; implicit-def: $vgpr33
	s_and_saveexec_b64 s[92:93], s[18:19]
	s_xor_b64 s[18:19], exec, s[92:93]
; %bb.11194:                            ;   in Loop: Header=BB6_10271 Depth=2
	v_min_i32_e32 v17, 15, v18
	v_lshl_or_b32 v9, v17, 3, v9
	v_and_or_b32 v33, v16, 7, v9
                                        ; implicit-def: $vgpr9
; %bb.11195:                            ;   in Loop: Header=BB6_10271 Depth=2
	s_andn2_saveexec_b64 s[18:19], s[18:19]
; %bb.11196:                            ;   in Loop: Header=BB6_10271 Depth=2
	v_mov_b32_e32 v33, v9
; %bb.11197:                            ;   in Loop: Header=BB6_10271 Depth=2
	s_or_b64 exec, exec, s[18:19]
.LBB6_11198:                            ;   in Loop: Header=BB6_10271 Depth=2
	s_or_b64 exec, exec, s[90:91]
                                        ; implicit-def: $vgpr9
.LBB6_11199:                            ;   in Loop: Header=BB6_10271 Depth=2
	s_andn2_saveexec_b64 s[18:19], s[88:89]
; %bb.11200:                            ;   in Loop: Header=BB6_10271 Depth=2
	v_or_b32_e32 v33, 0x7e, v9
; %bb.11201:                            ;   in Loop: Header=BB6_10271 Depth=2
	s_or_b64 exec, exec, s[18:19]
                                        ; implicit-def: $vgpr16
.LBB6_11202:                            ;   in Loop: Header=BB6_10271 Depth=2
	s_andn2_saveexec_b64 s[18:19], s[78:79]
; %bb.11203:                            ;   in Loop: Header=BB6_10271 Depth=2
	v_or_b32_sdwa v33, v16, s39 dst_sel:DWORD dst_unused:UNUSED_PAD src0_sel:BYTE_3 src1_sel:DWORD
; %bb.11204:                            ;   in Loop: Header=BB6_10271 Depth=2
	s_or_b64 exec, exec, s[18:19]
	v_and_b32_e32 v16, 0xff, v39
	v_cmp_ne_u16_e32 vcc, 0, v16
	v_mov_b32_e32 v9, 0
	v_mov_b32_e32 v17, 0
	s_and_saveexec_b64 s[18:19], vcc
	s_cbranch_execz .LBB6_11210
; %bb.11205:                            ;   in Loop: Header=BB6_10271 Depth=2
	v_cmp_ne_u16_e32 vcc, s50, v16
	v_bfrev_b32_e32 v17, 1
	s_and_saveexec_b64 s[78:79], vcc
	s_cbranch_execz .LBB6_11209
; %bb.11206:                            ;   in Loop: Header=BB6_10271 Depth=2
	v_and_b32_e32 v18, 0x7f, v39
	v_cmp_ne_u32_e32 vcc, s39, v18
	v_mov_b32_e32 v17, 0x7f800001
	s_and_saveexec_b64 s[88:89], vcc
	s_cbranch_execz .LBB6_11208
; %bb.11207:                            ;   in Loop: Header=BB6_10271 Depth=2
	v_and_b32_e32 v27, 7, v16
	v_ffbh_u32_e32 v17, v27
	v_lshrrev_b32_e32 v28, 3, v18
	v_cmp_gt_u32_e32 vcc, 8, v18
	v_min_u32_e32 v18, 32, v17
	v_subrev_u32_e32 v17, 28, v18
	v_lshlrev_b64 v[16:17], v17, v[16:17]
	v_sub_u32_e32 v17, 29, v18
	v_and_b32_e32 v16, 7, v16
	v_cndmask_b32_e32 v17, v28, v17, vcc
	v_cndmask_b32_e32 v16, v27, v16, vcc
	v_lshlrev_b32_e32 v18, 24, v39
	v_lshlrev_b32_e32 v16, 20, v16
	v_and_b32_e32 v18, 0x80000000, v18
	v_lshl_add_u32 v17, v17, 23, v62
	v_or3_b32 v17, v18, v17, v16
.LBB6_11208:                            ;   in Loop: Header=BB6_10271 Depth=2
	s_or_b64 exec, exec, s[88:89]
.LBB6_11209:                            ;   in Loop: Header=BB6_10271 Depth=2
	s_or_b64 exec, exec, s[78:79]
.LBB6_11210:                            ;   in Loop: Header=BB6_10271 Depth=2
	s_or_b64 exec, exec, s[18:19]
	v_and_b32_e32 v16, 0xff, v25
	v_cmp_ne_u16_e32 vcc, 0, v16
	s_and_saveexec_b64 s[18:19], vcc
	s_cbranch_execz .LBB6_11216
; %bb.11211:                            ;   in Loop: Header=BB6_10271 Depth=2
	v_cmp_ne_u16_e32 vcc, s50, v16
	v_bfrev_b32_e32 v9, 1
	s_and_saveexec_b64 s[78:79], vcc
	s_cbranch_execz .LBB6_11215
; %bb.11212:                            ;   in Loop: Header=BB6_10271 Depth=2
	v_and_b32_e32 v18, 0x7f, v25
	v_cmp_ne_u32_e32 vcc, s39, v18
	v_mov_b32_e32 v9, 0x7f800001
	s_and_saveexec_b64 s[88:89], vcc
	s_cbranch_execz .LBB6_11214
; %bb.11213:                            ;   in Loop: Header=BB6_10271 Depth=2
	v_and_b32_e32 v9, 7, v16
	v_mov_b32_e32 v34, v29
	v_lshrrev_b32_e32 v29, 3, v18
	v_cmp_gt_u32_e32 vcc, 8, v18
	v_ffbh_u32_e32 v18, v9
	v_min_u32_e32 v18, 32, v18
	v_subrev_u32_e32 v27, 28, v18
	v_lshlrev_b64 v[27:28], v27, v[16:17]
	v_sub_u32_e32 v16, 29, v18
	v_and_b32_e32 v18, 7, v27
	v_cndmask_b32_e32 v16, v29, v16, vcc
	v_cndmask_b32_e32 v9, v9, v18, vcc
	v_lshlrev_b32_e32 v18, 24, v25
	v_lshlrev_b32_e32 v9, 20, v9
	v_and_b32_e32 v18, 0x80000000, v18
	v_lshl_add_u32 v16, v16, 23, v62
	v_mov_b32_e32 v29, v34
	v_or3_b32 v9, v18, v16, v9
.LBB6_11214:                            ;   in Loop: Header=BB6_10271 Depth=2
	s_or_b64 exec, exec, s[88:89]
.LBB6_11215:                            ;   in Loop: Header=BB6_10271 Depth=2
	s_or_b64 exec, exec, s[78:79]
.LBB6_11216:                            ;   in Loop: Header=BB6_10271 Depth=2
	s_or_b64 exec, exec, s[18:19]
	v_add_f32_e32 v16, v17, v9
	v_and_b32_e32 v50, 0x7f800000, v16
	v_cmp_ne_u64_e32 vcc, s[46:47], v[50:51]
                                        ; implicit-def: $vgpr39
	s_and_saveexec_b64 s[18:19], vcc
	s_xor_b64 s[78:79], exec, s[18:19]
	s_cbranch_execz .LBB6_11234
; %bb.11217:                            ;   in Loop: Header=BB6_10271 Depth=2
	v_and_b32_e32 v50, 0x7fffffff, v16
	v_cmp_gt_u64_e32 vcc, s[56:57], v[50:51]
	v_and_b32_sdwa v9, v16, s50 dst_sel:DWORD dst_unused:UNUSED_PAD src0_sel:BYTE_3 src1_sel:DWORD
                                        ; implicit-def: $vgpr39
	s_and_saveexec_b64 s[18:19], vcc
	s_xor_b64 s[88:89], exec, s[18:19]
	s_cbranch_execz .LBB6_11231
; %bb.11218:                            ;   in Loop: Header=BB6_10271 Depth=2
	v_cmp_ne_u32_e32 vcc, 0, v16
	v_mov_b32_e32 v39, 0
	s_and_saveexec_b64 s[90:91], vcc
	s_cbranch_execz .LBB6_11230
; %bb.11219:                            ;   in Loop: Header=BB6_10271 Depth=2
	v_bfe_u32 v25, v16, 23, 8
	v_and_b32_e32 v17, 0x7fffff, v16
	v_cmp_gt_u32_e64 s[18:19], s51, v25
	v_sub_u32_e32 v16, 0x79, v25
	v_cmp_eq_u32_e32 vcc, 0, v25
	v_cndmask_b32_e64 v16, 0, v16, s[18:19]
	v_mov_b32_e32 v27, 0x78
	v_cndmask_b32_e32 v27, v16, v27, vcc
	v_or_b32_e32 v18, 0x800000, v17
	v_add_u32_e32 v16, 20, v27
	v_cndmask_b32_e32 v50, v18, v17, vcc
	v_lshlrev_b64 v[16:17], v16, -1
	v_add_u32_e32 v18, 19, v27
	v_mov_b32_e32 v34, v29
	v_lshlrev_b64 v[28:29], v18, 1
	v_bfi_b32 v17, v17, 0, 0
	v_bfi_b32 v16, v16, 0, v50
	v_cmp_eq_u64_e64 s[18:19], v[16:17], v[28:29]
	v_lshrrev_b64 v[16:17], v27, v[50:51]
	v_mov_b32_e32 v18, v17
	v_mov_b32_e32 v17, v16
	s_and_saveexec_b64 s[92:93], s[18:19]
; %bb.11220:                            ;   in Loop: Header=BB6_10271 Depth=2
	v_bfe_u32 v17, v16, 20, 1
	v_add_co_u32_e64 v17, s[18:19], v16, v17
	v_add_co_u32_e64 v17, s[18:19], -1, v17
; %bb.11221:                            ;   in Loop: Header=BB6_10271 Depth=2
	s_or_b64 exec, exec, s[92:93]
	v_add_u32_e32 v18, 0xffffff81, v25
	v_mov_b32_e32 v25, 0xffffff82
	v_cndmask_b32_e32 v18, v18, v25, vcc
	v_lshrrev_b32_e32 v25, 23, v16
	v_add3_u32 v27, v27, v18, v25
	v_add_u32_e32 v25, 6, v27
	v_and_b32_e32 v17, 0xfffff, v17
	v_add_u32_e32 v50, v17, v16
	v_cmp_ne_u32_e32 vcc, 0, v25
                                        ; implicit-def: $vgpr16_vgpr17
                                        ; implicit-def: $vgpr18
	s_and_saveexec_b64 s[18:19], vcc
	s_xor_b64 s[18:19], exec, s[18:19]
; %bb.11222:                            ;   in Loop: Header=BB6_10271 Depth=2
	v_cmp_lt_u64_e32 vcc, s[58:59], v[50:51]
	v_add_u32_e32 v16, 7, v27
	v_cndmask_b32_e32 v18, v25, v16, vcc
	v_cndmask_b32_e64 v16, 0, 1, vcc
	v_lshrrev_b64 v[16:17], v16, v[50:51]
; %bb.11223:                            ;   in Loop: Header=BB6_10271 Depth=2
	s_or_saveexec_b64 s[18:19], s[18:19]
	v_mov_b32_e32 v29, v34
	s_xor_b64 exec, exec, s[18:19]
; %bb.11224:                            ;   in Loop: Header=BB6_10271 Depth=2
	v_mov_b32_e32 v16, v50
	v_mov_b32_e32 v17, v51
	v_bfe_u32 v18, v50, 23, 1
; %bb.11225:                            ;   in Loop: Header=BB6_10271 Depth=2
	s_or_b64 exec, exec, s[18:19]
	v_lshrrev_b64 v[16:17], 20, v[16:17]
	v_cmp_gt_i32_e32 vcc, 16, v18
	v_cndmask_b32_e32 v17, 0, v17, vcc
	v_cndmask_b32_e32 v16, 7, v16, vcc
	v_cmp_ne_u64_e32 vcc, 0, v[16:17]
	v_cmp_ne_u32_e64 s[18:19], 0, v18
	s_or_b64 s[18:19], s[18:19], vcc
                                        ; implicit-def: $vgpr39
	s_and_saveexec_b64 s[92:93], s[18:19]
	s_xor_b64 s[18:19], exec, s[92:93]
; %bb.11226:                            ;   in Loop: Header=BB6_10271 Depth=2
	v_min_i32_e32 v17, 15, v18
	v_lshl_or_b32 v9, v17, 3, v9
	v_and_or_b32 v39, v16, 7, v9
                                        ; implicit-def: $vgpr9
; %bb.11227:                            ;   in Loop: Header=BB6_10271 Depth=2
	s_andn2_saveexec_b64 s[18:19], s[18:19]
; %bb.11228:                            ;   in Loop: Header=BB6_10271 Depth=2
	v_mov_b32_e32 v39, v9
; %bb.11229:                            ;   in Loop: Header=BB6_10271 Depth=2
	s_or_b64 exec, exec, s[18:19]
.LBB6_11230:                            ;   in Loop: Header=BB6_10271 Depth=2
	s_or_b64 exec, exec, s[90:91]
                                        ; implicit-def: $vgpr9
.LBB6_11231:                            ;   in Loop: Header=BB6_10271 Depth=2
	s_andn2_saveexec_b64 s[18:19], s[88:89]
; %bb.11232:                            ;   in Loop: Header=BB6_10271 Depth=2
	v_or_b32_e32 v39, 0x7e, v9
; %bb.11233:                            ;   in Loop: Header=BB6_10271 Depth=2
	s_or_b64 exec, exec, s[18:19]
                                        ; implicit-def: $vgpr16
.LBB6_11234:                            ;   in Loop: Header=BB6_10271 Depth=2
	s_andn2_saveexec_b64 s[18:19], s[78:79]
; %bb.11235:                            ;   in Loop: Header=BB6_10271 Depth=2
	v_or_b32_sdwa v39, v16, s39 dst_sel:DWORD dst_unused:UNUSED_PAD src0_sel:BYTE_3 src1_sel:DWORD
; %bb.11236:                            ;   in Loop: Header=BB6_10271 Depth=2
	s_or_b64 exec, exec, s[18:19]
	v_and_b32_e32 v16, 0xff, v44
	v_cmp_ne_u16_e32 vcc, 0, v16
	v_mov_b32_e32 v9, 0
	v_mov_b32_e32 v17, 0
	s_and_saveexec_b64 s[18:19], vcc
	s_cbranch_execz .LBB6_11242
; %bb.11237:                            ;   in Loop: Header=BB6_10271 Depth=2
	v_cmp_ne_u16_e32 vcc, s50, v16
	v_bfrev_b32_e32 v17, 1
	s_and_saveexec_b64 s[78:79], vcc
	s_cbranch_execz .LBB6_11241
; %bb.11238:                            ;   in Loop: Header=BB6_10271 Depth=2
	v_and_b32_e32 v18, 0x7f, v44
	v_cmp_ne_u32_e32 vcc, s39, v18
	v_mov_b32_e32 v17, 0x7f800001
	s_and_saveexec_b64 s[88:89], vcc
	s_cbranch_execz .LBB6_11240
; %bb.11239:                            ;   in Loop: Header=BB6_10271 Depth=2
	v_and_b32_e32 v25, 7, v16
	v_ffbh_u32_e32 v17, v25
	v_lshrrev_b32_e32 v27, 3, v18
	v_cmp_gt_u32_e32 vcc, 8, v18
	v_min_u32_e32 v18, 32, v17
	v_subrev_u32_e32 v17, 28, v18
	v_lshlrev_b64 v[16:17], v17, v[16:17]
	v_sub_u32_e32 v17, 29, v18
	v_and_b32_e32 v16, 7, v16
	v_cndmask_b32_e32 v17, v27, v17, vcc
	v_cndmask_b32_e32 v16, v25, v16, vcc
	v_lshlrev_b32_e32 v18, 24, v44
	v_lshlrev_b32_e32 v16, 20, v16
	v_and_b32_e32 v18, 0x80000000, v18
	v_lshl_add_u32 v17, v17, 23, v62
	v_or3_b32 v17, v18, v17, v16
.LBB6_11240:                            ;   in Loop: Header=BB6_10271 Depth=2
	s_or_b64 exec, exec, s[88:89]
.LBB6_11241:                            ;   in Loop: Header=BB6_10271 Depth=2
	s_or_b64 exec, exec, s[78:79]
.LBB6_11242:                            ;   in Loop: Header=BB6_10271 Depth=2
	s_or_b64 exec, exec, s[18:19]
	v_and_b32_e32 v16, 0xff, v23
	v_cmp_ne_u16_e32 vcc, 0, v16
	s_and_saveexec_b64 s[18:19], vcc
	s_cbranch_execz .LBB6_11248
; %bb.11243:                            ;   in Loop: Header=BB6_10271 Depth=2
	v_cmp_ne_u16_e32 vcc, s50, v16
	v_bfrev_b32_e32 v9, 1
	s_and_saveexec_b64 s[78:79], vcc
	s_cbranch_execz .LBB6_11247
; %bb.11244:                            ;   in Loop: Header=BB6_10271 Depth=2
	v_and_b32_e32 v18, 0x7f, v23
	v_cmp_ne_u32_e32 vcc, s39, v18
	v_mov_b32_e32 v9, 0x7f800001
	s_and_saveexec_b64 s[88:89], vcc
	s_cbranch_execz .LBB6_11246
; %bb.11245:                            ;   in Loop: Header=BB6_10271 Depth=2
	v_and_b32_e32 v9, 7, v16
	v_lshrrev_b32_e32 v25, 3, v18
	v_cmp_gt_u32_e32 vcc, 8, v18
	v_ffbh_u32_e32 v18, v9
	v_min_u32_e32 v18, 32, v18
	v_subrev_u32_e32 v27, 28, v18
	v_lshlrev_b64 v[27:28], v27, v[16:17]
	v_sub_u32_e32 v16, 29, v18
	v_and_b32_e32 v18, 7, v27
	v_cndmask_b32_e32 v16, v25, v16, vcc
	v_cndmask_b32_e32 v9, v9, v18, vcc
	v_lshlrev_b32_e32 v18, 24, v23
	v_lshlrev_b32_e32 v9, 20, v9
	v_and_b32_e32 v18, 0x80000000, v18
	v_lshl_add_u32 v16, v16, 23, v62
	v_or3_b32 v9, v18, v16, v9
.LBB6_11246:                            ;   in Loop: Header=BB6_10271 Depth=2
	s_or_b64 exec, exec, s[88:89]
.LBB6_11247:                            ;   in Loop: Header=BB6_10271 Depth=2
	s_or_b64 exec, exec, s[78:79]
.LBB6_11248:                            ;   in Loop: Header=BB6_10271 Depth=2
	s_or_b64 exec, exec, s[18:19]
	v_add_f32_e32 v16, v17, v9
	v_and_b32_e32 v50, 0x7f800000, v16
	v_cmp_ne_u64_e32 vcc, s[46:47], v[50:51]
                                        ; implicit-def: $vgpr44
	s_and_saveexec_b64 s[18:19], vcc
	s_xor_b64 s[78:79], exec, s[18:19]
	s_cbranch_execz .LBB6_11266
; %bb.11249:                            ;   in Loop: Header=BB6_10271 Depth=2
	v_and_b32_e32 v50, 0x7fffffff, v16
	v_cmp_gt_u64_e32 vcc, s[56:57], v[50:51]
	v_and_b32_sdwa v9, v16, s50 dst_sel:DWORD dst_unused:UNUSED_PAD src0_sel:BYTE_3 src1_sel:DWORD
                                        ; implicit-def: $vgpr44
	s_and_saveexec_b64 s[18:19], vcc
	s_xor_b64 s[88:89], exec, s[18:19]
	s_cbranch_execz .LBB6_11263
; %bb.11250:                            ;   in Loop: Header=BB6_10271 Depth=2
	v_cmp_ne_u32_e32 vcc, 0, v16
	v_mov_b32_e32 v44, 0
	s_and_saveexec_b64 s[90:91], vcc
	s_cbranch_execz .LBB6_11262
; %bb.11251:                            ;   in Loop: Header=BB6_10271 Depth=2
	v_bfe_u32 v23, v16, 23, 8
	v_and_b32_e32 v17, 0x7fffff, v16
	v_cmp_gt_u32_e64 s[18:19], s51, v23
	v_sub_u32_e32 v16, 0x79, v23
	v_cmp_eq_u32_e32 vcc, 0, v23
	v_cndmask_b32_e64 v16, 0, v16, s[18:19]
	v_mov_b32_e32 v25, 0x78
	v_cndmask_b32_e32 v25, v16, v25, vcc
	v_or_b32_e32 v18, 0x800000, v17
	v_add_u32_e32 v16, 20, v25
	v_cndmask_b32_e32 v50, v18, v17, vcc
	v_lshlrev_b64 v[16:17], v16, -1
	v_add_u32_e32 v18, 19, v25
	v_lshlrev_b64 v[27:28], v18, 1
	v_bfi_b32 v17, v17, 0, 0
	v_bfi_b32 v16, v16, 0, v50
	v_cmp_eq_u64_e64 s[18:19], v[16:17], v[27:28]
	v_lshrrev_b64 v[16:17], v25, v[50:51]
	v_mov_b32_e32 v18, v17
	v_mov_b32_e32 v17, v16
	s_and_saveexec_b64 s[92:93], s[18:19]
; %bb.11252:                            ;   in Loop: Header=BB6_10271 Depth=2
	v_bfe_u32 v17, v16, 20, 1
	v_add_co_u32_e64 v17, s[18:19], v16, v17
	v_add_co_u32_e64 v17, s[18:19], -1, v17
; %bb.11253:                            ;   in Loop: Header=BB6_10271 Depth=2
	s_or_b64 exec, exec, s[92:93]
	v_add_u32_e32 v18, 0xffffff81, v23
	v_mov_b32_e32 v23, 0xffffff82
	v_cndmask_b32_e32 v18, v18, v23, vcc
	v_lshrrev_b32_e32 v23, 23, v16
	v_add3_u32 v25, v25, v18, v23
	v_add_u32_e32 v23, 6, v25
	v_and_b32_e32 v17, 0xfffff, v17
	v_add_u32_e32 v50, v17, v16
	v_cmp_ne_u32_e32 vcc, 0, v23
                                        ; implicit-def: $vgpr16_vgpr17
                                        ; implicit-def: $vgpr18
	s_and_saveexec_b64 s[18:19], vcc
	s_xor_b64 s[18:19], exec, s[18:19]
; %bb.11254:                            ;   in Loop: Header=BB6_10271 Depth=2
	v_cmp_lt_u64_e32 vcc, s[58:59], v[50:51]
	v_add_u32_e32 v16, 7, v25
	v_cndmask_b32_e32 v18, v23, v16, vcc
	v_cndmask_b32_e64 v16, 0, 1, vcc
	v_lshrrev_b64 v[16:17], v16, v[50:51]
; %bb.11255:                            ;   in Loop: Header=BB6_10271 Depth=2
	s_andn2_saveexec_b64 s[18:19], s[18:19]
; %bb.11256:                            ;   in Loop: Header=BB6_10271 Depth=2
	v_mov_b32_e32 v16, v50
	v_mov_b32_e32 v17, v51
	v_bfe_u32 v18, v50, 23, 1
; %bb.11257:                            ;   in Loop: Header=BB6_10271 Depth=2
	s_or_b64 exec, exec, s[18:19]
	v_lshrrev_b64 v[16:17], 20, v[16:17]
	v_cmp_gt_i32_e32 vcc, 16, v18
	v_cndmask_b32_e32 v17, 0, v17, vcc
	v_cndmask_b32_e32 v16, 7, v16, vcc
	v_cmp_ne_u64_e32 vcc, 0, v[16:17]
	v_cmp_ne_u32_e64 s[18:19], 0, v18
	s_or_b64 s[18:19], s[18:19], vcc
                                        ; implicit-def: $vgpr44
	s_and_saveexec_b64 s[92:93], s[18:19]
	s_xor_b64 s[18:19], exec, s[92:93]
; %bb.11258:                            ;   in Loop: Header=BB6_10271 Depth=2
	v_min_i32_e32 v17, 15, v18
	v_lshl_or_b32 v9, v17, 3, v9
	v_and_or_b32 v44, v16, 7, v9
                                        ; implicit-def: $vgpr9
; %bb.11259:                            ;   in Loop: Header=BB6_10271 Depth=2
	s_andn2_saveexec_b64 s[18:19], s[18:19]
; %bb.11260:                            ;   in Loop: Header=BB6_10271 Depth=2
	v_mov_b32_e32 v44, v9
; %bb.11261:                            ;   in Loop: Header=BB6_10271 Depth=2
	s_or_b64 exec, exec, s[18:19]
.LBB6_11262:                            ;   in Loop: Header=BB6_10271 Depth=2
	s_or_b64 exec, exec, s[90:91]
                                        ; implicit-def: $vgpr9
.LBB6_11263:                            ;   in Loop: Header=BB6_10271 Depth=2
	s_andn2_saveexec_b64 s[18:19], s[88:89]
; %bb.11264:                            ;   in Loop: Header=BB6_10271 Depth=2
	v_or_b32_e32 v44, 0x7e, v9
; %bb.11265:                            ;   in Loop: Header=BB6_10271 Depth=2
	s_or_b64 exec, exec, s[18:19]
                                        ; implicit-def: $vgpr16
.LBB6_11266:                            ;   in Loop: Header=BB6_10271 Depth=2
	s_andn2_saveexec_b64 s[18:19], s[78:79]
; %bb.11267:                            ;   in Loop: Header=BB6_10271 Depth=2
	v_or_b32_sdwa v44, v16, s39 dst_sel:DWORD dst_unused:UNUSED_PAD src0_sel:BYTE_3 src1_sel:DWORD
; %bb.11268:                            ;   in Loop: Header=BB6_10271 Depth=2
	s_or_b64 exec, exec, s[18:19]
	v_and_b32_e32 v16, 0xff, v47
	v_cmp_ne_u16_e32 vcc, 0, v16
	v_mov_b32_e32 v9, 0
	v_mov_b32_e32 v17, 0
	s_and_saveexec_b64 s[18:19], vcc
	s_cbranch_execz .LBB6_11274
; %bb.11269:                            ;   in Loop: Header=BB6_10271 Depth=2
	v_cmp_ne_u16_e32 vcc, s50, v16
	v_bfrev_b32_e32 v17, 1
	s_and_saveexec_b64 s[78:79], vcc
	s_cbranch_execz .LBB6_11273
; %bb.11270:                            ;   in Loop: Header=BB6_10271 Depth=2
	v_and_b32_e32 v18, 0x7f, v47
	v_cmp_ne_u32_e32 vcc, s39, v18
	v_mov_b32_e32 v17, 0x7f800001
	s_and_saveexec_b64 s[88:89], vcc
	s_cbranch_execz .LBB6_11272
; %bb.11271:                            ;   in Loop: Header=BB6_10271 Depth=2
	v_and_b32_e32 v23, 7, v16
	v_ffbh_u32_e32 v17, v23
	v_lshrrev_b32_e32 v25, 3, v18
	v_cmp_gt_u32_e32 vcc, 8, v18
	v_min_u32_e32 v18, 32, v17
	v_subrev_u32_e32 v17, 28, v18
	v_lshlrev_b64 v[16:17], v17, v[16:17]
	v_sub_u32_e32 v17, 29, v18
	v_and_b32_e32 v16, 7, v16
	v_cndmask_b32_e32 v17, v25, v17, vcc
	v_cndmask_b32_e32 v16, v23, v16, vcc
	v_lshlrev_b32_e32 v18, 24, v47
	v_lshlrev_b32_e32 v16, 20, v16
	v_and_b32_e32 v18, 0x80000000, v18
	v_lshl_add_u32 v17, v17, 23, v62
	v_or3_b32 v17, v18, v17, v16
.LBB6_11272:                            ;   in Loop: Header=BB6_10271 Depth=2
	s_or_b64 exec, exec, s[88:89]
.LBB6_11273:                            ;   in Loop: Header=BB6_10271 Depth=2
	s_or_b64 exec, exec, s[78:79]
.LBB6_11274:                            ;   in Loop: Header=BB6_10271 Depth=2
	s_or_b64 exec, exec, s[18:19]
	v_and_b32_e32 v16, 0xff, v22
	v_cmp_ne_u16_e32 vcc, 0, v16
	s_and_saveexec_b64 s[18:19], vcc
	s_cbranch_execz .LBB6_11280
; %bb.11275:                            ;   in Loop: Header=BB6_10271 Depth=2
	v_cmp_ne_u16_e32 vcc, s50, v16
	v_bfrev_b32_e32 v9, 1
	s_and_saveexec_b64 s[78:79], vcc
	s_cbranch_execz .LBB6_11279
; %bb.11276:                            ;   in Loop: Header=BB6_10271 Depth=2
	v_and_b32_e32 v18, 0x7f, v22
	v_cmp_ne_u32_e32 vcc, s39, v18
	v_mov_b32_e32 v9, 0x7f800001
	s_and_saveexec_b64 s[88:89], vcc
	s_cbranch_execz .LBB6_11278
; %bb.11277:                            ;   in Loop: Header=BB6_10271 Depth=2
	v_and_b32_e32 v9, 7, v16
	v_lshrrev_b32_e32 v23, 3, v18
	v_cmp_gt_u32_e32 vcc, 8, v18
	v_ffbh_u32_e32 v18, v9
	v_min_u32_e32 v18, 32, v18
	v_subrev_u32_e32 v25, 28, v18
	v_lshlrev_b64 v[27:28], v25, v[16:17]
	v_sub_u32_e32 v16, 29, v18
	v_and_b32_e32 v18, 7, v27
	v_cndmask_b32_e32 v16, v23, v16, vcc
	v_cndmask_b32_e32 v9, v9, v18, vcc
	v_lshlrev_b32_e32 v18, 24, v22
	v_lshlrev_b32_e32 v9, 20, v9
	v_and_b32_e32 v18, 0x80000000, v18
	v_lshl_add_u32 v16, v16, 23, v62
	v_or3_b32 v9, v18, v16, v9
.LBB6_11278:                            ;   in Loop: Header=BB6_10271 Depth=2
	s_or_b64 exec, exec, s[88:89]
.LBB6_11279:                            ;   in Loop: Header=BB6_10271 Depth=2
	s_or_b64 exec, exec, s[78:79]
.LBB6_11280:                            ;   in Loop: Header=BB6_10271 Depth=2
	s_or_b64 exec, exec, s[18:19]
	v_add_f32_e32 v16, v17, v9
	v_and_b32_e32 v50, 0x7f800000, v16
	v_cmp_ne_u64_e32 vcc, s[46:47], v[50:51]
                                        ; implicit-def: $vgpr47
	s_and_saveexec_b64 s[18:19], vcc
	s_xor_b64 s[78:79], exec, s[18:19]
	s_cbranch_execz .LBB6_11298
; %bb.11281:                            ;   in Loop: Header=BB6_10271 Depth=2
	v_and_b32_e32 v50, 0x7fffffff, v16
	v_cmp_gt_u64_e32 vcc, s[56:57], v[50:51]
	v_and_b32_sdwa v9, v16, s50 dst_sel:DWORD dst_unused:UNUSED_PAD src0_sel:BYTE_3 src1_sel:DWORD
                                        ; implicit-def: $vgpr47
	s_and_saveexec_b64 s[18:19], vcc
	s_xor_b64 s[88:89], exec, s[18:19]
	s_cbranch_execz .LBB6_11295
; %bb.11282:                            ;   in Loop: Header=BB6_10271 Depth=2
	v_cmp_ne_u32_e32 vcc, 0, v16
	v_mov_b32_e32 v47, 0
	s_and_saveexec_b64 s[90:91], vcc
	s_cbranch_execz .LBB6_11294
; %bb.11283:                            ;   in Loop: Header=BB6_10271 Depth=2
	v_bfe_u32 v22, v16, 23, 8
	v_and_b32_e32 v17, 0x7fffff, v16
	v_cmp_gt_u32_e64 s[18:19], s51, v22
	v_sub_u32_e32 v16, 0x79, v22
	v_cmp_eq_u32_e32 vcc, 0, v22
	v_cndmask_b32_e64 v16, 0, v16, s[18:19]
	v_mov_b32_e32 v23, 0x78
	v_cndmask_b32_e32 v23, v16, v23, vcc
	v_or_b32_e32 v18, 0x800000, v17
	v_add_u32_e32 v16, 20, v23
	v_cndmask_b32_e32 v50, v18, v17, vcc
	v_lshlrev_b64 v[16:17], v16, -1
	v_add_u32_e32 v18, 19, v23
	v_lshlrev_b64 v[27:28], v18, 1
	v_bfi_b32 v17, v17, 0, 0
	v_bfi_b32 v16, v16, 0, v50
	v_cmp_eq_u64_e64 s[18:19], v[16:17], v[27:28]
	v_lshrrev_b64 v[16:17], v23, v[50:51]
	v_mov_b32_e32 v18, v17
	v_mov_b32_e32 v17, v16
	s_and_saveexec_b64 s[92:93], s[18:19]
; %bb.11284:                            ;   in Loop: Header=BB6_10271 Depth=2
	v_bfe_u32 v17, v16, 20, 1
	v_add_co_u32_e64 v17, s[18:19], v16, v17
	v_add_co_u32_e64 v17, s[18:19], -1, v17
; %bb.11285:                            ;   in Loop: Header=BB6_10271 Depth=2
	s_or_b64 exec, exec, s[92:93]
	v_add_u32_e32 v18, 0xffffff81, v22
	v_mov_b32_e32 v22, 0xffffff82
	v_cndmask_b32_e32 v18, v18, v22, vcc
	v_lshrrev_b32_e32 v22, 23, v16
	v_add3_u32 v23, v23, v18, v22
	v_add_u32_e32 v22, 6, v23
	v_and_b32_e32 v17, 0xfffff, v17
	v_add_u32_e32 v50, v17, v16
	v_cmp_ne_u32_e32 vcc, 0, v22
                                        ; implicit-def: $vgpr16_vgpr17
                                        ; implicit-def: $vgpr18
	s_and_saveexec_b64 s[18:19], vcc
	s_xor_b64 s[18:19], exec, s[18:19]
; %bb.11286:                            ;   in Loop: Header=BB6_10271 Depth=2
	v_cmp_lt_u64_e32 vcc, s[58:59], v[50:51]
	v_add_u32_e32 v16, 7, v23
	v_cndmask_b32_e32 v18, v22, v16, vcc
	v_cndmask_b32_e64 v16, 0, 1, vcc
	v_lshrrev_b64 v[16:17], v16, v[50:51]
; %bb.11287:                            ;   in Loop: Header=BB6_10271 Depth=2
	s_andn2_saveexec_b64 s[18:19], s[18:19]
; %bb.11288:                            ;   in Loop: Header=BB6_10271 Depth=2
	v_mov_b32_e32 v16, v50
	v_mov_b32_e32 v17, v51
	v_bfe_u32 v18, v50, 23, 1
; %bb.11289:                            ;   in Loop: Header=BB6_10271 Depth=2
	s_or_b64 exec, exec, s[18:19]
	v_lshrrev_b64 v[16:17], 20, v[16:17]
	v_cmp_gt_i32_e32 vcc, 16, v18
	v_cndmask_b32_e32 v17, 0, v17, vcc
	v_cndmask_b32_e32 v16, 7, v16, vcc
	v_cmp_ne_u64_e32 vcc, 0, v[16:17]
	v_cmp_ne_u32_e64 s[18:19], 0, v18
	s_or_b64 s[18:19], s[18:19], vcc
                                        ; implicit-def: $vgpr47
	s_and_saveexec_b64 s[92:93], s[18:19]
	s_xor_b64 s[18:19], exec, s[92:93]
; %bb.11290:                            ;   in Loop: Header=BB6_10271 Depth=2
	v_min_i32_e32 v17, 15, v18
	v_lshl_or_b32 v9, v17, 3, v9
	v_and_or_b32 v47, v16, 7, v9
                                        ; implicit-def: $vgpr9
; %bb.11291:                            ;   in Loop: Header=BB6_10271 Depth=2
	s_andn2_saveexec_b64 s[18:19], s[18:19]
; %bb.11292:                            ;   in Loop: Header=BB6_10271 Depth=2
	v_mov_b32_e32 v47, v9
; %bb.11293:                            ;   in Loop: Header=BB6_10271 Depth=2
	s_or_b64 exec, exec, s[18:19]
.LBB6_11294:                            ;   in Loop: Header=BB6_10271 Depth=2
	s_or_b64 exec, exec, s[90:91]
                                        ; implicit-def: $vgpr9
.LBB6_11295:                            ;   in Loop: Header=BB6_10271 Depth=2
	s_andn2_saveexec_b64 s[18:19], s[88:89]
; %bb.11296:                            ;   in Loop: Header=BB6_10271 Depth=2
	v_or_b32_e32 v47, 0x7e, v9
; %bb.11297:                            ;   in Loop: Header=BB6_10271 Depth=2
	s_or_b64 exec, exec, s[18:19]
                                        ; implicit-def: $vgpr16
.LBB6_11298:                            ;   in Loop: Header=BB6_10271 Depth=2
	s_andn2_saveexec_b64 s[18:19], s[78:79]
; %bb.11299:                            ;   in Loop: Header=BB6_10271 Depth=2
	v_or_b32_sdwa v47, v16, s39 dst_sel:DWORD dst_unused:UNUSED_PAD src0_sel:BYTE_3 src1_sel:DWORD
; %bb.11300:                            ;   in Loop: Header=BB6_10271 Depth=2
	s_or_b64 exec, exec, s[18:19]
	v_and_b32_e32 v16, 0xff, v46
	v_cmp_ne_u16_e32 vcc, 0, v16
	v_mov_b32_e32 v9, 0
	v_mov_b32_e32 v17, 0
	s_and_saveexec_b64 s[18:19], vcc
	s_cbranch_execz .LBB6_11306
; %bb.11301:                            ;   in Loop: Header=BB6_10271 Depth=2
	v_cmp_ne_u16_e32 vcc, s50, v16
	v_bfrev_b32_e32 v17, 1
	s_and_saveexec_b64 s[78:79], vcc
	s_cbranch_execz .LBB6_11305
; %bb.11302:                            ;   in Loop: Header=BB6_10271 Depth=2
	v_and_b32_e32 v18, 0x7f, v46
	v_cmp_ne_u32_e32 vcc, s39, v18
	v_mov_b32_e32 v17, 0x7f800001
	s_and_saveexec_b64 s[88:89], vcc
	s_cbranch_execz .LBB6_11304
; %bb.11303:                            ;   in Loop: Header=BB6_10271 Depth=2
	v_and_b32_e32 v22, 7, v16
	v_ffbh_u32_e32 v17, v22
	v_lshrrev_b32_e32 v23, 3, v18
	v_cmp_gt_u32_e32 vcc, 8, v18
	v_min_u32_e32 v18, 32, v17
	v_subrev_u32_e32 v17, 28, v18
	v_lshlrev_b64 v[16:17], v17, v[16:17]
	v_sub_u32_e32 v17, 29, v18
	v_and_b32_e32 v16, 7, v16
	v_cndmask_b32_e32 v17, v23, v17, vcc
	v_cndmask_b32_e32 v16, v22, v16, vcc
	v_lshlrev_b32_e32 v18, 24, v46
	v_lshlrev_b32_e32 v16, 20, v16
	v_and_b32_e32 v18, 0x80000000, v18
	v_lshl_add_u32 v17, v17, 23, v62
	v_or3_b32 v17, v18, v17, v16
.LBB6_11304:                            ;   in Loop: Header=BB6_10271 Depth=2
	s_or_b64 exec, exec, s[88:89]
.LBB6_11305:                            ;   in Loop: Header=BB6_10271 Depth=2
	s_or_b64 exec, exec, s[78:79]
.LBB6_11306:                            ;   in Loop: Header=BB6_10271 Depth=2
	s_or_b64 exec, exec, s[18:19]
	v_and_b32_e32 v16, 0xff, v21
	v_cmp_ne_u16_e32 vcc, 0, v16
	s_and_saveexec_b64 s[18:19], vcc
	s_cbranch_execz .LBB6_11312
; %bb.11307:                            ;   in Loop: Header=BB6_10271 Depth=2
	v_cmp_ne_u16_e32 vcc, s50, v16
	v_bfrev_b32_e32 v9, 1
	s_and_saveexec_b64 s[78:79], vcc
	s_cbranch_execz .LBB6_11311
; %bb.11308:                            ;   in Loop: Header=BB6_10271 Depth=2
	v_and_b32_e32 v18, 0x7f, v21
	v_cmp_ne_u32_e32 vcc, s39, v18
	v_mov_b32_e32 v9, 0x7f800001
	s_and_saveexec_b64 s[88:89], vcc
	s_cbranch_execz .LBB6_11310
; %bb.11309:                            ;   in Loop: Header=BB6_10271 Depth=2
	v_and_b32_e32 v9, 7, v16
	v_lshrrev_b32_e32 v25, 3, v18
	v_cmp_gt_u32_e32 vcc, 8, v18
	v_ffbh_u32_e32 v18, v9
	v_min_u32_e32 v18, 32, v18
	v_subrev_u32_e32 v22, 28, v18
	v_lshlrev_b64 v[22:23], v22, v[16:17]
	v_sub_u32_e32 v16, 29, v18
	v_and_b32_e32 v18, 7, v22
	v_cndmask_b32_e32 v16, v25, v16, vcc
	v_cndmask_b32_e32 v9, v9, v18, vcc
	v_lshlrev_b32_e32 v18, 24, v21
	v_lshlrev_b32_e32 v9, 20, v9
	v_and_b32_e32 v18, 0x80000000, v18
	v_lshl_add_u32 v16, v16, 23, v62
	v_or3_b32 v9, v18, v16, v9
.LBB6_11310:                            ;   in Loop: Header=BB6_10271 Depth=2
	s_or_b64 exec, exec, s[88:89]
.LBB6_11311:                            ;   in Loop: Header=BB6_10271 Depth=2
	s_or_b64 exec, exec, s[78:79]
.LBB6_11312:                            ;   in Loop: Header=BB6_10271 Depth=2
	s_or_b64 exec, exec, s[18:19]
	v_add_f32_e32 v16, v17, v9
	v_and_b32_e32 v50, 0x7f800000, v16
	v_cmp_ne_u64_e32 vcc, s[46:47], v[50:51]
                                        ; implicit-def: $vgpr46
	s_and_saveexec_b64 s[18:19], vcc
	s_xor_b64 s[78:79], exec, s[18:19]
	s_cbranch_execz .LBB6_11330
; %bb.11313:                            ;   in Loop: Header=BB6_10271 Depth=2
	v_and_b32_e32 v50, 0x7fffffff, v16
	v_cmp_gt_u64_e32 vcc, s[56:57], v[50:51]
	v_and_b32_sdwa v9, v16, s50 dst_sel:DWORD dst_unused:UNUSED_PAD src0_sel:BYTE_3 src1_sel:DWORD
                                        ; implicit-def: $vgpr46
	s_and_saveexec_b64 s[18:19], vcc
	s_xor_b64 s[88:89], exec, s[18:19]
	s_cbranch_execz .LBB6_11327
; %bb.11314:                            ;   in Loop: Header=BB6_10271 Depth=2
	v_cmp_ne_u32_e32 vcc, 0, v16
	v_mov_b32_e32 v46, 0
	s_and_saveexec_b64 s[90:91], vcc
	s_cbranch_execz .LBB6_11326
; %bb.11315:                            ;   in Loop: Header=BB6_10271 Depth=2
	v_bfe_u32 v21, v16, 23, 8
	v_and_b32_e32 v17, 0x7fffff, v16
	v_cmp_gt_u32_e64 s[18:19], s51, v21
	v_sub_u32_e32 v16, 0x79, v21
	v_cmp_eq_u32_e32 vcc, 0, v21
	v_cndmask_b32_e64 v16, 0, v16, s[18:19]
	v_mov_b32_e32 v22, 0x78
	v_cndmask_b32_e32 v22, v16, v22, vcc
	v_or_b32_e32 v18, 0x800000, v17
	v_add_u32_e32 v16, 20, v22
	v_cndmask_b32_e32 v50, v18, v17, vcc
	v_lshlrev_b64 v[16:17], v16, -1
	v_add_u32_e32 v18, 19, v22
	v_lshlrev_b64 v[27:28], v18, 1
	v_bfi_b32 v17, v17, 0, 0
	v_bfi_b32 v16, v16, 0, v50
	v_cmp_eq_u64_e64 s[18:19], v[16:17], v[27:28]
	v_lshrrev_b64 v[16:17], v22, v[50:51]
	v_mov_b32_e32 v18, v17
	v_mov_b32_e32 v17, v16
	s_and_saveexec_b64 s[92:93], s[18:19]
; %bb.11316:                            ;   in Loop: Header=BB6_10271 Depth=2
	v_bfe_u32 v17, v16, 20, 1
	v_add_co_u32_e64 v17, s[18:19], v16, v17
	v_add_co_u32_e64 v17, s[18:19], -1, v17
; %bb.11317:                            ;   in Loop: Header=BB6_10271 Depth=2
	s_or_b64 exec, exec, s[92:93]
	v_add_u32_e32 v18, 0xffffff81, v21
	v_mov_b32_e32 v21, 0xffffff82
	v_cndmask_b32_e32 v18, v18, v21, vcc
	v_lshrrev_b32_e32 v21, 23, v16
	v_add3_u32 v22, v22, v18, v21
	v_add_u32_e32 v21, 6, v22
	v_and_b32_e32 v17, 0xfffff, v17
	v_add_u32_e32 v50, v17, v16
	v_cmp_ne_u32_e32 vcc, 0, v21
                                        ; implicit-def: $vgpr16_vgpr17
                                        ; implicit-def: $vgpr18
	s_and_saveexec_b64 s[18:19], vcc
	s_xor_b64 s[18:19], exec, s[18:19]
; %bb.11318:                            ;   in Loop: Header=BB6_10271 Depth=2
	v_cmp_lt_u64_e32 vcc, s[58:59], v[50:51]
	v_add_u32_e32 v16, 7, v22
	v_cndmask_b32_e32 v18, v21, v16, vcc
	v_cndmask_b32_e64 v16, 0, 1, vcc
	v_lshrrev_b64 v[16:17], v16, v[50:51]
; %bb.11319:                            ;   in Loop: Header=BB6_10271 Depth=2
	s_andn2_saveexec_b64 s[18:19], s[18:19]
; %bb.11320:                            ;   in Loop: Header=BB6_10271 Depth=2
	v_mov_b32_e32 v16, v50
	v_mov_b32_e32 v17, v51
	v_bfe_u32 v18, v50, 23, 1
; %bb.11321:                            ;   in Loop: Header=BB6_10271 Depth=2
	s_or_b64 exec, exec, s[18:19]
	v_lshrrev_b64 v[16:17], 20, v[16:17]
	v_cmp_gt_i32_e32 vcc, 16, v18
	v_cndmask_b32_e32 v17, 0, v17, vcc
	v_cndmask_b32_e32 v16, 7, v16, vcc
	v_cmp_ne_u64_e32 vcc, 0, v[16:17]
	v_cmp_ne_u32_e64 s[18:19], 0, v18
	s_or_b64 s[18:19], s[18:19], vcc
                                        ; implicit-def: $vgpr46
	s_and_saveexec_b64 s[92:93], s[18:19]
	s_xor_b64 s[18:19], exec, s[92:93]
; %bb.11322:                            ;   in Loop: Header=BB6_10271 Depth=2
	v_min_i32_e32 v17, 15, v18
	v_lshl_or_b32 v9, v17, 3, v9
	v_and_or_b32 v46, v16, 7, v9
                                        ; implicit-def: $vgpr9
; %bb.11323:                            ;   in Loop: Header=BB6_10271 Depth=2
	s_andn2_saveexec_b64 s[18:19], s[18:19]
; %bb.11324:                            ;   in Loop: Header=BB6_10271 Depth=2
	v_mov_b32_e32 v46, v9
; %bb.11325:                            ;   in Loop: Header=BB6_10271 Depth=2
	s_or_b64 exec, exec, s[18:19]
.LBB6_11326:                            ;   in Loop: Header=BB6_10271 Depth=2
	s_or_b64 exec, exec, s[90:91]
                                        ; implicit-def: $vgpr9
.LBB6_11327:                            ;   in Loop: Header=BB6_10271 Depth=2
	s_andn2_saveexec_b64 s[18:19], s[88:89]
; %bb.11328:                            ;   in Loop: Header=BB6_10271 Depth=2
	v_or_b32_e32 v46, 0x7e, v9
; %bb.11329:                            ;   in Loop: Header=BB6_10271 Depth=2
	s_or_b64 exec, exec, s[18:19]
                                        ; implicit-def: $vgpr16
.LBB6_11330:                            ;   in Loop: Header=BB6_10271 Depth=2
	s_andn2_saveexec_b64 s[18:19], s[78:79]
; %bb.11331:                            ;   in Loop: Header=BB6_10271 Depth=2
	v_or_b32_sdwa v46, v16, s39 dst_sel:DWORD dst_unused:UNUSED_PAD src0_sel:BYTE_3 src1_sel:DWORD
; %bb.11332:                            ;   in Loop: Header=BB6_10271 Depth=2
	s_or_b64 exec, exec, s[18:19]
	v_and_b32_e32 v16, 0xff, v43
	v_cmp_ne_u16_e32 vcc, 0, v16
	v_mov_b32_e32 v9, 0
	v_mov_b32_e32 v17, 0
	s_and_saveexec_b64 s[18:19], vcc
	s_cbranch_execz .LBB6_11338
; %bb.11333:                            ;   in Loop: Header=BB6_10271 Depth=2
	v_cmp_ne_u16_e32 vcc, s50, v16
	v_bfrev_b32_e32 v17, 1
	s_and_saveexec_b64 s[78:79], vcc
	s_cbranch_execz .LBB6_11337
; %bb.11334:                            ;   in Loop: Header=BB6_10271 Depth=2
	v_and_b32_e32 v18, 0x7f, v43
	v_cmp_ne_u32_e32 vcc, s39, v18
	v_mov_b32_e32 v17, 0x7f800001
	s_and_saveexec_b64 s[88:89], vcc
	s_cbranch_execz .LBB6_11336
; %bb.11335:                            ;   in Loop: Header=BB6_10271 Depth=2
	v_and_b32_e32 v21, 7, v16
	v_ffbh_u32_e32 v17, v21
	v_lshrrev_b32_e32 v22, 3, v18
	v_cmp_gt_u32_e32 vcc, 8, v18
	v_min_u32_e32 v18, 32, v17
	v_subrev_u32_e32 v17, 28, v18
	v_lshlrev_b64 v[16:17], v17, v[16:17]
	v_sub_u32_e32 v17, 29, v18
	v_and_b32_e32 v16, 7, v16
	v_cndmask_b32_e32 v17, v22, v17, vcc
	v_cndmask_b32_e32 v16, v21, v16, vcc
	v_lshlrev_b32_e32 v18, 24, v43
	v_lshlrev_b32_e32 v16, 20, v16
	v_and_b32_e32 v18, 0x80000000, v18
	v_lshl_add_u32 v17, v17, 23, v62
	v_or3_b32 v17, v18, v17, v16
.LBB6_11336:                            ;   in Loop: Header=BB6_10271 Depth=2
	s_or_b64 exec, exec, s[88:89]
.LBB6_11337:                            ;   in Loop: Header=BB6_10271 Depth=2
	s_or_b64 exec, exec, s[78:79]
.LBB6_11338:                            ;   in Loop: Header=BB6_10271 Depth=2
	s_or_b64 exec, exec, s[18:19]
	v_and_b32_e32 v16, 0xff, v20
	v_cmp_ne_u16_e32 vcc, 0, v16
	s_and_saveexec_b64 s[18:19], vcc
	s_cbranch_execz .LBB6_11344
; %bb.11339:                            ;   in Loop: Header=BB6_10271 Depth=2
	v_cmp_ne_u16_e32 vcc, s50, v16
	v_bfrev_b32_e32 v9, 1
	s_and_saveexec_b64 s[78:79], vcc
	s_cbranch_execz .LBB6_11343
; %bb.11340:                            ;   in Loop: Header=BB6_10271 Depth=2
	v_and_b32_e32 v18, 0x7f, v20
	v_cmp_ne_u32_e32 vcc, s39, v18
	v_mov_b32_e32 v9, 0x7f800001
	s_and_saveexec_b64 s[88:89], vcc
	s_cbranch_execz .LBB6_11342
; %bb.11341:                            ;   in Loop: Header=BB6_10271 Depth=2
	v_and_b32_e32 v9, 7, v16
	v_lshrrev_b32_e32 v23, 3, v18
	v_cmp_gt_u32_e32 vcc, 8, v18
	v_ffbh_u32_e32 v18, v9
	v_min_u32_e32 v18, 32, v18
	v_subrev_u32_e32 v21, 28, v18
	v_lshlrev_b64 v[21:22], v21, v[16:17]
	v_sub_u32_e32 v16, 29, v18
	v_and_b32_e32 v18, 7, v21
	v_cndmask_b32_e32 v16, v23, v16, vcc
	v_cndmask_b32_e32 v9, v9, v18, vcc
	v_lshlrev_b32_e32 v18, 24, v20
	v_lshlrev_b32_e32 v9, 20, v9
	v_and_b32_e32 v18, 0x80000000, v18
	v_lshl_add_u32 v16, v16, 23, v62
	v_or3_b32 v9, v18, v16, v9
.LBB6_11342:                            ;   in Loop: Header=BB6_10271 Depth=2
	s_or_b64 exec, exec, s[88:89]
.LBB6_11343:                            ;   in Loop: Header=BB6_10271 Depth=2
	s_or_b64 exec, exec, s[78:79]
.LBB6_11344:                            ;   in Loop: Header=BB6_10271 Depth=2
	s_or_b64 exec, exec, s[18:19]
	v_add_f32_e32 v16, v17, v9
	v_and_b32_e32 v50, 0x7f800000, v16
	v_cmp_ne_u64_e32 vcc, s[46:47], v[50:51]
                                        ; implicit-def: $vgpr43
	s_and_saveexec_b64 s[18:19], vcc
	s_xor_b64 s[78:79], exec, s[18:19]
	s_cbranch_execz .LBB6_11362
; %bb.11345:                            ;   in Loop: Header=BB6_10271 Depth=2
	v_and_b32_e32 v50, 0x7fffffff, v16
	v_cmp_gt_u64_e32 vcc, s[56:57], v[50:51]
	v_and_b32_sdwa v9, v16, s50 dst_sel:DWORD dst_unused:UNUSED_PAD src0_sel:BYTE_3 src1_sel:DWORD
                                        ; implicit-def: $vgpr43
	s_and_saveexec_b64 s[18:19], vcc
	s_xor_b64 s[88:89], exec, s[18:19]
	s_cbranch_execz .LBB6_11359
; %bb.11346:                            ;   in Loop: Header=BB6_10271 Depth=2
	v_cmp_ne_u32_e32 vcc, 0, v16
	v_mov_b32_e32 v43, 0
	s_and_saveexec_b64 s[90:91], vcc
	s_cbranch_execz .LBB6_11358
; %bb.11347:                            ;   in Loop: Header=BB6_10271 Depth=2
	v_bfe_u32 v20, v16, 23, 8
	v_and_b32_e32 v17, 0x7fffff, v16
	v_cmp_gt_u32_e64 s[18:19], s51, v20
	v_sub_u32_e32 v16, 0x79, v20
	v_cmp_eq_u32_e32 vcc, 0, v20
	v_cndmask_b32_e64 v16, 0, v16, s[18:19]
	v_mov_b32_e32 v21, 0x78
	v_cndmask_b32_e32 v21, v16, v21, vcc
	v_or_b32_e32 v18, 0x800000, v17
	v_add_u32_e32 v16, 20, v21
	v_cndmask_b32_e32 v50, v18, v17, vcc
	v_lshlrev_b64 v[16:17], v16, -1
	v_add_u32_e32 v18, 19, v21
	v_lshlrev_b64 v[22:23], v18, 1
	v_bfi_b32 v17, v17, 0, 0
	v_bfi_b32 v16, v16, 0, v50
	v_cmp_eq_u64_e64 s[18:19], v[16:17], v[22:23]
	v_lshrrev_b64 v[16:17], v21, v[50:51]
	v_mov_b32_e32 v18, v17
	v_mov_b32_e32 v17, v16
	s_and_saveexec_b64 s[92:93], s[18:19]
; %bb.11348:                            ;   in Loop: Header=BB6_10271 Depth=2
	v_bfe_u32 v17, v16, 20, 1
	v_add_co_u32_e64 v17, s[18:19], v16, v17
	v_add_co_u32_e64 v17, s[18:19], -1, v17
; %bb.11349:                            ;   in Loop: Header=BB6_10271 Depth=2
	s_or_b64 exec, exec, s[92:93]
	v_add_u32_e32 v18, 0xffffff81, v20
	v_mov_b32_e32 v20, 0xffffff82
	v_cndmask_b32_e32 v18, v18, v20, vcc
	v_lshrrev_b32_e32 v20, 23, v16
	v_add3_u32 v21, v21, v18, v20
	v_add_u32_e32 v20, 6, v21
	v_and_b32_e32 v17, 0xfffff, v17
	v_add_u32_e32 v50, v17, v16
	v_cmp_ne_u32_e32 vcc, 0, v20
                                        ; implicit-def: $vgpr16_vgpr17
                                        ; implicit-def: $vgpr18
	s_and_saveexec_b64 s[18:19], vcc
	s_xor_b64 s[18:19], exec, s[18:19]
; %bb.11350:                            ;   in Loop: Header=BB6_10271 Depth=2
	v_cmp_lt_u64_e32 vcc, s[58:59], v[50:51]
	v_add_u32_e32 v16, 7, v21
	v_cndmask_b32_e32 v18, v20, v16, vcc
	v_cndmask_b32_e64 v16, 0, 1, vcc
	v_lshrrev_b64 v[16:17], v16, v[50:51]
; %bb.11351:                            ;   in Loop: Header=BB6_10271 Depth=2
	s_andn2_saveexec_b64 s[18:19], s[18:19]
; %bb.11352:                            ;   in Loop: Header=BB6_10271 Depth=2
	v_mov_b32_e32 v16, v50
	v_mov_b32_e32 v17, v51
	v_bfe_u32 v18, v50, 23, 1
; %bb.11353:                            ;   in Loop: Header=BB6_10271 Depth=2
	s_or_b64 exec, exec, s[18:19]
	v_lshrrev_b64 v[16:17], 20, v[16:17]
	v_cmp_gt_i32_e32 vcc, 16, v18
	v_cndmask_b32_e32 v17, 0, v17, vcc
	v_cndmask_b32_e32 v16, 7, v16, vcc
	v_cmp_ne_u64_e32 vcc, 0, v[16:17]
	v_cmp_ne_u32_e64 s[18:19], 0, v18
	s_or_b64 s[18:19], s[18:19], vcc
                                        ; implicit-def: $vgpr43
	s_and_saveexec_b64 s[92:93], s[18:19]
	s_xor_b64 s[18:19], exec, s[92:93]
; %bb.11354:                            ;   in Loop: Header=BB6_10271 Depth=2
	v_min_i32_e32 v17, 15, v18
	v_lshl_or_b32 v9, v17, 3, v9
	v_and_or_b32 v43, v16, 7, v9
                                        ; implicit-def: $vgpr9
; %bb.11355:                            ;   in Loop: Header=BB6_10271 Depth=2
	s_andn2_saveexec_b64 s[18:19], s[18:19]
; %bb.11356:                            ;   in Loop: Header=BB6_10271 Depth=2
	v_mov_b32_e32 v43, v9
; %bb.11357:                            ;   in Loop: Header=BB6_10271 Depth=2
	s_or_b64 exec, exec, s[18:19]
.LBB6_11358:                            ;   in Loop: Header=BB6_10271 Depth=2
	s_or_b64 exec, exec, s[90:91]
                                        ; implicit-def: $vgpr9
.LBB6_11359:                            ;   in Loop: Header=BB6_10271 Depth=2
	s_andn2_saveexec_b64 s[18:19], s[88:89]
; %bb.11360:                            ;   in Loop: Header=BB6_10271 Depth=2
	v_or_b32_e32 v43, 0x7e, v9
; %bb.11361:                            ;   in Loop: Header=BB6_10271 Depth=2
	s_or_b64 exec, exec, s[18:19]
                                        ; implicit-def: $vgpr16
.LBB6_11362:                            ;   in Loop: Header=BB6_10271 Depth=2
	s_andn2_saveexec_b64 s[18:19], s[78:79]
; %bb.11363:                            ;   in Loop: Header=BB6_10271 Depth=2
	v_or_b32_sdwa v43, v16, s39 dst_sel:DWORD dst_unused:UNUSED_PAD src0_sel:BYTE_3 src1_sel:DWORD
; %bb.11364:                            ;   in Loop: Header=BB6_10271 Depth=2
	s_or_b64 exec, exec, s[18:19]
	v_and_b32_e32 v16, 0xff, v42
	v_cmp_ne_u16_e32 vcc, 0, v16
	v_mov_b32_e32 v9, 0
	v_mov_b32_e32 v17, 0
	s_and_saveexec_b64 s[18:19], vcc
	s_cbranch_execz .LBB6_11370
; %bb.11365:                            ;   in Loop: Header=BB6_10271 Depth=2
	v_cmp_ne_u16_e32 vcc, s50, v16
	v_bfrev_b32_e32 v17, 1
	s_and_saveexec_b64 s[78:79], vcc
	s_cbranch_execz .LBB6_11369
; %bb.11366:                            ;   in Loop: Header=BB6_10271 Depth=2
	v_and_b32_e32 v18, 0x7f, v42
	v_cmp_ne_u32_e32 vcc, s39, v18
	v_mov_b32_e32 v17, 0x7f800001
	s_and_saveexec_b64 s[88:89], vcc
	s_cbranch_execz .LBB6_11368
; %bb.11367:                            ;   in Loop: Header=BB6_10271 Depth=2
	v_and_b32_e32 v20, 7, v16
	v_ffbh_u32_e32 v17, v20
	v_lshrrev_b32_e32 v21, 3, v18
	v_cmp_gt_u32_e32 vcc, 8, v18
	v_min_u32_e32 v18, 32, v17
	v_subrev_u32_e32 v17, 28, v18
	v_lshlrev_b64 v[16:17], v17, v[16:17]
	v_sub_u32_e32 v17, 29, v18
	v_and_b32_e32 v16, 7, v16
	v_cndmask_b32_e32 v17, v21, v17, vcc
	v_cndmask_b32_e32 v16, v20, v16, vcc
	v_lshlrev_b32_e32 v18, 24, v42
	v_lshlrev_b32_e32 v16, 20, v16
	v_and_b32_e32 v18, 0x80000000, v18
	v_lshl_add_u32 v17, v17, 23, v62
	v_or3_b32 v17, v18, v17, v16
.LBB6_11368:                            ;   in Loop: Header=BB6_10271 Depth=2
	s_or_b64 exec, exec, s[88:89]
.LBB6_11369:                            ;   in Loop: Header=BB6_10271 Depth=2
	s_or_b64 exec, exec, s[78:79]
.LBB6_11370:                            ;   in Loop: Header=BB6_10271 Depth=2
	s_or_b64 exec, exec, s[18:19]
	v_and_b32_e32 v16, 0xff, v19
	v_cmp_ne_u16_e32 vcc, 0, v16
	s_and_saveexec_b64 s[18:19], vcc
	s_cbranch_execz .LBB6_11376
; %bb.11371:                            ;   in Loop: Header=BB6_10271 Depth=2
	v_cmp_ne_u16_e32 vcc, s50, v16
	v_bfrev_b32_e32 v9, 1
	s_and_saveexec_b64 s[78:79], vcc
	s_cbranch_execz .LBB6_11375
; %bb.11372:                            ;   in Loop: Header=BB6_10271 Depth=2
	v_and_b32_e32 v18, 0x7f, v19
	v_cmp_ne_u32_e32 vcc, s39, v18
	v_mov_b32_e32 v9, 0x7f800001
	s_and_saveexec_b64 s[88:89], vcc
	s_cbranch_execz .LBB6_11374
; %bb.11373:                            ;   in Loop: Header=BB6_10271 Depth=2
	v_and_b32_e32 v9, 7, v16
	v_lshrrev_b32_e32 v22, 3, v18
	v_cmp_gt_u32_e32 vcc, 8, v18
	v_ffbh_u32_e32 v18, v9
	v_min_u32_e32 v18, 32, v18
	v_subrev_u32_e32 v20, 28, v18
	v_lshlrev_b64 v[20:21], v20, v[16:17]
	v_sub_u32_e32 v16, 29, v18
	v_and_b32_e32 v18, 7, v20
	v_cndmask_b32_e32 v16, v22, v16, vcc
	v_cndmask_b32_e32 v9, v9, v18, vcc
	v_lshlrev_b32_e32 v18, 24, v19
	v_lshlrev_b32_e32 v9, 20, v9
	v_and_b32_e32 v18, 0x80000000, v18
	v_lshl_add_u32 v16, v16, 23, v62
	v_or3_b32 v9, v18, v16, v9
.LBB6_11374:                            ;   in Loop: Header=BB6_10271 Depth=2
	s_or_b64 exec, exec, s[88:89]
.LBB6_11375:                            ;   in Loop: Header=BB6_10271 Depth=2
	s_or_b64 exec, exec, s[78:79]
.LBB6_11376:                            ;   in Loop: Header=BB6_10271 Depth=2
	s_or_b64 exec, exec, s[18:19]
	v_add_f32_e32 v16, v17, v9
	v_and_b32_e32 v50, 0x7f800000, v16
	v_cmp_ne_u64_e32 vcc, s[46:47], v[50:51]
                                        ; implicit-def: $vgpr42
	s_and_saveexec_b64 s[18:19], vcc
	s_xor_b64 s[78:79], exec, s[18:19]
	s_cbranch_execz .LBB6_11394
; %bb.11377:                            ;   in Loop: Header=BB6_10271 Depth=2
	v_and_b32_e32 v50, 0x7fffffff, v16
	v_cmp_gt_u64_e32 vcc, s[56:57], v[50:51]
	v_and_b32_sdwa v9, v16, s50 dst_sel:DWORD dst_unused:UNUSED_PAD src0_sel:BYTE_3 src1_sel:DWORD
                                        ; implicit-def: $vgpr42
	s_and_saveexec_b64 s[18:19], vcc
	s_xor_b64 s[88:89], exec, s[18:19]
	s_cbranch_execz .LBB6_11391
; %bb.11378:                            ;   in Loop: Header=BB6_10271 Depth=2
	v_cmp_ne_u32_e32 vcc, 0, v16
	v_mov_b32_e32 v42, 0
	s_and_saveexec_b64 s[90:91], vcc
	s_cbranch_execz .LBB6_11390
; %bb.11379:                            ;   in Loop: Header=BB6_10271 Depth=2
	v_bfe_u32 v19, v16, 23, 8
	v_and_b32_e32 v17, 0x7fffff, v16
	v_cmp_gt_u32_e64 s[18:19], s51, v19
	v_sub_u32_e32 v16, 0x79, v19
	v_cmp_eq_u32_e32 vcc, 0, v19
	v_cndmask_b32_e64 v16, 0, v16, s[18:19]
	v_mov_b32_e32 v20, 0x78
	v_cndmask_b32_e32 v20, v16, v20, vcc
	v_or_b32_e32 v18, 0x800000, v17
	v_add_u32_e32 v16, 20, v20
	v_cndmask_b32_e32 v50, v18, v17, vcc
	v_lshlrev_b64 v[16:17], v16, -1
	v_add_u32_e32 v18, 19, v20
	v_lshlrev_b64 v[21:22], v18, 1
	v_bfi_b32 v17, v17, 0, 0
	v_bfi_b32 v16, v16, 0, v50
	v_cmp_eq_u64_e64 s[18:19], v[16:17], v[21:22]
	v_lshrrev_b64 v[16:17], v20, v[50:51]
	v_mov_b32_e32 v18, v17
	v_mov_b32_e32 v17, v16
	s_and_saveexec_b64 s[92:93], s[18:19]
; %bb.11380:                            ;   in Loop: Header=BB6_10271 Depth=2
	v_bfe_u32 v17, v16, 20, 1
	v_add_co_u32_e64 v17, s[18:19], v16, v17
	v_add_co_u32_e64 v17, s[18:19], -1, v17
; %bb.11381:                            ;   in Loop: Header=BB6_10271 Depth=2
	s_or_b64 exec, exec, s[92:93]
	v_add_u32_e32 v18, 0xffffff81, v19
	v_mov_b32_e32 v19, 0xffffff82
	v_cndmask_b32_e32 v18, v18, v19, vcc
	v_lshrrev_b32_e32 v19, 23, v16
	v_add3_u32 v20, v20, v18, v19
	v_add_u32_e32 v19, 6, v20
	v_and_b32_e32 v17, 0xfffff, v17
	v_add_u32_e32 v50, v17, v16
	v_cmp_ne_u32_e32 vcc, 0, v19
                                        ; implicit-def: $vgpr16_vgpr17
                                        ; implicit-def: $vgpr18
	s_and_saveexec_b64 s[18:19], vcc
	s_xor_b64 s[18:19], exec, s[18:19]
; %bb.11382:                            ;   in Loop: Header=BB6_10271 Depth=2
	v_cmp_lt_u64_e32 vcc, s[58:59], v[50:51]
	v_add_u32_e32 v16, 7, v20
	v_cndmask_b32_e32 v18, v19, v16, vcc
	v_cndmask_b32_e64 v16, 0, 1, vcc
	v_lshrrev_b64 v[16:17], v16, v[50:51]
; %bb.11383:                            ;   in Loop: Header=BB6_10271 Depth=2
	s_andn2_saveexec_b64 s[18:19], s[18:19]
; %bb.11384:                            ;   in Loop: Header=BB6_10271 Depth=2
	v_mov_b32_e32 v16, v50
	v_mov_b32_e32 v17, v51
	v_bfe_u32 v18, v50, 23, 1
; %bb.11385:                            ;   in Loop: Header=BB6_10271 Depth=2
	s_or_b64 exec, exec, s[18:19]
	v_lshrrev_b64 v[16:17], 20, v[16:17]
	v_cmp_gt_i32_e32 vcc, 16, v18
	v_cndmask_b32_e32 v17, 0, v17, vcc
	v_cndmask_b32_e32 v16, 7, v16, vcc
	v_cmp_ne_u64_e32 vcc, 0, v[16:17]
	v_cmp_ne_u32_e64 s[18:19], 0, v18
	s_or_b64 s[18:19], s[18:19], vcc
                                        ; implicit-def: $vgpr42
	s_and_saveexec_b64 s[92:93], s[18:19]
	s_xor_b64 s[18:19], exec, s[92:93]
; %bb.11386:                            ;   in Loop: Header=BB6_10271 Depth=2
	v_min_i32_e32 v17, 15, v18
	v_lshl_or_b32 v9, v17, 3, v9
	v_and_or_b32 v42, v16, 7, v9
                                        ; implicit-def: $vgpr9
; %bb.11387:                            ;   in Loop: Header=BB6_10271 Depth=2
	s_andn2_saveexec_b64 s[18:19], s[18:19]
; %bb.11388:                            ;   in Loop: Header=BB6_10271 Depth=2
	v_mov_b32_e32 v42, v9
; %bb.11389:                            ;   in Loop: Header=BB6_10271 Depth=2
	s_or_b64 exec, exec, s[18:19]
.LBB6_11390:                            ;   in Loop: Header=BB6_10271 Depth=2
	s_or_b64 exec, exec, s[90:91]
                                        ; implicit-def: $vgpr9
.LBB6_11391:                            ;   in Loop: Header=BB6_10271 Depth=2
	s_andn2_saveexec_b64 s[18:19], s[88:89]
; %bb.11392:                            ;   in Loop: Header=BB6_10271 Depth=2
	v_or_b32_e32 v42, 0x7e, v9
; %bb.11393:                            ;   in Loop: Header=BB6_10271 Depth=2
	s_or_b64 exec, exec, s[18:19]
                                        ; implicit-def: $vgpr16
.LBB6_11394:                            ;   in Loop: Header=BB6_10271 Depth=2
	s_andn2_saveexec_b64 s[18:19], s[78:79]
; %bb.11395:                            ;   in Loop: Header=BB6_10271 Depth=2
	v_or_b32_sdwa v42, v16, s39 dst_sel:DWORD dst_unused:UNUSED_PAD src0_sel:BYTE_3 src1_sel:DWORD
; %bb.11396:                            ;   in Loop: Header=BB6_10271 Depth=2
	s_or_b64 exec, exec, s[18:19]
	v_and_b32_e32 v16, 0xff, v41
	v_cmp_ne_u16_e32 vcc, 0, v16
	v_mov_b32_e32 v9, 0
	v_mov_b32_e32 v17, 0
	s_and_saveexec_b64 s[18:19], vcc
	s_cbranch_execz .LBB6_11402
; %bb.11397:                            ;   in Loop: Header=BB6_10271 Depth=2
	v_cmp_ne_u16_e32 vcc, s50, v16
	v_bfrev_b32_e32 v17, 1
	s_and_saveexec_b64 s[78:79], vcc
	s_cbranch_execz .LBB6_11401
; %bb.11398:                            ;   in Loop: Header=BB6_10271 Depth=2
	v_and_b32_e32 v18, 0x7f, v41
	v_cmp_ne_u32_e32 vcc, s39, v18
	v_mov_b32_e32 v17, 0x7f800001
	s_and_saveexec_b64 s[88:89], vcc
	s_cbranch_execz .LBB6_11400
; %bb.11399:                            ;   in Loop: Header=BB6_10271 Depth=2
	v_and_b32_e32 v19, 7, v16
	v_ffbh_u32_e32 v17, v19
	v_lshrrev_b32_e32 v20, 3, v18
	v_cmp_gt_u32_e32 vcc, 8, v18
	v_min_u32_e32 v18, 32, v17
	v_subrev_u32_e32 v17, 28, v18
	v_lshlrev_b64 v[16:17], v17, v[16:17]
	v_sub_u32_e32 v17, 29, v18
	v_and_b32_e32 v16, 7, v16
	v_cndmask_b32_e32 v17, v20, v17, vcc
	v_cndmask_b32_e32 v16, v19, v16, vcc
	v_lshlrev_b32_e32 v18, 24, v41
	v_lshlrev_b32_e32 v16, 20, v16
	v_and_b32_e32 v18, 0x80000000, v18
	v_lshl_add_u32 v17, v17, 23, v62
	v_or3_b32 v17, v18, v17, v16
.LBB6_11400:                            ;   in Loop: Header=BB6_10271 Depth=2
	s_or_b64 exec, exec, s[88:89]
.LBB6_11401:                            ;   in Loop: Header=BB6_10271 Depth=2
	s_or_b64 exec, exec, s[78:79]
.LBB6_11402:                            ;   in Loop: Header=BB6_10271 Depth=2
	s_or_b64 exec, exec, s[18:19]
	v_and_b32_e32 v16, 0xff, v32
	v_cmp_ne_u16_e32 vcc, 0, v16
	s_and_saveexec_b64 s[18:19], vcc
	s_cbranch_execz .LBB6_11408
; %bb.11403:                            ;   in Loop: Header=BB6_10271 Depth=2
	v_cmp_ne_u16_e32 vcc, s50, v16
	v_bfrev_b32_e32 v9, 1
	s_and_saveexec_b64 s[78:79], vcc
	s_cbranch_execz .LBB6_11407
; %bb.11404:                            ;   in Loop: Header=BB6_10271 Depth=2
	v_and_b32_e32 v18, 0x7f, v32
	v_cmp_ne_u32_e32 vcc, s39, v18
	v_mov_b32_e32 v9, 0x7f800001
	s_and_saveexec_b64 s[88:89], vcc
	s_cbranch_execz .LBB6_11406
; %bb.11405:                            ;   in Loop: Header=BB6_10271 Depth=2
	v_and_b32_e32 v9, 7, v16
	v_lshrrev_b32_e32 v20, 3, v18
	v_cmp_gt_u32_e32 vcc, 8, v18
	v_ffbh_u32_e32 v18, v9
	v_min_u32_e32 v21, 32, v18
	v_subrev_u32_e32 v18, 28, v21
	v_lshlrev_b64 v[18:19], v18, v[16:17]
	v_sub_u32_e32 v16, 29, v21
	v_and_b32_e32 v18, 7, v18
	v_cndmask_b32_e32 v16, v20, v16, vcc
	v_cndmask_b32_e32 v9, v9, v18, vcc
	v_lshlrev_b32_e32 v18, 24, v32
	v_lshlrev_b32_e32 v9, 20, v9
	v_and_b32_e32 v18, 0x80000000, v18
	v_lshl_add_u32 v16, v16, 23, v62
	v_or3_b32 v9, v18, v16, v9
.LBB6_11406:                            ;   in Loop: Header=BB6_10271 Depth=2
	s_or_b64 exec, exec, s[88:89]
.LBB6_11407:                            ;   in Loop: Header=BB6_10271 Depth=2
	s_or_b64 exec, exec, s[78:79]
.LBB6_11408:                            ;   in Loop: Header=BB6_10271 Depth=2
	s_or_b64 exec, exec, s[18:19]
	v_add_f32_e32 v16, v17, v9
	v_and_b32_e32 v50, 0x7f800000, v16
	v_cmp_ne_u64_e32 vcc, s[46:47], v[50:51]
                                        ; implicit-def: $vgpr41
	s_and_saveexec_b64 s[18:19], vcc
	s_xor_b64 s[78:79], exec, s[18:19]
	s_cbranch_execz .LBB6_11426
; %bb.11409:                            ;   in Loop: Header=BB6_10271 Depth=2
	v_and_b32_e32 v50, 0x7fffffff, v16
	v_cmp_gt_u64_e32 vcc, s[56:57], v[50:51]
	v_and_b32_sdwa v9, v16, s50 dst_sel:DWORD dst_unused:UNUSED_PAD src0_sel:BYTE_3 src1_sel:DWORD
                                        ; implicit-def: $vgpr41
	s_and_saveexec_b64 s[18:19], vcc
	s_xor_b64 s[88:89], exec, s[18:19]
	s_cbranch_execz .LBB6_11423
; %bb.11410:                            ;   in Loop: Header=BB6_10271 Depth=2
	v_cmp_ne_u32_e32 vcc, 0, v16
	v_mov_b32_e32 v41, 0
	s_and_saveexec_b64 s[90:91], vcc
	s_cbranch_execz .LBB6_11422
; %bb.11411:                            ;   in Loop: Header=BB6_10271 Depth=2
	v_bfe_u32 v19, v16, 23, 8
	v_and_b32_e32 v17, 0x7fffff, v16
	v_cmp_gt_u32_e64 s[18:19], s51, v19
	v_sub_u32_e32 v16, 0x79, v19
	v_cmp_eq_u32_e32 vcc, 0, v19
	v_cndmask_b32_e64 v16, 0, v16, s[18:19]
	v_mov_b32_e32 v20, 0x78
	v_cndmask_b32_e32 v20, v16, v20, vcc
	v_or_b32_e32 v18, 0x800000, v17
	v_add_u32_e32 v16, 20, v20
	v_cndmask_b32_e32 v50, v18, v17, vcc
	v_lshlrev_b64 v[16:17], v16, -1
	v_add_u32_e32 v18, 19, v20
	v_lshlrev_b64 v[21:22], v18, 1
	v_bfi_b32 v17, v17, 0, 0
	v_bfi_b32 v16, v16, 0, v50
	v_cmp_eq_u64_e64 s[18:19], v[16:17], v[21:22]
	v_lshrrev_b64 v[16:17], v20, v[50:51]
	v_mov_b32_e32 v18, v17
	v_mov_b32_e32 v17, v16
	s_and_saveexec_b64 s[92:93], s[18:19]
; %bb.11412:                            ;   in Loop: Header=BB6_10271 Depth=2
	v_bfe_u32 v17, v16, 20, 1
	v_add_co_u32_e64 v17, s[18:19], v16, v17
	v_add_co_u32_e64 v17, s[18:19], -1, v17
; %bb.11413:                            ;   in Loop: Header=BB6_10271 Depth=2
	s_or_b64 exec, exec, s[92:93]
	v_add_u32_e32 v18, 0xffffff81, v19
	v_mov_b32_e32 v19, 0xffffff82
	v_cndmask_b32_e32 v18, v18, v19, vcc
	v_lshrrev_b32_e32 v19, 23, v16
	v_add3_u32 v20, v20, v18, v19
	v_add_u32_e32 v19, 6, v20
	v_and_b32_e32 v17, 0xfffff, v17
	v_add_u32_e32 v50, v17, v16
	v_cmp_ne_u32_e32 vcc, 0, v19
                                        ; implicit-def: $vgpr16_vgpr17
                                        ; implicit-def: $vgpr18
	s_and_saveexec_b64 s[18:19], vcc
	s_xor_b64 s[18:19], exec, s[18:19]
; %bb.11414:                            ;   in Loop: Header=BB6_10271 Depth=2
	v_cmp_lt_u64_e32 vcc, s[58:59], v[50:51]
	v_add_u32_e32 v16, 7, v20
	v_cndmask_b32_e32 v18, v19, v16, vcc
	v_cndmask_b32_e64 v16, 0, 1, vcc
	v_lshrrev_b64 v[16:17], v16, v[50:51]
; %bb.11415:                            ;   in Loop: Header=BB6_10271 Depth=2
	s_andn2_saveexec_b64 s[18:19], s[18:19]
; %bb.11416:                            ;   in Loop: Header=BB6_10271 Depth=2
	v_mov_b32_e32 v16, v50
	v_mov_b32_e32 v17, v51
	v_bfe_u32 v18, v50, 23, 1
; %bb.11417:                            ;   in Loop: Header=BB6_10271 Depth=2
	s_or_b64 exec, exec, s[18:19]
	v_lshrrev_b64 v[16:17], 20, v[16:17]
	v_cmp_gt_i32_e32 vcc, 16, v18
	v_cndmask_b32_e32 v17, 0, v17, vcc
	v_cndmask_b32_e32 v16, 7, v16, vcc
	v_cmp_ne_u64_e32 vcc, 0, v[16:17]
	v_cmp_ne_u32_e64 s[18:19], 0, v18
	s_or_b64 s[18:19], s[18:19], vcc
                                        ; implicit-def: $vgpr41
	s_and_saveexec_b64 s[92:93], s[18:19]
	s_xor_b64 s[18:19], exec, s[92:93]
; %bb.11418:                            ;   in Loop: Header=BB6_10271 Depth=2
	v_min_i32_e32 v17, 15, v18
	v_lshl_or_b32 v9, v17, 3, v9
	v_and_or_b32 v41, v16, 7, v9
                                        ; implicit-def: $vgpr9
; %bb.11419:                            ;   in Loop: Header=BB6_10271 Depth=2
	s_andn2_saveexec_b64 s[18:19], s[18:19]
; %bb.11420:                            ;   in Loop: Header=BB6_10271 Depth=2
	v_mov_b32_e32 v41, v9
; %bb.11421:                            ;   in Loop: Header=BB6_10271 Depth=2
	s_or_b64 exec, exec, s[18:19]
.LBB6_11422:                            ;   in Loop: Header=BB6_10271 Depth=2
	s_or_b64 exec, exec, s[90:91]
                                        ; implicit-def: $vgpr9
.LBB6_11423:                            ;   in Loop: Header=BB6_10271 Depth=2
	s_andn2_saveexec_b64 s[18:19], s[88:89]
; %bb.11424:                            ;   in Loop: Header=BB6_10271 Depth=2
	v_or_b32_e32 v41, 0x7e, v9
; %bb.11425:                            ;   in Loop: Header=BB6_10271 Depth=2
	s_or_b64 exec, exec, s[18:19]
                                        ; implicit-def: $vgpr16
.LBB6_11426:                            ;   in Loop: Header=BB6_10271 Depth=2
	s_andn2_saveexec_b64 s[18:19], s[78:79]
; %bb.11427:                            ;   in Loop: Header=BB6_10271 Depth=2
	v_or_b32_sdwa v41, v16, s39 dst_sel:DWORD dst_unused:UNUSED_PAD src0_sel:BYTE_3 src1_sel:DWORD
; %bb.11428:                            ;   in Loop: Header=BB6_10271 Depth=2
	s_or_b64 exec, exec, s[18:19]
	v_and_b32_e32 v16, 0xff, v40
	v_cmp_ne_u16_e32 vcc, 0, v16
	v_mov_b32_e32 v9, 0
	v_mov_b32_e32 v17, 0
	s_and_saveexec_b64 s[18:19], vcc
	s_cbranch_execz .LBB6_11434
; %bb.11429:                            ;   in Loop: Header=BB6_10271 Depth=2
	v_cmp_ne_u16_e32 vcc, s50, v16
	v_bfrev_b32_e32 v17, 1
	s_and_saveexec_b64 s[78:79], vcc
	s_cbranch_execz .LBB6_11433
; %bb.11430:                            ;   in Loop: Header=BB6_10271 Depth=2
	v_and_b32_e32 v18, 0x7f, v40
	v_cmp_ne_u32_e32 vcc, s39, v18
	v_mov_b32_e32 v17, 0x7f800001
	s_and_saveexec_b64 s[88:89], vcc
	s_cbranch_execz .LBB6_11432
; %bb.11431:                            ;   in Loop: Header=BB6_10271 Depth=2
	v_and_b32_e32 v19, 7, v16
	v_ffbh_u32_e32 v17, v19
	v_lshrrev_b32_e32 v20, 3, v18
	v_cmp_gt_u32_e32 vcc, 8, v18
	v_min_u32_e32 v18, 32, v17
	v_subrev_u32_e32 v17, 28, v18
	v_lshlrev_b64 v[16:17], v17, v[16:17]
	v_sub_u32_e32 v17, 29, v18
	v_and_b32_e32 v16, 7, v16
	v_cndmask_b32_e32 v17, v20, v17, vcc
	v_cndmask_b32_e32 v16, v19, v16, vcc
	v_lshlrev_b32_e32 v18, 24, v40
	v_lshlrev_b32_e32 v16, 20, v16
	v_and_b32_e32 v18, 0x80000000, v18
	v_lshl_add_u32 v17, v17, 23, v62
	v_or3_b32 v17, v18, v17, v16
.LBB6_11432:                            ;   in Loop: Header=BB6_10271 Depth=2
	s_or_b64 exec, exec, s[88:89]
.LBB6_11433:                            ;   in Loop: Header=BB6_10271 Depth=2
	s_or_b64 exec, exec, s[78:79]
.LBB6_11434:                            ;   in Loop: Header=BB6_10271 Depth=2
	s_or_b64 exec, exec, s[18:19]
	v_and_b32_e32 v16, 0xff, v8
	v_cmp_ne_u16_e32 vcc, 0, v16
	s_and_saveexec_b64 s[18:19], vcc
	s_cbranch_execz .LBB6_11440
; %bb.11435:                            ;   in Loop: Header=BB6_10271 Depth=2
	v_cmp_ne_u16_e32 vcc, s50, v16
	v_bfrev_b32_e32 v9, 1
	s_and_saveexec_b64 s[78:79], vcc
	s_cbranch_execz .LBB6_11439
; %bb.11436:                            ;   in Loop: Header=BB6_10271 Depth=2
	v_and_b32_e32 v18, 0x7f, v8
	v_cmp_ne_u32_e32 vcc, s39, v18
	v_mov_b32_e32 v9, 0x7f800001
	s_and_saveexec_b64 s[88:89], vcc
	s_cbranch_execz .LBB6_11438
; %bb.11437:                            ;   in Loop: Header=BB6_10271 Depth=2
	v_and_b32_e32 v9, 7, v16
	v_lshrrev_b32_e32 v20, 3, v18
	v_cmp_gt_u32_e32 vcc, 8, v18
	v_ffbh_u32_e32 v18, v9
	v_min_u32_e32 v21, 32, v18
	v_subrev_u32_e32 v18, 28, v21
	v_lshlrev_b64 v[18:19], v18, v[16:17]
	v_sub_u32_e32 v16, 29, v21
	v_and_b32_e32 v18, 7, v18
	v_cndmask_b32_e32 v16, v20, v16, vcc
	v_cndmask_b32_e32 v9, v9, v18, vcc
	v_lshlrev_b32_e32 v8, 24, v8
	v_lshlrev_b32_e32 v9, 20, v9
	v_and_b32_e32 v8, 0x80000000, v8
	v_lshl_add_u32 v16, v16, 23, v62
	v_or3_b32 v9, v8, v16, v9
.LBB6_11438:                            ;   in Loop: Header=BB6_10271 Depth=2
	s_or_b64 exec, exec, s[88:89]
.LBB6_11439:                            ;   in Loop: Header=BB6_10271 Depth=2
	s_or_b64 exec, exec, s[78:79]
.LBB6_11440:                            ;   in Loop: Header=BB6_10271 Depth=2
	s_or_b64 exec, exec, s[18:19]
	v_add_f32_e32 v9, v17, v9
	v_and_b32_e32 v50, 0x7f800000, v9
	v_cmp_ne_u64_e32 vcc, s[46:47], v[50:51]
                                        ; implicit-def: $vgpr40
	s_and_saveexec_b64 s[18:19], vcc
	s_xor_b64 s[78:79], exec, s[18:19]
	s_cbranch_execz .LBB6_11458
; %bb.11441:                            ;   in Loop: Header=BB6_10271 Depth=2
	v_and_b32_e32 v50, 0x7fffffff, v9
	v_cmp_gt_u64_e32 vcc, s[56:57], v[50:51]
	v_and_b32_sdwa v8, v9, s50 dst_sel:DWORD dst_unused:UNUSED_PAD src0_sel:BYTE_3 src1_sel:DWORD
                                        ; implicit-def: $vgpr40
	s_and_saveexec_b64 s[18:19], vcc
	s_xor_b64 s[88:89], exec, s[18:19]
	s_cbranch_execz .LBB6_11455
; %bb.11442:                            ;   in Loop: Header=BB6_10271 Depth=2
	v_cmp_ne_u32_e32 vcc, 0, v9
	v_mov_b32_e32 v40, 0
	s_and_saveexec_b64 s[90:91], vcc
	s_cbranch_execz .LBB6_11454
; %bb.11443:                            ;   in Loop: Header=BB6_10271 Depth=2
	v_and_b32_e32 v16, 0x7fffff, v9
	v_bfe_u32 v9, v9, 23, 8
	v_cmp_gt_u32_e64 s[18:19], s51, v9
	v_sub_u32_e32 v17, 0x79, v9
	v_cmp_eq_u32_e32 vcc, 0, v9
	v_cndmask_b32_e64 v17, 0, v17, s[18:19]
	v_mov_b32_e32 v19, 0x78
	v_or_b32_e32 v18, 0x800000, v16
	v_cndmask_b32_e32 v19, v17, v19, vcc
	v_cndmask_b32_e32 v50, v18, v16, vcc
	v_add_u32_e32 v16, 20, v19
	v_lshlrev_b64 v[16:17], v16, -1
	v_add_u32_e32 v18, 19, v19
	v_lshlrev_b64 v[20:21], v18, 1
	v_bfi_b32 v17, v17, 0, 0
	v_bfi_b32 v16, v16, 0, v50
	v_cmp_eq_u64_e64 s[18:19], v[16:17], v[20:21]
	v_lshrrev_b64 v[16:17], v19, v[50:51]
	v_mov_b32_e32 v18, v17
	v_mov_b32_e32 v17, v16
	s_and_saveexec_b64 s[92:93], s[18:19]
; %bb.11444:                            ;   in Loop: Header=BB6_10271 Depth=2
	v_bfe_u32 v17, v16, 20, 1
	v_add_co_u32_e64 v17, s[18:19], v16, v17
	v_add_co_u32_e64 v17, s[18:19], -1, v17
; %bb.11445:                            ;   in Loop: Header=BB6_10271 Depth=2
	s_or_b64 exec, exec, s[92:93]
	v_add_u32_e32 v9, 0xffffff81, v9
	v_mov_b32_e32 v18, 0xffffff82
	v_cndmask_b32_e32 v9, v9, v18, vcc
	v_lshrrev_b32_e32 v18, 23, v16
	v_add3_u32 v19, v19, v9, v18
	v_add_u32_e32 v18, 6, v19
	v_and_b32_e32 v9, 0xfffff, v17
	v_add_u32_e32 v50, v9, v16
	v_cmp_ne_u32_e32 vcc, 0, v18
                                        ; implicit-def: $vgpr16_vgpr17
                                        ; implicit-def: $vgpr9
	s_and_saveexec_b64 s[18:19], vcc
	s_xor_b64 s[18:19], exec, s[18:19]
; %bb.11446:                            ;   in Loop: Header=BB6_10271 Depth=2
	v_cmp_lt_u64_e32 vcc, s[58:59], v[50:51]
	v_add_u32_e32 v9, 7, v19
	v_cndmask_b32_e64 v16, 0, 1, vcc
	v_lshrrev_b64 v[16:17], v16, v[50:51]
	v_cndmask_b32_e32 v9, v18, v9, vcc
; %bb.11447:                            ;   in Loop: Header=BB6_10271 Depth=2
	s_andn2_saveexec_b64 s[18:19], s[18:19]
; %bb.11448:                            ;   in Loop: Header=BB6_10271 Depth=2
	v_mov_b32_e32 v16, v50
	v_mov_b32_e32 v17, v51
	v_bfe_u32 v9, v50, 23, 1
; %bb.11449:                            ;   in Loop: Header=BB6_10271 Depth=2
	s_or_b64 exec, exec, s[18:19]
	v_lshrrev_b64 v[16:17], 20, v[16:17]
	v_cmp_gt_i32_e32 vcc, 16, v9
	v_cndmask_b32_e32 v17, 0, v17, vcc
	v_cndmask_b32_e32 v16, 7, v16, vcc
	v_cmp_ne_u64_e32 vcc, 0, v[16:17]
	v_cmp_ne_u32_e64 s[18:19], 0, v9
	s_or_b64 s[18:19], s[18:19], vcc
                                        ; implicit-def: $vgpr40
	s_and_saveexec_b64 s[92:93], s[18:19]
	s_xor_b64 s[18:19], exec, s[92:93]
; %bb.11450:                            ;   in Loop: Header=BB6_10271 Depth=2
	v_min_i32_e32 v9, 15, v9
	v_lshl_or_b32 v8, v9, 3, v8
	v_and_or_b32 v40, v16, 7, v8
                                        ; implicit-def: $vgpr8
; %bb.11451:                            ;   in Loop: Header=BB6_10271 Depth=2
	s_andn2_saveexec_b64 s[18:19], s[18:19]
; %bb.11452:                            ;   in Loop: Header=BB6_10271 Depth=2
	v_mov_b32_e32 v40, v8
; %bb.11453:                            ;   in Loop: Header=BB6_10271 Depth=2
	s_or_b64 exec, exec, s[18:19]
.LBB6_11454:                            ;   in Loop: Header=BB6_10271 Depth=2
	s_or_b64 exec, exec, s[90:91]
                                        ; implicit-def: $vgpr8
.LBB6_11455:                            ;   in Loop: Header=BB6_10271 Depth=2
	s_andn2_saveexec_b64 s[18:19], s[88:89]
; %bb.11456:                            ;   in Loop: Header=BB6_10271 Depth=2
	v_or_b32_e32 v40, 0x7e, v8
; %bb.11457:                            ;   in Loop: Header=BB6_10271 Depth=2
	s_or_b64 exec, exec, s[18:19]
                                        ; implicit-def: $vgpr9
.LBB6_11458:                            ;   in Loop: Header=BB6_10271 Depth=2
	s_andn2_saveexec_b64 s[18:19], s[78:79]
; %bb.11459:                            ;   in Loop: Header=BB6_10271 Depth=2
	v_or_b32_sdwa v40, v9, s39 dst_sel:DWORD dst_unused:UNUSED_PAD src0_sel:BYTE_3 src1_sel:DWORD
; %bb.11460:                            ;   in Loop: Header=BB6_10271 Depth=2
	s_or_b64 exec, exec, s[18:19]
	v_and_b32_e32 v16, 0xff, v55
	v_cmp_ne_u16_e32 vcc, 0, v16
	v_mov_b32_e32 v8, 0
	v_mov_b32_e32 v9, 0
	s_and_saveexec_b64 s[18:19], vcc
	s_cbranch_execz .LBB6_11466
; %bb.11461:                            ;   in Loop: Header=BB6_10271 Depth=2
	v_cmp_ne_u16_e32 vcc, s50, v16
	v_bfrev_b32_e32 v9, 1
	s_and_saveexec_b64 s[78:79], vcc
	s_cbranch_execz .LBB6_11465
; %bb.11462:                            ;   in Loop: Header=BB6_10271 Depth=2
	v_and_b32_e32 v17, 0x7f, v55
	v_cmp_ne_u32_e32 vcc, s39, v17
	v_mov_b32_e32 v9, 0x7f800001
	s_and_saveexec_b64 s[88:89], vcc
	s_cbranch_execz .LBB6_11464
; %bb.11463:                            ;   in Loop: Header=BB6_10271 Depth=2
	v_and_b32_e32 v9, 7, v16
	v_lshrrev_b32_e32 v18, 3, v17
	v_cmp_gt_u32_e32 vcc, 8, v17
	v_ffbh_u32_e32 v17, v9
	v_min_u32_e32 v19, 32, v17
	v_subrev_u32_e32 v17, 28, v19
	v_lshlrev_b64 v[16:17], v17, v[16:17]
	v_sub_u32_e32 v17, 29, v19
	v_and_b32_e32 v16, 7, v16
	v_cndmask_b32_e32 v17, v18, v17, vcc
	v_cndmask_b32_e32 v9, v9, v16, vcc
	v_lshlrev_b32_e32 v16, 24, v55
	v_lshlrev_b32_e32 v9, 20, v9
	v_and_b32_e32 v16, 0x80000000, v16
	v_lshl_add_u32 v17, v17, 23, v62
	v_or3_b32 v9, v16, v17, v9
.LBB6_11464:                            ;   in Loop: Header=BB6_10271 Depth=2
	s_or_b64 exec, exec, s[88:89]
.LBB6_11465:                            ;   in Loop: Header=BB6_10271 Depth=2
	s_or_b64 exec, exec, s[78:79]
.LBB6_11466:                            ;   in Loop: Header=BB6_10271 Depth=2
	s_or_b64 exec, exec, s[18:19]
	v_and_b32_e32 v16, 0xff, v0
	v_cmp_ne_u16_e32 vcc, 0, v16
	s_and_saveexec_b64 s[18:19], vcc
	s_cbranch_execz .LBB6_11472
; %bb.11467:                            ;   in Loop: Header=BB6_10271 Depth=2
	v_cmp_ne_u16_e32 vcc, s50, v16
	v_bfrev_b32_e32 v8, 1
	s_and_saveexec_b64 s[78:79], vcc
	s_cbranch_execz .LBB6_11471
; %bb.11468:                            ;   in Loop: Header=BB6_10271 Depth=2
	v_and_b32_e32 v17, 0x7f, v0
	v_cmp_ne_u32_e32 vcc, s39, v17
	v_mov_b32_e32 v8, 0x7f800001
	s_and_saveexec_b64 s[88:89], vcc
	s_cbranch_execz .LBB6_11470
; %bb.11469:                            ;   in Loop: Header=BB6_10271 Depth=2
	v_and_b32_e32 v8, 7, v16
	v_lshrrev_b32_e32 v18, 3, v17
	v_cmp_gt_u32_e32 vcc, 8, v17
	v_ffbh_u32_e32 v17, v8
	v_min_u32_e32 v19, 32, v17
	v_subrev_u32_e32 v17, 28, v19
	v_lshlrev_b64 v[16:17], v17, v[16:17]
	v_sub_u32_e32 v17, 29, v19
	v_and_b32_e32 v16, 7, v16
	v_cndmask_b32_e32 v17, v18, v17, vcc
	v_cndmask_b32_e32 v8, v8, v16, vcc
	v_lshlrev_b32_e32 v0, 24, v0
	v_lshlrev_b32_e32 v8, 20, v8
	v_and_b32_e32 v0, 0x80000000, v0
	v_lshl_add_u32 v16, v17, 23, v62
	v_or3_b32 v8, v0, v16, v8
.LBB6_11470:                            ;   in Loop: Header=BB6_10271 Depth=2
	s_or_b64 exec, exec, s[88:89]
.LBB6_11471:                            ;   in Loop: Header=BB6_10271 Depth=2
	s_or_b64 exec, exec, s[78:79]
.LBB6_11472:                            ;   in Loop: Header=BB6_10271 Depth=2
	s_or_b64 exec, exec, s[18:19]
	v_add_f32_e32 v8, v9, v8
	v_and_b32_e32 v50, 0x7f800000, v8
	v_cmp_ne_u64_e32 vcc, s[46:47], v[50:51]
                                        ; implicit-def: $vgpr55
	s_and_saveexec_b64 s[18:19], vcc
	s_xor_b64 s[78:79], exec, s[18:19]
	s_cbranch_execz .LBB6_11490
; %bb.11473:                            ;   in Loop: Header=BB6_10271 Depth=2
	v_and_b32_e32 v50, 0x7fffffff, v8
	v_cmp_gt_u64_e32 vcc, s[56:57], v[50:51]
	v_and_b32_sdwa v0, v8, s50 dst_sel:DWORD dst_unused:UNUSED_PAD src0_sel:BYTE_3 src1_sel:DWORD
                                        ; implicit-def: $vgpr55
	s_and_saveexec_b64 s[18:19], vcc
	s_xor_b64 s[88:89], exec, s[18:19]
	s_cbranch_execz .LBB6_11487
; %bb.11474:                            ;   in Loop: Header=BB6_10271 Depth=2
	v_cmp_ne_u32_e32 vcc, 0, v8
	v_mov_b32_e32 v55, 0
	s_and_saveexec_b64 s[90:91], vcc
	s_cbranch_execz .LBB6_11486
; %bb.11475:                            ;   in Loop: Header=BB6_10271 Depth=2
	v_and_b32_e32 v16, 0x7fffff, v8
	v_bfe_u32 v8, v8, 23, 8
	v_cmp_gt_u32_e64 s[18:19], s51, v8
	v_sub_u32_e32 v9, 0x79, v8
	v_cmp_eq_u32_e32 vcc, 0, v8
	v_cndmask_b32_e64 v9, 0, v9, s[18:19]
	v_mov_b32_e32 v18, 0x78
	v_or_b32_e32 v17, 0x800000, v16
	v_cndmask_b32_e32 v9, v9, v18, vcc
	v_cndmask_b32_e32 v50, v17, v16, vcc
	v_add_u32_e32 v16, 20, v9
	v_lshlrev_b64 v[16:17], v16, -1
	v_add_u32_e32 v18, 19, v9
	v_lshlrev_b64 v[18:19], v18, 1
	v_bfi_b32 v17, v17, 0, 0
	v_bfi_b32 v16, v16, 0, v50
	v_cmp_eq_u64_e64 s[18:19], v[16:17], v[18:19]
	v_lshrrev_b64 v[16:17], v9, v[50:51]
	v_mov_b32_e32 v18, v17
	v_mov_b32_e32 v17, v16
	s_and_saveexec_b64 s[92:93], s[18:19]
; %bb.11476:                            ;   in Loop: Header=BB6_10271 Depth=2
	v_bfe_u32 v17, v16, 20, 1
	v_add_co_u32_e64 v17, s[18:19], v16, v17
	v_add_co_u32_e64 v17, s[18:19], -1, v17
; %bb.11477:                            ;   in Loop: Header=BB6_10271 Depth=2
	s_or_b64 exec, exec, s[92:93]
	v_add_u32_e32 v8, 0xffffff81, v8
	v_mov_b32_e32 v18, 0xffffff82
	v_cndmask_b32_e32 v8, v8, v18, vcc
	v_lshrrev_b32_e32 v18, 23, v16
	v_add3_u32 v18, v9, v8, v18
	v_add_u32_e32 v9, 6, v18
	v_and_b32_e32 v8, 0xfffff, v17
	v_add_u32_e32 v50, v8, v16
	v_cmp_ne_u32_e32 vcc, 0, v9
                                        ; implicit-def: $vgpr16_vgpr17
                                        ; implicit-def: $vgpr8
	s_and_saveexec_b64 s[18:19], vcc
	s_xor_b64 s[18:19], exec, s[18:19]
; %bb.11478:                            ;   in Loop: Header=BB6_10271 Depth=2
	v_cmp_lt_u64_e32 vcc, s[58:59], v[50:51]
	v_add_u32_e32 v8, 7, v18
	v_cndmask_b32_e32 v8, v9, v8, vcc
	v_cndmask_b32_e64 v9, 0, 1, vcc
	v_lshrrev_b64 v[16:17], v9, v[50:51]
; %bb.11479:                            ;   in Loop: Header=BB6_10271 Depth=2
	s_andn2_saveexec_b64 s[18:19], s[18:19]
; %bb.11480:                            ;   in Loop: Header=BB6_10271 Depth=2
	v_mov_b32_e32 v16, v50
	v_mov_b32_e32 v17, v51
	v_bfe_u32 v8, v50, 23, 1
; %bb.11481:                            ;   in Loop: Header=BB6_10271 Depth=2
	s_or_b64 exec, exec, s[18:19]
	v_lshrrev_b64 v[16:17], 20, v[16:17]
	v_cmp_gt_i32_e32 vcc, 16, v8
	v_cndmask_b32_e32 v17, 0, v17, vcc
	v_cndmask_b32_e32 v16, 7, v16, vcc
	v_cmp_ne_u64_e32 vcc, 0, v[16:17]
	v_cmp_ne_u32_e64 s[18:19], 0, v8
	s_or_b64 s[18:19], s[18:19], vcc
                                        ; implicit-def: $vgpr55
	s_and_saveexec_b64 s[92:93], s[18:19]
	s_xor_b64 s[18:19], exec, s[92:93]
; %bb.11482:                            ;   in Loop: Header=BB6_10271 Depth=2
	v_min_i32_e32 v8, 15, v8
	v_lshl_or_b32 v0, v8, 3, v0
	v_and_or_b32 v55, v16, 7, v0
                                        ; implicit-def: $vgpr0
; %bb.11483:                            ;   in Loop: Header=BB6_10271 Depth=2
	s_andn2_saveexec_b64 s[18:19], s[18:19]
; %bb.11484:                            ;   in Loop: Header=BB6_10271 Depth=2
	v_mov_b32_e32 v55, v0
; %bb.11485:                            ;   in Loop: Header=BB6_10271 Depth=2
	s_or_b64 exec, exec, s[18:19]
.LBB6_11486:                            ;   in Loop: Header=BB6_10271 Depth=2
	s_or_b64 exec, exec, s[90:91]
                                        ; implicit-def: $vgpr0
.LBB6_11487:                            ;   in Loop: Header=BB6_10271 Depth=2
	s_andn2_saveexec_b64 s[18:19], s[88:89]
; %bb.11488:                            ;   in Loop: Header=BB6_10271 Depth=2
	v_or_b32_e32 v55, 0x7e, v0
; %bb.11489:                            ;   in Loop: Header=BB6_10271 Depth=2
	s_or_b64 exec, exec, s[18:19]
                                        ; implicit-def: $vgpr8
.LBB6_11490:                            ;   in Loop: Header=BB6_10271 Depth=2
	s_andn2_saveexec_b64 s[18:19], s[78:79]
; %bb.11491:                            ;   in Loop: Header=BB6_10271 Depth=2
	v_or_b32_sdwa v55, v8, s39 dst_sel:DWORD dst_unused:UNUSED_PAD src0_sel:BYTE_3 src1_sel:DWORD
; %bb.11492:                            ;   in Loop: Header=BB6_10271 Depth=2
	s_or_b64 exec, exec, s[18:19]
	v_and_b32_e32 v16, 0xff, v54
	v_cmp_ne_u16_e32 vcc, 0, v16
	v_mov_b32_e32 v0, 0
	v_mov_b32_e32 v8, 0
	s_and_saveexec_b64 s[18:19], vcc
	s_cbranch_execz .LBB6_11498
; %bb.11493:                            ;   in Loop: Header=BB6_10271 Depth=2
	v_cmp_ne_u16_e32 vcc, s50, v16
	v_bfrev_b32_e32 v8, 1
	s_and_saveexec_b64 s[78:79], vcc
	s_cbranch_execz .LBB6_11497
; %bb.11494:                            ;   in Loop: Header=BB6_10271 Depth=2
	v_and_b32_e32 v9, 0x7f, v54
	v_cmp_ne_u32_e32 vcc, s39, v9
	v_mov_b32_e32 v8, 0x7f800001
	s_and_saveexec_b64 s[88:89], vcc
	s_cbranch_execz .LBB6_11496
; %bb.11495:                            ;   in Loop: Header=BB6_10271 Depth=2
	v_and_b32_e32 v17, 7, v16
	v_ffbh_u32_e32 v8, v17
	v_min_u32_e32 v19, 32, v8
	v_subrev_u32_e32 v8, 28, v19
	v_lshrrev_b32_e32 v18, 3, v9
	v_cmp_gt_u32_e32 vcc, 8, v9
	v_lshlrev_b64 v[8:9], v8, v[16:17]
	v_sub_u32_e32 v9, 29, v19
	v_and_b32_e32 v8, 7, v8
	v_cndmask_b32_e32 v9, v18, v9, vcc
	v_cndmask_b32_e32 v8, v17, v8, vcc
	v_lshlrev_b32_e32 v16, 24, v54
	v_lshlrev_b32_e32 v8, 20, v8
	v_and_b32_e32 v16, 0x80000000, v16
	v_lshl_add_u32 v9, v9, 23, v62
	v_or3_b32 v8, v16, v9, v8
.LBB6_11496:                            ;   in Loop: Header=BB6_10271 Depth=2
	s_or_b64 exec, exec, s[88:89]
.LBB6_11497:                            ;   in Loop: Header=BB6_10271 Depth=2
	s_or_b64 exec, exec, s[78:79]
.LBB6_11498:                            ;   in Loop: Header=BB6_10271 Depth=2
	s_or_b64 exec, exec, s[18:19]
	v_and_b32_e32 v16, 0xff, v24
	v_cmp_ne_u16_e32 vcc, 0, v16
	s_and_saveexec_b64 s[18:19], vcc
	s_cbranch_execz .LBB6_11504
; %bb.11499:                            ;   in Loop: Header=BB6_10271 Depth=2
	v_cmp_ne_u16_e32 vcc, s50, v16
	v_bfrev_b32_e32 v0, 1
	s_and_saveexec_b64 s[78:79], vcc
	s_cbranch_execz .LBB6_11503
; %bb.11500:                            ;   in Loop: Header=BB6_10271 Depth=2
	v_and_b32_e32 v9, 0x7f, v24
	v_cmp_ne_u32_e32 vcc, s39, v9
	v_mov_b32_e32 v0, 0x7f800001
	s_and_saveexec_b64 s[88:89], vcc
	s_cbranch_execz .LBB6_11502
; %bb.11501:                            ;   in Loop: Header=BB6_10271 Depth=2
	v_and_b32_e32 v0, 7, v16
	v_lshrrev_b32_e32 v18, 3, v9
	v_cmp_gt_u32_e32 vcc, 8, v9
	v_ffbh_u32_e32 v9, v0
	v_min_u32_e32 v9, 32, v9
	v_subrev_u32_e32 v17, 28, v9
	v_lshlrev_b64 v[16:17], v17, v[16:17]
	v_sub_u32_e32 v9, 29, v9
	v_and_b32_e32 v16, 7, v16
	v_cndmask_b32_e32 v9, v18, v9, vcc
	v_cndmask_b32_e32 v0, v0, v16, vcc
	v_lshlrev_b32_e32 v16, 24, v24
	v_lshlrev_b32_e32 v0, 20, v0
	v_and_b32_e32 v16, 0x80000000, v16
	v_lshl_add_u32 v9, v9, 23, v62
	v_or3_b32 v0, v16, v9, v0
.LBB6_11502:                            ;   in Loop: Header=BB6_10271 Depth=2
	s_or_b64 exec, exec, s[88:89]
.LBB6_11503:                            ;   in Loop: Header=BB6_10271 Depth=2
	s_or_b64 exec, exec, s[78:79]
.LBB6_11504:                            ;   in Loop: Header=BB6_10271 Depth=2
	s_or_b64 exec, exec, s[18:19]
	v_add_f32_e32 v8, v8, v0
	v_and_b32_e32 v50, 0x7f800000, v8
	v_cmp_ne_u64_e32 vcc, s[46:47], v[50:51]
                                        ; implicit-def: $vgpr54
	s_and_saveexec_b64 s[18:19], vcc
	s_xor_b64 s[78:79], exec, s[18:19]
	s_cbranch_execz .LBB6_11522
; %bb.11505:                            ;   in Loop: Header=BB6_10271 Depth=2
	v_and_b32_e32 v50, 0x7fffffff, v8
	v_cmp_gt_u64_e32 vcc, s[56:57], v[50:51]
	v_and_b32_sdwa v0, v8, s50 dst_sel:DWORD dst_unused:UNUSED_PAD src0_sel:BYTE_3 src1_sel:DWORD
                                        ; implicit-def: $vgpr54
	s_and_saveexec_b64 s[18:19], vcc
	s_xor_b64 s[88:89], exec, s[18:19]
	s_cbranch_execz .LBB6_11519
; %bb.11506:                            ;   in Loop: Header=BB6_10271 Depth=2
	v_cmp_ne_u32_e32 vcc, 0, v8
	v_mov_b32_e32 v54, 0
	s_and_saveexec_b64 s[90:91], vcc
	s_cbranch_execz .LBB6_11518
; %bb.11507:                            ;   in Loop: Header=BB6_10271 Depth=2
	v_and_b32_e32 v16, 0x7fffff, v8
	v_bfe_u32 v8, v8, 23, 8
	v_cmp_gt_u32_e64 s[18:19], s51, v8
	v_sub_u32_e32 v9, 0x79, v8
	v_cmp_eq_u32_e32 vcc, 0, v8
	v_cndmask_b32_e64 v9, 0, v9, s[18:19]
	v_mov_b32_e32 v18, 0x78
	v_or_b32_e32 v17, 0x800000, v16
	v_cndmask_b32_e32 v9, v9, v18, vcc
	v_cndmask_b32_e32 v50, v17, v16, vcc
	v_add_u32_e32 v16, 20, v9
	v_lshlrev_b64 v[16:17], v16, -1
	v_add_u32_e32 v18, 19, v9
	v_lshlrev_b64 v[18:19], v18, 1
	v_bfi_b32 v17, v17, 0, 0
	v_bfi_b32 v16, v16, 0, v50
	v_cmp_eq_u64_e64 s[18:19], v[16:17], v[18:19]
	v_lshrrev_b64 v[16:17], v9, v[50:51]
	v_mov_b32_e32 v18, v17
	v_mov_b32_e32 v17, v16
	s_and_saveexec_b64 s[92:93], s[18:19]
; %bb.11508:                            ;   in Loop: Header=BB6_10271 Depth=2
	v_bfe_u32 v17, v16, 20, 1
	v_add_co_u32_e64 v17, s[18:19], v16, v17
	v_add_co_u32_e64 v17, s[18:19], -1, v17
; %bb.11509:                            ;   in Loop: Header=BB6_10271 Depth=2
	s_or_b64 exec, exec, s[92:93]
	v_add_u32_e32 v8, 0xffffff81, v8
	v_mov_b32_e32 v18, 0xffffff82
	v_cndmask_b32_e32 v8, v8, v18, vcc
	v_lshrrev_b32_e32 v18, 23, v16
	v_add3_u32 v18, v9, v8, v18
	v_add_u32_e32 v9, 6, v18
	v_and_b32_e32 v8, 0xfffff, v17
	v_add_u32_e32 v50, v8, v16
	v_cmp_ne_u32_e32 vcc, 0, v9
                                        ; implicit-def: $vgpr16_vgpr17
                                        ; implicit-def: $vgpr8
	s_and_saveexec_b64 s[18:19], vcc
	s_xor_b64 s[18:19], exec, s[18:19]
; %bb.11510:                            ;   in Loop: Header=BB6_10271 Depth=2
	v_cmp_lt_u64_e32 vcc, s[58:59], v[50:51]
	v_add_u32_e32 v8, 7, v18
	v_cndmask_b32_e32 v8, v9, v8, vcc
	v_cndmask_b32_e64 v9, 0, 1, vcc
	v_lshrrev_b64 v[16:17], v9, v[50:51]
; %bb.11511:                            ;   in Loop: Header=BB6_10271 Depth=2
	s_andn2_saveexec_b64 s[18:19], s[18:19]
; %bb.11512:                            ;   in Loop: Header=BB6_10271 Depth=2
	v_mov_b32_e32 v16, v50
	v_mov_b32_e32 v17, v51
	v_bfe_u32 v8, v50, 23, 1
; %bb.11513:                            ;   in Loop: Header=BB6_10271 Depth=2
	s_or_b64 exec, exec, s[18:19]
	v_lshrrev_b64 v[16:17], 20, v[16:17]
	v_cmp_gt_i32_e32 vcc, 16, v8
	v_cndmask_b32_e32 v17, 0, v17, vcc
	v_cndmask_b32_e32 v16, 7, v16, vcc
	v_cmp_ne_u64_e32 vcc, 0, v[16:17]
	v_cmp_ne_u32_e64 s[18:19], 0, v8
	s_or_b64 s[18:19], s[18:19], vcc
                                        ; implicit-def: $vgpr54
	s_and_saveexec_b64 s[92:93], s[18:19]
	s_xor_b64 s[18:19], exec, s[92:93]
; %bb.11514:                            ;   in Loop: Header=BB6_10271 Depth=2
	v_min_i32_e32 v8, 15, v8
	v_lshl_or_b32 v0, v8, 3, v0
	v_and_or_b32 v54, v16, 7, v0
                                        ; implicit-def: $vgpr0
; %bb.11515:                            ;   in Loop: Header=BB6_10271 Depth=2
	s_andn2_saveexec_b64 s[18:19], s[18:19]
; %bb.11516:                            ;   in Loop: Header=BB6_10271 Depth=2
	v_mov_b32_e32 v54, v0
; %bb.11517:                            ;   in Loop: Header=BB6_10271 Depth=2
	s_or_b64 exec, exec, s[18:19]
.LBB6_11518:                            ;   in Loop: Header=BB6_10271 Depth=2
	s_or_b64 exec, exec, s[90:91]
                                        ; implicit-def: $vgpr0
.LBB6_11519:                            ;   in Loop: Header=BB6_10271 Depth=2
	s_andn2_saveexec_b64 s[18:19], s[88:89]
; %bb.11520:                            ;   in Loop: Header=BB6_10271 Depth=2
	v_or_b32_e32 v54, 0x7e, v0
; %bb.11521:                            ;   in Loop: Header=BB6_10271 Depth=2
	s_or_b64 exec, exec, s[18:19]
                                        ; implicit-def: $vgpr8
.LBB6_11522:                            ;   in Loop: Header=BB6_10271 Depth=2
	s_andn2_saveexec_b64 s[18:19], s[78:79]
; %bb.11523:                            ;   in Loop: Header=BB6_10271 Depth=2
	v_or_b32_sdwa v54, v8, s39 dst_sel:DWORD dst_unused:UNUSED_PAD src0_sel:BYTE_3 src1_sel:DWORD
; %bb.11524:                            ;   in Loop: Header=BB6_10271 Depth=2
	s_or_b64 exec, exec, s[18:19]
	v_and_b32_e32 v16, 0xff, v38
	v_cmp_ne_u16_e32 vcc, 0, v16
	v_mov_b32_e32 v0, 0
	v_mov_b32_e32 v8, 0
	s_and_saveexec_b64 s[18:19], vcc
	s_cbranch_execz .LBB6_11530
; %bb.11525:                            ;   in Loop: Header=BB6_10271 Depth=2
	v_cmp_ne_u16_e32 vcc, s50, v16
	v_bfrev_b32_e32 v8, 1
	s_and_saveexec_b64 s[78:79], vcc
	s_cbranch_execz .LBB6_11529
; %bb.11526:                            ;   in Loop: Header=BB6_10271 Depth=2
	v_and_b32_e32 v9, 0x7f, v38
	v_cmp_ne_u32_e32 vcc, s39, v9
	v_mov_b32_e32 v8, 0x7f800001
	s_and_saveexec_b64 s[88:89], vcc
	s_cbranch_execz .LBB6_11528
; %bb.11527:                            ;   in Loop: Header=BB6_10271 Depth=2
	v_and_b32_e32 v17, 7, v16
	v_ffbh_u32_e32 v8, v17
	v_min_u32_e32 v19, 32, v8
	v_subrev_u32_e32 v8, 28, v19
	v_lshrrev_b32_e32 v18, 3, v9
	v_cmp_gt_u32_e32 vcc, 8, v9
	v_lshlrev_b64 v[8:9], v8, v[16:17]
	v_sub_u32_e32 v9, 29, v19
	v_and_b32_e32 v8, 7, v8
	v_cndmask_b32_e32 v9, v18, v9, vcc
	v_cndmask_b32_e32 v8, v17, v8, vcc
	v_lshlrev_b32_e32 v16, 24, v38
	v_lshlrev_b32_e32 v8, 20, v8
	v_and_b32_e32 v16, 0x80000000, v16
	v_lshl_add_u32 v9, v9, 23, v62
	v_or3_b32 v8, v16, v9, v8
.LBB6_11528:                            ;   in Loop: Header=BB6_10271 Depth=2
	s_or_b64 exec, exec, s[88:89]
.LBB6_11529:                            ;   in Loop: Header=BB6_10271 Depth=2
	s_or_b64 exec, exec, s[78:79]
.LBB6_11530:                            ;   in Loop: Header=BB6_10271 Depth=2
	s_or_b64 exec, exec, s[18:19]
	v_and_b32_e32 v16, 0xff, v1
	v_cmp_ne_u16_e32 vcc, 0, v16
	s_and_saveexec_b64 s[18:19], vcc
	s_cbranch_execz .LBB6_11536
; %bb.11531:                            ;   in Loop: Header=BB6_10271 Depth=2
	v_cmp_ne_u16_e32 vcc, s50, v16
	v_bfrev_b32_e32 v0, 1
	s_and_saveexec_b64 s[78:79], vcc
	s_cbranch_execz .LBB6_11535
; %bb.11532:                            ;   in Loop: Header=BB6_10271 Depth=2
	v_and_b32_e32 v9, 0x7f, v1
	v_cmp_ne_u32_e32 vcc, s39, v9
	v_mov_b32_e32 v0, 0x7f800001
	s_and_saveexec_b64 s[88:89], vcc
	s_cbranch_execz .LBB6_11534
; %bb.11533:                            ;   in Loop: Header=BB6_10271 Depth=2
	v_and_b32_e32 v0, 7, v16
	v_lshrrev_b32_e32 v18, 3, v9
	v_cmp_gt_u32_e32 vcc, 8, v9
	v_ffbh_u32_e32 v9, v0
	v_min_u32_e32 v9, 32, v9
	v_subrev_u32_e32 v17, 28, v9
	v_lshlrev_b64 v[16:17], v17, v[16:17]
	v_sub_u32_e32 v9, 29, v9
	v_and_b32_e32 v16, 7, v16
	v_cndmask_b32_e32 v9, v18, v9, vcc
	v_cndmask_b32_e32 v0, v0, v16, vcc
	v_lshlrev_b32_e32 v1, 24, v1
	v_lshlrev_b32_e32 v0, 20, v0
	v_and_b32_e32 v1, 0x80000000, v1
	v_lshl_add_u32 v9, v9, 23, v62
	v_or3_b32 v0, v1, v9, v0
.LBB6_11534:                            ;   in Loop: Header=BB6_10271 Depth=2
	s_or_b64 exec, exec, s[88:89]
.LBB6_11535:                            ;   in Loop: Header=BB6_10271 Depth=2
	s_or_b64 exec, exec, s[78:79]
.LBB6_11536:                            ;   in Loop: Header=BB6_10271 Depth=2
	s_or_b64 exec, exec, s[18:19]
	v_add_f32_e32 v1, v8, v0
	v_and_b32_e32 v50, 0x7f800000, v1
	v_cmp_ne_u64_e32 vcc, s[46:47], v[50:51]
                                        ; implicit-def: $vgpr38
	s_and_saveexec_b64 s[18:19], vcc
	s_xor_b64 s[78:79], exec, s[18:19]
	s_cbranch_execz .LBB6_11554
; %bb.11537:                            ;   in Loop: Header=BB6_10271 Depth=2
	v_and_b32_e32 v50, 0x7fffffff, v1
	v_cmp_gt_u64_e32 vcc, s[56:57], v[50:51]
	v_and_b32_sdwa v0, v1, s50 dst_sel:DWORD dst_unused:UNUSED_PAD src0_sel:BYTE_3 src1_sel:DWORD
                                        ; implicit-def: $vgpr38
	s_and_saveexec_b64 s[18:19], vcc
	s_xor_b64 s[88:89], exec, s[18:19]
	s_cbranch_execz .LBB6_11551
; %bb.11538:                            ;   in Loop: Header=BB6_10271 Depth=2
	v_cmp_ne_u32_e32 vcc, 0, v1
	v_mov_b32_e32 v38, 0
	s_and_saveexec_b64 s[90:91], vcc
	s_cbranch_execz .LBB6_11550
; %bb.11539:                            ;   in Loop: Header=BB6_10271 Depth=2
	v_and_b32_e32 v9, 0x7fffff, v1
	v_bfe_u32 v1, v1, 23, 8
	v_cmp_gt_u32_e64 s[18:19], s51, v1
	v_sub_u32_e32 v8, 0x79, v1
	v_cmp_eq_u32_e32 vcc, 0, v1
	v_cndmask_b32_e64 v8, 0, v8, s[18:19]
	v_mov_b32_e32 v17, 0x78
	v_or_b32_e32 v16, 0x800000, v9
	v_cndmask_b32_e32 v8, v8, v17, vcc
	v_cndmask_b32_e32 v50, v16, v9, vcc
	v_add_u32_e32 v9, 20, v8
	v_lshlrev_b64 v[16:17], v9, -1
	v_add_u32_e32 v9, 19, v8
	v_lshlrev_b64 v[18:19], v9, 1
	v_bfi_b32 v17, v17, 0, 0
	v_bfi_b32 v16, v16, 0, v50
	v_cmp_eq_u64_e64 s[18:19], v[16:17], v[18:19]
	v_lshrrev_b64 v[16:17], v8, v[50:51]
	v_mov_b32_e32 v18, v17
	v_mov_b32_e32 v17, v16
	s_and_saveexec_b64 s[92:93], s[18:19]
; %bb.11540:                            ;   in Loop: Header=BB6_10271 Depth=2
	v_bfe_u32 v9, v16, 20, 1
	v_add_co_u32_e64 v9, s[18:19], v16, v9
	v_add_co_u32_e64 v17, s[18:19], -1, v9
; %bb.11541:                            ;   in Loop: Header=BB6_10271 Depth=2
	s_or_b64 exec, exec, s[92:93]
	v_add_u32_e32 v1, 0xffffff81, v1
	v_mov_b32_e32 v9, 0xffffff82
	v_cndmask_b32_e32 v1, v1, v9, vcc
	v_lshrrev_b32_e32 v9, 23, v16
	v_add3_u32 v9, v8, v1, v9
	v_add_u32_e32 v8, 6, v9
	v_and_b32_e32 v1, 0xfffff, v17
	v_add_u32_e32 v50, v1, v16
	v_cmp_ne_u32_e32 vcc, 0, v8
                                        ; implicit-def: $vgpr16_vgpr17
                                        ; implicit-def: $vgpr1
	s_and_saveexec_b64 s[18:19], vcc
	s_xor_b64 s[18:19], exec, s[18:19]
; %bb.11542:                            ;   in Loop: Header=BB6_10271 Depth=2
	v_cmp_lt_u64_e32 vcc, s[58:59], v[50:51]
	v_add_u32_e32 v1, 7, v9
	v_cndmask_b32_e32 v1, v8, v1, vcc
	v_cndmask_b32_e64 v8, 0, 1, vcc
	v_lshrrev_b64 v[16:17], v8, v[50:51]
; %bb.11543:                            ;   in Loop: Header=BB6_10271 Depth=2
	s_andn2_saveexec_b64 s[18:19], s[18:19]
; %bb.11544:                            ;   in Loop: Header=BB6_10271 Depth=2
	v_mov_b32_e32 v16, v50
	v_mov_b32_e32 v17, v51
	v_bfe_u32 v1, v50, 23, 1
; %bb.11545:                            ;   in Loop: Header=BB6_10271 Depth=2
	s_or_b64 exec, exec, s[18:19]
	v_lshrrev_b64 v[8:9], 20, v[16:17]
	v_cmp_gt_i32_e32 vcc, 16, v1
	v_cndmask_b32_e32 v17, 0, v9, vcc
	v_cndmask_b32_e32 v16, 7, v8, vcc
	v_cmp_ne_u64_e32 vcc, 0, v[16:17]
	v_cmp_ne_u32_e64 s[18:19], 0, v1
	s_or_b64 s[18:19], s[18:19], vcc
                                        ; implicit-def: $vgpr38
	s_and_saveexec_b64 s[92:93], s[18:19]
	s_xor_b64 s[18:19], exec, s[92:93]
; %bb.11546:                            ;   in Loop: Header=BB6_10271 Depth=2
	v_min_i32_e32 v1, 15, v1
	v_lshl_or_b32 v0, v1, 3, v0
	v_and_or_b32 v38, v16, 7, v0
                                        ; implicit-def: $vgpr0
; %bb.11547:                            ;   in Loop: Header=BB6_10271 Depth=2
	s_andn2_saveexec_b64 s[18:19], s[18:19]
; %bb.11548:                            ;   in Loop: Header=BB6_10271 Depth=2
	v_mov_b32_e32 v38, v0
; %bb.11549:                            ;   in Loop: Header=BB6_10271 Depth=2
	s_or_b64 exec, exec, s[18:19]
.LBB6_11550:                            ;   in Loop: Header=BB6_10271 Depth=2
	s_or_b64 exec, exec, s[90:91]
                                        ; implicit-def: $vgpr0
.LBB6_11551:                            ;   in Loop: Header=BB6_10271 Depth=2
	s_andn2_saveexec_b64 s[18:19], s[88:89]
; %bb.11552:                            ;   in Loop: Header=BB6_10271 Depth=2
	v_or_b32_e32 v38, 0x7e, v0
; %bb.11553:                            ;   in Loop: Header=BB6_10271 Depth=2
	s_or_b64 exec, exec, s[18:19]
                                        ; implicit-def: $vgpr1
.LBB6_11554:                            ;   in Loop: Header=BB6_10271 Depth=2
	s_andn2_saveexec_b64 s[18:19], s[78:79]
; %bb.11555:                            ;   in Loop: Header=BB6_10271 Depth=2
	v_or_b32_sdwa v38, v1, s39 dst_sel:DWORD dst_unused:UNUSED_PAD src0_sel:BYTE_3 src1_sel:DWORD
; %bb.11556:                            ;   in Loop: Header=BB6_10271 Depth=2
	s_or_b64 exec, exec, s[18:19]
	v_and_b32_e32 v16, 0xff, v48
	v_cmp_ne_u16_e32 vcc, 0, v16
	v_mov_b32_e32 v0, 0
	v_mov_b32_e32 v1, 0
	s_and_saveexec_b64 s[18:19], vcc
	s_cbranch_execz .LBB6_11562
; %bb.11557:                            ;   in Loop: Header=BB6_10271 Depth=2
	v_cmp_ne_u16_e32 vcc, s50, v16
	v_bfrev_b32_e32 v1, 1
	s_and_saveexec_b64 s[78:79], vcc
	s_cbranch_execz .LBB6_11561
; %bb.11558:                            ;   in Loop: Header=BB6_10271 Depth=2
	v_and_b32_e32 v8, 0x7f, v48
	v_cmp_ne_u32_e32 vcc, s39, v8
	v_mov_b32_e32 v1, 0x7f800001
	s_and_saveexec_b64 s[88:89], vcc
	s_cbranch_execz .LBB6_11560
; %bb.11559:                            ;   in Loop: Header=BB6_10271 Depth=2
	v_and_b32_e32 v1, 7, v16
	v_lshrrev_b32_e32 v17, 3, v8
	v_cmp_gt_u32_e32 vcc, 8, v8
	v_ffbh_u32_e32 v8, v1
	v_min_u32_e32 v18, 32, v8
	v_subrev_u32_e32 v8, 28, v18
	v_lshlrev_b64 v[8:9], v8, v[16:17]
	v_sub_u32_e32 v9, 29, v18
	v_and_b32_e32 v8, 7, v8
	v_cndmask_b32_e32 v9, v17, v9, vcc
	v_cndmask_b32_e32 v1, v1, v8, vcc
	v_lshlrev_b32_e32 v8, 24, v48
	v_lshlrev_b32_e32 v1, 20, v1
	v_and_b32_e32 v8, 0x80000000, v8
	v_lshl_add_u32 v9, v9, 23, v62
	v_or3_b32 v1, v8, v9, v1
.LBB6_11560:                            ;   in Loop: Header=BB6_10271 Depth=2
	s_or_b64 exec, exec, s[88:89]
.LBB6_11561:                            ;   in Loop: Header=BB6_10271 Depth=2
	s_or_b64 exec, exec, s[78:79]
.LBB6_11562:                            ;   in Loop: Header=BB6_10271 Depth=2
	s_or_b64 exec, exec, s[18:19]
	v_and_b32_e32 v16, 0xff, v2
	v_cmp_ne_u16_e32 vcc, 0, v16
	s_and_saveexec_b64 s[18:19], vcc
	s_cbranch_execz .LBB6_11568
; %bb.11563:                            ;   in Loop: Header=BB6_10271 Depth=2
	v_cmp_ne_u16_e32 vcc, s50, v16
	v_bfrev_b32_e32 v0, 1
	s_and_saveexec_b64 s[78:79], vcc
	s_cbranch_execz .LBB6_11567
; %bb.11564:                            ;   in Loop: Header=BB6_10271 Depth=2
	v_and_b32_e32 v8, 0x7f, v2
	v_cmp_ne_u32_e32 vcc, s39, v8
	v_mov_b32_e32 v0, 0x7f800001
	s_and_saveexec_b64 s[88:89], vcc
	s_cbranch_execz .LBB6_11566
; %bb.11565:                            ;   in Loop: Header=BB6_10271 Depth=2
	v_and_b32_e32 v0, 7, v16
	v_lshrrev_b32_e32 v17, 3, v8
	v_cmp_gt_u32_e32 vcc, 8, v8
	v_ffbh_u32_e32 v8, v0
	v_min_u32_e32 v18, 32, v8
	v_subrev_u32_e32 v8, 28, v18
	v_lshlrev_b64 v[8:9], v8, v[16:17]
	v_sub_u32_e32 v9, 29, v18
	v_and_b32_e32 v8, 7, v8
	v_cndmask_b32_e32 v9, v17, v9, vcc
	v_cndmask_b32_e32 v0, v0, v8, vcc
	v_lshlrev_b32_e32 v2, 24, v2
	v_lshlrev_b32_e32 v0, 20, v0
	v_and_b32_e32 v2, 0x80000000, v2
	v_lshl_add_u32 v8, v9, 23, v62
	v_or3_b32 v0, v2, v8, v0
.LBB6_11566:                            ;   in Loop: Header=BB6_10271 Depth=2
	s_or_b64 exec, exec, s[88:89]
.LBB6_11567:                            ;   in Loop: Header=BB6_10271 Depth=2
	s_or_b64 exec, exec, s[78:79]
.LBB6_11568:                            ;   in Loop: Header=BB6_10271 Depth=2
	s_or_b64 exec, exec, s[18:19]
	v_add_f32_e32 v1, v1, v0
	v_and_b32_e32 v50, 0x7f800000, v1
	v_cmp_ne_u64_e32 vcc, s[46:47], v[50:51]
                                        ; implicit-def: $vgpr48
	s_and_saveexec_b64 s[18:19], vcc
	s_xor_b64 s[78:79], exec, s[18:19]
	s_cbranch_execz .LBB6_11586
; %bb.11569:                            ;   in Loop: Header=BB6_10271 Depth=2
	v_and_b32_e32 v50, 0x7fffffff, v1
	v_cmp_gt_u64_e32 vcc, s[56:57], v[50:51]
	v_and_b32_sdwa v0, v1, s50 dst_sel:DWORD dst_unused:UNUSED_PAD src0_sel:BYTE_3 src1_sel:DWORD
                                        ; implicit-def: $vgpr48
	s_and_saveexec_b64 s[18:19], vcc
	s_xor_b64 s[88:89], exec, s[18:19]
	s_cbranch_execz .LBB6_11583
; %bb.11570:                            ;   in Loop: Header=BB6_10271 Depth=2
	v_cmp_ne_u32_e32 vcc, 0, v1
	v_mov_b32_e32 v48, 0
	s_and_saveexec_b64 s[90:91], vcc
	s_cbranch_execz .LBB6_11582
; %bb.11571:                            ;   in Loop: Header=BB6_10271 Depth=2
	v_and_b32_e32 v8, 0x7fffff, v1
	v_bfe_u32 v1, v1, 23, 8
	v_cmp_gt_u32_e64 s[18:19], s51, v1
	v_sub_u32_e32 v2, 0x79, v1
	v_cmp_eq_u32_e32 vcc, 0, v1
	v_cndmask_b32_e64 v2, 0, v2, s[18:19]
	v_mov_b32_e32 v16, 0x78
	v_or_b32_e32 v9, 0x800000, v8
	v_cndmask_b32_e32 v2, v2, v16, vcc
	v_cndmask_b32_e32 v50, v9, v8, vcc
	v_add_u32_e32 v8, 20, v2
	v_lshlrev_b64 v[8:9], v8, -1
	v_add_u32_e32 v16, 19, v2
	v_lshlrev_b64 v[16:17], v16, 1
	v_bfi_b32 v9, v9, 0, 0
	v_bfi_b32 v8, v8, 0, v50
	v_cmp_eq_u64_e64 s[18:19], v[8:9], v[16:17]
	v_lshrrev_b64 v[16:17], v2, v[50:51]
	v_mov_b32_e32 v18, v17
	v_mov_b32_e32 v17, v16
	s_and_saveexec_b64 s[92:93], s[18:19]
; %bb.11572:                            ;   in Loop: Header=BB6_10271 Depth=2
	v_bfe_u32 v8, v16, 20, 1
	v_add_co_u32_e64 v8, s[18:19], v16, v8
	v_add_co_u32_e64 v17, s[18:19], -1, v8
; %bb.11573:                            ;   in Loop: Header=BB6_10271 Depth=2
	s_or_b64 exec, exec, s[92:93]
	v_add_u32_e32 v1, 0xffffff81, v1
	v_mov_b32_e32 v8, 0xffffff82
	v_cndmask_b32_e32 v1, v1, v8, vcc
	v_lshrrev_b32_e32 v8, 23, v16
	v_add3_u32 v8, v2, v1, v8
	v_add_u32_e32 v2, 6, v8
	v_and_b32_e32 v1, 0xfffff, v17
	v_add_u32_e32 v50, v1, v16
	v_cmp_ne_u32_e32 vcc, 0, v2
                                        ; implicit-def: $vgpr16_vgpr17
                                        ; implicit-def: $vgpr1
	s_and_saveexec_b64 s[18:19], vcc
	s_xor_b64 s[18:19], exec, s[18:19]
; %bb.11574:                            ;   in Loop: Header=BB6_10271 Depth=2
	v_cmp_lt_u64_e32 vcc, s[58:59], v[50:51]
	v_add_u32_e32 v1, 7, v8
	v_cndmask_b32_e32 v1, v2, v1, vcc
	v_cndmask_b32_e64 v2, 0, 1, vcc
	v_lshrrev_b64 v[16:17], v2, v[50:51]
; %bb.11575:                            ;   in Loop: Header=BB6_10271 Depth=2
	s_andn2_saveexec_b64 s[18:19], s[18:19]
; %bb.11576:                            ;   in Loop: Header=BB6_10271 Depth=2
	v_mov_b32_e32 v16, v50
	v_mov_b32_e32 v17, v51
	v_bfe_u32 v1, v50, 23, 1
; %bb.11577:                            ;   in Loop: Header=BB6_10271 Depth=2
	s_or_b64 exec, exec, s[18:19]
	v_lshrrev_b64 v[8:9], 20, v[16:17]
	v_cmp_gt_i32_e32 vcc, 16, v1
	v_cndmask_b32_e32 v17, 0, v9, vcc
	v_cndmask_b32_e32 v16, 7, v8, vcc
	v_cmp_ne_u64_e32 vcc, 0, v[16:17]
	v_cmp_ne_u32_e64 s[18:19], 0, v1
	s_or_b64 s[18:19], s[18:19], vcc
                                        ; implicit-def: $vgpr48
	s_and_saveexec_b64 s[92:93], s[18:19]
	s_xor_b64 s[18:19], exec, s[92:93]
; %bb.11578:                            ;   in Loop: Header=BB6_10271 Depth=2
	v_min_i32_e32 v1, 15, v1
	v_lshl_or_b32 v0, v1, 3, v0
	v_and_or_b32 v48, v16, 7, v0
                                        ; implicit-def: $vgpr0
; %bb.11579:                            ;   in Loop: Header=BB6_10271 Depth=2
	s_andn2_saveexec_b64 s[18:19], s[18:19]
; %bb.11580:                            ;   in Loop: Header=BB6_10271 Depth=2
	v_mov_b32_e32 v48, v0
; %bb.11581:                            ;   in Loop: Header=BB6_10271 Depth=2
	s_or_b64 exec, exec, s[18:19]
.LBB6_11582:                            ;   in Loop: Header=BB6_10271 Depth=2
	s_or_b64 exec, exec, s[90:91]
                                        ; implicit-def: $vgpr0
.LBB6_11583:                            ;   in Loop: Header=BB6_10271 Depth=2
	s_andn2_saveexec_b64 s[18:19], s[88:89]
; %bb.11584:                            ;   in Loop: Header=BB6_10271 Depth=2
	v_or_b32_e32 v48, 0x7e, v0
; %bb.11585:                            ;   in Loop: Header=BB6_10271 Depth=2
	s_or_b64 exec, exec, s[18:19]
                                        ; implicit-def: $vgpr1
.LBB6_11586:                            ;   in Loop: Header=BB6_10271 Depth=2
	s_andn2_saveexec_b64 s[18:19], s[78:79]
; %bb.11587:                            ;   in Loop: Header=BB6_10271 Depth=2
	v_or_b32_sdwa v48, v1, s39 dst_sel:DWORD dst_unused:UNUSED_PAD src0_sel:BYTE_3 src1_sel:DWORD
; %bb.11588:                            ;   in Loop: Header=BB6_10271 Depth=2
	s_or_b64 exec, exec, s[18:19]
	v_and_b32_e32 v16, 0xff, v37
	v_cmp_ne_u16_e32 vcc, 0, v16
	v_mov_b32_e32 v0, 0
	v_mov_b32_e32 v1, 0
	s_and_saveexec_b64 s[18:19], vcc
	s_cbranch_execz .LBB6_11594
; %bb.11589:                            ;   in Loop: Header=BB6_10271 Depth=2
	v_cmp_ne_u16_e32 vcc, s50, v16
	v_bfrev_b32_e32 v1, 1
	s_and_saveexec_b64 s[78:79], vcc
	s_cbranch_execz .LBB6_11593
; %bb.11590:                            ;   in Loop: Header=BB6_10271 Depth=2
	v_and_b32_e32 v2, 0x7f, v37
	v_cmp_ne_u32_e32 vcc, s39, v2
	v_mov_b32_e32 v1, 0x7f800001
	s_and_saveexec_b64 s[88:89], vcc
	s_cbranch_execz .LBB6_11592
; %bb.11591:                            ;   in Loop: Header=BB6_10271 Depth=2
	v_and_b32_e32 v8, 7, v16
	v_ffbh_u32_e32 v1, v8
	v_min_u32_e32 v17, 32, v1
	v_subrev_u32_e32 v1, 28, v17
	v_lshrrev_b32_e32 v9, 3, v2
	v_cmp_gt_u32_e32 vcc, 8, v2
	v_lshlrev_b64 v[1:2], v1, v[16:17]
	v_sub_u32_e32 v2, 29, v17
	v_and_b32_e32 v1, 7, v1
	v_cndmask_b32_e32 v2, v9, v2, vcc
	v_cndmask_b32_e32 v1, v8, v1, vcc
	v_lshlrev_b32_e32 v8, 24, v37
	v_lshlrev_b32_e32 v1, 20, v1
	v_and_b32_e32 v8, 0x80000000, v8
	v_lshl_add_u32 v2, v2, 23, v62
	v_or3_b32 v1, v8, v2, v1
.LBB6_11592:                            ;   in Loop: Header=BB6_10271 Depth=2
	s_or_b64 exec, exec, s[88:89]
.LBB6_11593:                            ;   in Loop: Header=BB6_10271 Depth=2
	s_or_b64 exec, exec, s[78:79]
.LBB6_11594:                            ;   in Loop: Header=BB6_10271 Depth=2
	s_or_b64 exec, exec, s[18:19]
	v_and_b32_e32 v16, 0xff, v60
	v_cmp_ne_u16_e32 vcc, 0, v16
	s_and_saveexec_b64 s[18:19], vcc
	s_cbranch_execz .LBB6_11600
; %bb.11595:                            ;   in Loop: Header=BB6_10271 Depth=2
	v_cmp_ne_u16_e32 vcc, s50, v16
	v_bfrev_b32_e32 v0, 1
	s_and_saveexec_b64 s[78:79], vcc
	s_cbranch_execz .LBB6_11599
; %bb.11596:                            ;   in Loop: Header=BB6_10271 Depth=2
	v_and_b32_e32 v2, 0x7f, v60
	v_cmp_ne_u32_e32 vcc, s39, v2
	v_mov_b32_e32 v0, 0x7f800001
	s_and_saveexec_b64 s[88:89], vcc
	s_cbranch_execz .LBB6_11598
; %bb.11597:                            ;   in Loop: Header=BB6_10271 Depth=2
	v_and_b32_e32 v0, 7, v16
	v_lshrrev_b32_e32 v17, 3, v2
	v_cmp_gt_u32_e32 vcc, 8, v2
	v_ffbh_u32_e32 v2, v0
	v_min_u32_e32 v2, 32, v2
	v_subrev_u32_e32 v8, 28, v2
	v_lshlrev_b64 v[8:9], v8, v[16:17]
	v_sub_u32_e32 v2, 29, v2
	v_and_b32_e32 v8, 7, v8
	v_cndmask_b32_e32 v2, v17, v2, vcc
	v_cndmask_b32_e32 v0, v0, v8, vcc
	v_lshlrev_b32_e32 v8, 24, v60
	v_lshlrev_b32_e32 v0, 20, v0
	v_and_b32_e32 v8, 0x80000000, v8
	v_lshl_add_u32 v2, v2, 23, v62
	v_or3_b32 v0, v8, v2, v0
.LBB6_11598:                            ;   in Loop: Header=BB6_10271 Depth=2
	s_or_b64 exec, exec, s[88:89]
.LBB6_11599:                            ;   in Loop: Header=BB6_10271 Depth=2
	s_or_b64 exec, exec, s[78:79]
.LBB6_11600:                            ;   in Loop: Header=BB6_10271 Depth=2
	s_or_b64 exec, exec, s[18:19]
	v_add_f32_e32 v1, v1, v0
	v_and_b32_e32 v50, 0x7f800000, v1
	v_cmp_ne_u64_e32 vcc, s[46:47], v[50:51]
                                        ; implicit-def: $vgpr37
	s_and_saveexec_b64 s[18:19], vcc
	s_xor_b64 s[78:79], exec, s[18:19]
	s_cbranch_execz .LBB6_11618
; %bb.11601:                            ;   in Loop: Header=BB6_10271 Depth=2
	v_and_b32_e32 v50, 0x7fffffff, v1
	v_cmp_gt_u64_e32 vcc, s[56:57], v[50:51]
	v_and_b32_sdwa v0, v1, s50 dst_sel:DWORD dst_unused:UNUSED_PAD src0_sel:BYTE_3 src1_sel:DWORD
                                        ; implicit-def: $vgpr37
	s_and_saveexec_b64 s[18:19], vcc
	s_xor_b64 s[88:89], exec, s[18:19]
	s_cbranch_execz .LBB6_11615
; %bb.11602:                            ;   in Loop: Header=BB6_10271 Depth=2
	v_cmp_ne_u32_e32 vcc, 0, v1
	v_mov_b32_e32 v37, 0
	s_and_saveexec_b64 s[90:91], vcc
	s_cbranch_execz .LBB6_11614
; %bb.11603:                            ;   in Loop: Header=BB6_10271 Depth=2
	v_and_b32_e32 v8, 0x7fffff, v1
	v_bfe_u32 v1, v1, 23, 8
	v_cmp_gt_u32_e64 s[18:19], s51, v1
	v_sub_u32_e32 v2, 0x79, v1
	v_cmp_eq_u32_e32 vcc, 0, v1
	v_cndmask_b32_e64 v2, 0, v2, s[18:19]
	v_mov_b32_e32 v16, 0x78
	v_or_b32_e32 v9, 0x800000, v8
	v_cndmask_b32_e32 v2, v2, v16, vcc
	v_cndmask_b32_e32 v50, v9, v8, vcc
	v_add_u32_e32 v8, 20, v2
	v_lshlrev_b64 v[8:9], v8, -1
	v_add_u32_e32 v16, 19, v2
	v_lshlrev_b64 v[16:17], v16, 1
	v_bfi_b32 v9, v9, 0, 0
	v_bfi_b32 v8, v8, 0, v50
	v_cmp_eq_u64_e64 s[18:19], v[8:9], v[16:17]
	v_lshrrev_b64 v[16:17], v2, v[50:51]
	v_mov_b32_e32 v18, v17
	v_mov_b32_e32 v17, v16
	s_and_saveexec_b64 s[92:93], s[18:19]
; %bb.11604:                            ;   in Loop: Header=BB6_10271 Depth=2
	v_bfe_u32 v8, v16, 20, 1
	v_add_co_u32_e64 v8, s[18:19], v16, v8
	v_add_co_u32_e64 v17, s[18:19], -1, v8
; %bb.11605:                            ;   in Loop: Header=BB6_10271 Depth=2
	s_or_b64 exec, exec, s[92:93]
	v_add_u32_e32 v1, 0xffffff81, v1
	v_mov_b32_e32 v8, 0xffffff82
	v_cndmask_b32_e32 v1, v1, v8, vcc
	v_lshrrev_b32_e32 v8, 23, v16
	v_add3_u32 v8, v2, v1, v8
	v_add_u32_e32 v2, 6, v8
	v_and_b32_e32 v1, 0xfffff, v17
	v_add_u32_e32 v50, v1, v16
	v_cmp_ne_u32_e32 vcc, 0, v2
                                        ; implicit-def: $vgpr16_vgpr17
                                        ; implicit-def: $vgpr1
	s_and_saveexec_b64 s[18:19], vcc
	s_xor_b64 s[18:19], exec, s[18:19]
; %bb.11606:                            ;   in Loop: Header=BB6_10271 Depth=2
	v_cmp_lt_u64_e32 vcc, s[58:59], v[50:51]
	v_add_u32_e32 v1, 7, v8
	v_cndmask_b32_e32 v1, v2, v1, vcc
	v_cndmask_b32_e64 v2, 0, 1, vcc
	v_lshrrev_b64 v[16:17], v2, v[50:51]
; %bb.11607:                            ;   in Loop: Header=BB6_10271 Depth=2
	s_andn2_saveexec_b64 s[18:19], s[18:19]
; %bb.11608:                            ;   in Loop: Header=BB6_10271 Depth=2
	v_mov_b32_e32 v16, v50
	v_mov_b32_e32 v17, v51
	v_bfe_u32 v1, v50, 23, 1
; %bb.11609:                            ;   in Loop: Header=BB6_10271 Depth=2
	s_or_b64 exec, exec, s[18:19]
	v_lshrrev_b64 v[8:9], 20, v[16:17]
	v_cmp_gt_i32_e32 vcc, 16, v1
	v_cndmask_b32_e32 v17, 0, v9, vcc
	v_cndmask_b32_e32 v16, 7, v8, vcc
	v_cmp_ne_u64_e32 vcc, 0, v[16:17]
	v_cmp_ne_u32_e64 s[18:19], 0, v1
	s_or_b64 s[18:19], s[18:19], vcc
                                        ; implicit-def: $vgpr37
	s_and_saveexec_b64 s[92:93], s[18:19]
	s_xor_b64 s[18:19], exec, s[92:93]
; %bb.11610:                            ;   in Loop: Header=BB6_10271 Depth=2
	v_min_i32_e32 v1, 15, v1
	v_lshl_or_b32 v0, v1, 3, v0
	v_and_or_b32 v37, v16, 7, v0
                                        ; implicit-def: $vgpr0
; %bb.11611:                            ;   in Loop: Header=BB6_10271 Depth=2
	s_andn2_saveexec_b64 s[18:19], s[18:19]
; %bb.11612:                            ;   in Loop: Header=BB6_10271 Depth=2
	v_mov_b32_e32 v37, v0
; %bb.11613:                            ;   in Loop: Header=BB6_10271 Depth=2
	s_or_b64 exec, exec, s[18:19]
.LBB6_11614:                            ;   in Loop: Header=BB6_10271 Depth=2
	s_or_b64 exec, exec, s[90:91]
                                        ; implicit-def: $vgpr0
.LBB6_11615:                            ;   in Loop: Header=BB6_10271 Depth=2
	s_andn2_saveexec_b64 s[18:19], s[88:89]
; %bb.11616:                            ;   in Loop: Header=BB6_10271 Depth=2
	v_or_b32_e32 v37, 0x7e, v0
; %bb.11617:                            ;   in Loop: Header=BB6_10271 Depth=2
	s_or_b64 exec, exec, s[18:19]
                                        ; implicit-def: $vgpr1
.LBB6_11618:                            ;   in Loop: Header=BB6_10271 Depth=2
	s_andn2_saveexec_b64 s[18:19], s[78:79]
; %bb.11619:                            ;   in Loop: Header=BB6_10271 Depth=2
	v_or_b32_sdwa v37, v1, s39 dst_sel:DWORD dst_unused:UNUSED_PAD src0_sel:BYTE_3 src1_sel:DWORD
; %bb.11620:                            ;   in Loop: Header=BB6_10271 Depth=2
	s_or_b64 exec, exec, s[18:19]
	v_and_b32_e32 v16, 0xff, v36
	v_cmp_ne_u16_e32 vcc, 0, v16
	v_mov_b32_e32 v0, 0
	v_mov_b32_e32 v1, 0
	s_and_saveexec_b64 s[18:19], vcc
	s_cbranch_execz .LBB6_11626
; %bb.11621:                            ;   in Loop: Header=BB6_10271 Depth=2
	v_cmp_ne_u16_e32 vcc, s50, v16
	v_bfrev_b32_e32 v1, 1
	s_and_saveexec_b64 s[78:79], vcc
	s_cbranch_execz .LBB6_11625
; %bb.11622:                            ;   in Loop: Header=BB6_10271 Depth=2
	v_and_b32_e32 v2, 0x7f, v36
	v_cmp_ne_u32_e32 vcc, s39, v2
	v_mov_b32_e32 v1, 0x7f800001
	s_and_saveexec_b64 s[88:89], vcc
	s_cbranch_execz .LBB6_11624
; %bb.11623:                            ;   in Loop: Header=BB6_10271 Depth=2
	v_and_b32_e32 v8, 7, v16
	v_ffbh_u32_e32 v1, v8
	v_min_u32_e32 v17, 32, v1
	v_subrev_u32_e32 v1, 28, v17
	v_lshrrev_b32_e32 v9, 3, v2
	v_cmp_gt_u32_e32 vcc, 8, v2
	v_lshlrev_b64 v[1:2], v1, v[16:17]
	v_sub_u32_e32 v2, 29, v17
	v_and_b32_e32 v1, 7, v1
	v_cndmask_b32_e32 v2, v9, v2, vcc
	v_cndmask_b32_e32 v1, v8, v1, vcc
	v_lshlrev_b32_e32 v8, 24, v36
	v_lshlrev_b32_e32 v1, 20, v1
	v_and_b32_e32 v8, 0x80000000, v8
	v_lshl_add_u32 v2, v2, 23, v62
	v_or3_b32 v1, v8, v2, v1
.LBB6_11624:                            ;   in Loop: Header=BB6_10271 Depth=2
	s_or_b64 exec, exec, s[88:89]
.LBB6_11625:                            ;   in Loop: Header=BB6_10271 Depth=2
	s_or_b64 exec, exec, s[78:79]
.LBB6_11626:                            ;   in Loop: Header=BB6_10271 Depth=2
	s_or_b64 exec, exec, s[18:19]
	v_and_b32_e32 v16, 0xff, v53
	v_cmp_ne_u16_e32 vcc, 0, v16
	s_and_saveexec_b64 s[18:19], vcc
	s_cbranch_execz .LBB6_11632
; %bb.11627:                            ;   in Loop: Header=BB6_10271 Depth=2
	v_cmp_ne_u16_e32 vcc, s50, v16
	v_bfrev_b32_e32 v0, 1
	s_and_saveexec_b64 s[78:79], vcc
	s_cbranch_execz .LBB6_11631
; %bb.11628:                            ;   in Loop: Header=BB6_10271 Depth=2
	v_and_b32_e32 v2, 0x7f, v53
	v_cmp_ne_u32_e32 vcc, s39, v2
	v_mov_b32_e32 v0, 0x7f800001
	s_and_saveexec_b64 s[88:89], vcc
	s_cbranch_execz .LBB6_11630
; %bb.11629:                            ;   in Loop: Header=BB6_10271 Depth=2
	v_and_b32_e32 v0, 7, v16
	v_lshrrev_b32_e32 v17, 3, v2
	v_cmp_gt_u32_e32 vcc, 8, v2
	v_ffbh_u32_e32 v2, v0
	v_min_u32_e32 v2, 32, v2
	v_subrev_u32_e32 v8, 28, v2
	v_lshlrev_b64 v[8:9], v8, v[16:17]
	v_sub_u32_e32 v2, 29, v2
	v_and_b32_e32 v8, 7, v8
	v_cndmask_b32_e32 v2, v17, v2, vcc
	v_cndmask_b32_e32 v0, v0, v8, vcc
	v_lshlrev_b32_e32 v8, 24, v53
	v_lshlrev_b32_e32 v0, 20, v0
	v_and_b32_e32 v8, 0x80000000, v8
	v_lshl_add_u32 v2, v2, 23, v62
	v_or3_b32 v0, v8, v2, v0
.LBB6_11630:                            ;   in Loop: Header=BB6_10271 Depth=2
	s_or_b64 exec, exec, s[88:89]
.LBB6_11631:                            ;   in Loop: Header=BB6_10271 Depth=2
	s_or_b64 exec, exec, s[78:79]
.LBB6_11632:                            ;   in Loop: Header=BB6_10271 Depth=2
	s_or_b64 exec, exec, s[18:19]
	v_add_f32_e32 v1, v1, v0
	v_and_b32_e32 v50, 0x7f800000, v1
	v_cmp_ne_u64_e32 vcc, s[46:47], v[50:51]
                                        ; implicit-def: $vgpr36
	s_and_saveexec_b64 s[18:19], vcc
	s_xor_b64 s[78:79], exec, s[18:19]
	s_cbranch_execz .LBB6_11650
; %bb.11633:                            ;   in Loop: Header=BB6_10271 Depth=2
	v_and_b32_e32 v50, 0x7fffffff, v1
	v_cmp_gt_u64_e32 vcc, s[56:57], v[50:51]
	v_and_b32_sdwa v0, v1, s50 dst_sel:DWORD dst_unused:UNUSED_PAD src0_sel:BYTE_3 src1_sel:DWORD
                                        ; implicit-def: $vgpr36
	s_and_saveexec_b64 s[18:19], vcc
	s_xor_b64 s[88:89], exec, s[18:19]
	s_cbranch_execz .LBB6_11647
; %bb.11634:                            ;   in Loop: Header=BB6_10271 Depth=2
	v_cmp_ne_u32_e32 vcc, 0, v1
	v_mov_b32_e32 v36, 0
	s_and_saveexec_b64 s[90:91], vcc
	s_cbranch_execz .LBB6_11646
; %bb.11635:                            ;   in Loop: Header=BB6_10271 Depth=2
	v_and_b32_e32 v8, 0x7fffff, v1
	v_bfe_u32 v1, v1, 23, 8
	v_cmp_gt_u32_e64 s[18:19], s51, v1
	v_sub_u32_e32 v2, 0x79, v1
	v_cmp_eq_u32_e32 vcc, 0, v1
	v_cndmask_b32_e64 v2, 0, v2, s[18:19]
	v_mov_b32_e32 v16, 0x78
	v_or_b32_e32 v9, 0x800000, v8
	v_cndmask_b32_e32 v2, v2, v16, vcc
	v_cndmask_b32_e32 v50, v9, v8, vcc
	v_add_u32_e32 v8, 20, v2
	v_lshlrev_b64 v[8:9], v8, -1
	v_add_u32_e32 v16, 19, v2
	v_lshlrev_b64 v[16:17], v16, 1
	v_bfi_b32 v9, v9, 0, 0
	v_bfi_b32 v8, v8, 0, v50
	v_cmp_eq_u64_e64 s[18:19], v[8:9], v[16:17]
	v_lshrrev_b64 v[16:17], v2, v[50:51]
	v_mov_b32_e32 v18, v17
	v_mov_b32_e32 v17, v16
	s_and_saveexec_b64 s[92:93], s[18:19]
; %bb.11636:                            ;   in Loop: Header=BB6_10271 Depth=2
	v_bfe_u32 v8, v16, 20, 1
	v_add_co_u32_e64 v8, s[18:19], v16, v8
	v_add_co_u32_e64 v17, s[18:19], -1, v8
; %bb.11637:                            ;   in Loop: Header=BB6_10271 Depth=2
	s_or_b64 exec, exec, s[92:93]
	v_add_u32_e32 v1, 0xffffff81, v1
	v_mov_b32_e32 v8, 0xffffff82
	v_cndmask_b32_e32 v1, v1, v8, vcc
	v_lshrrev_b32_e32 v8, 23, v16
	v_add3_u32 v8, v2, v1, v8
	v_add_u32_e32 v2, 6, v8
	v_and_b32_e32 v1, 0xfffff, v17
	v_add_u32_e32 v50, v1, v16
	v_cmp_ne_u32_e32 vcc, 0, v2
                                        ; implicit-def: $vgpr16_vgpr17
                                        ; implicit-def: $vgpr1
	s_and_saveexec_b64 s[18:19], vcc
	s_xor_b64 s[18:19], exec, s[18:19]
; %bb.11638:                            ;   in Loop: Header=BB6_10271 Depth=2
	v_cmp_lt_u64_e32 vcc, s[58:59], v[50:51]
	v_add_u32_e32 v1, 7, v8
	v_cndmask_b32_e32 v1, v2, v1, vcc
	v_cndmask_b32_e64 v2, 0, 1, vcc
	v_lshrrev_b64 v[16:17], v2, v[50:51]
; %bb.11639:                            ;   in Loop: Header=BB6_10271 Depth=2
	s_andn2_saveexec_b64 s[18:19], s[18:19]
; %bb.11640:                            ;   in Loop: Header=BB6_10271 Depth=2
	v_mov_b32_e32 v16, v50
	v_mov_b32_e32 v17, v51
	v_bfe_u32 v1, v50, 23, 1
; %bb.11641:                            ;   in Loop: Header=BB6_10271 Depth=2
	s_or_b64 exec, exec, s[18:19]
	v_lshrrev_b64 v[8:9], 20, v[16:17]
	v_cmp_gt_i32_e32 vcc, 16, v1
	v_cndmask_b32_e32 v17, 0, v9, vcc
	v_cndmask_b32_e32 v16, 7, v8, vcc
	v_cmp_ne_u64_e32 vcc, 0, v[16:17]
	v_cmp_ne_u32_e64 s[18:19], 0, v1
	s_or_b64 s[18:19], s[18:19], vcc
                                        ; implicit-def: $vgpr36
	s_and_saveexec_b64 s[92:93], s[18:19]
	s_xor_b64 s[18:19], exec, s[92:93]
; %bb.11642:                            ;   in Loop: Header=BB6_10271 Depth=2
	v_min_i32_e32 v1, 15, v1
	v_lshl_or_b32 v0, v1, 3, v0
	v_and_or_b32 v36, v16, 7, v0
                                        ; implicit-def: $vgpr0
; %bb.11643:                            ;   in Loop: Header=BB6_10271 Depth=2
	s_andn2_saveexec_b64 s[18:19], s[18:19]
; %bb.11644:                            ;   in Loop: Header=BB6_10271 Depth=2
	v_mov_b32_e32 v36, v0
; %bb.11645:                            ;   in Loop: Header=BB6_10271 Depth=2
	s_or_b64 exec, exec, s[18:19]
.LBB6_11646:                            ;   in Loop: Header=BB6_10271 Depth=2
	s_or_b64 exec, exec, s[90:91]
                                        ; implicit-def: $vgpr0
.LBB6_11647:                            ;   in Loop: Header=BB6_10271 Depth=2
	s_andn2_saveexec_b64 s[18:19], s[88:89]
; %bb.11648:                            ;   in Loop: Header=BB6_10271 Depth=2
	v_or_b32_e32 v36, 0x7e, v0
; %bb.11649:                            ;   in Loop: Header=BB6_10271 Depth=2
	s_or_b64 exec, exec, s[18:19]
                                        ; implicit-def: $vgpr1
.LBB6_11650:                            ;   in Loop: Header=BB6_10271 Depth=2
	s_andn2_saveexec_b64 s[18:19], s[78:79]
; %bb.11651:                            ;   in Loop: Header=BB6_10271 Depth=2
	v_or_b32_sdwa v36, v1, s39 dst_sel:DWORD dst_unused:UNUSED_PAD src0_sel:BYTE_3 src1_sel:DWORD
; %bb.11652:                            ;   in Loop: Header=BB6_10271 Depth=2
	s_or_b64 exec, exec, s[18:19]
	buffer_load_dword v0, off, s[0:3], s33 offset:156 ; 4-byte Folded Reload
	v_mov_b32_e32 v1, 0
	s_waitcnt vmcnt(0)
	v_and_b32_e32 v16, 0xff, v0
	v_cmp_ne_u16_e32 vcc, 0, v16
	v_mov_b32_e32 v0, 0
	s_and_saveexec_b64 s[18:19], vcc
	s_cbranch_execz .LBB6_11658
; %bb.11653:                            ;   in Loop: Header=BB6_10271 Depth=2
	v_cmp_ne_u16_e32 vcc, s50, v16
	v_bfrev_b32_e32 v1, 1
	s_and_saveexec_b64 s[78:79], vcc
	s_cbranch_execz .LBB6_11657
; %bb.11654:                            ;   in Loop: Header=BB6_10271 Depth=2
	buffer_load_dword v18, off, s[0:3], s33 offset:156 ; 4-byte Folded Reload
	v_mov_b32_e32 v1, 0x7f800001
	s_waitcnt vmcnt(0)
	v_and_b32_e32 v2, 0x7f, v18
	v_cmp_ne_u32_e32 vcc, s39, v2
	s_and_saveexec_b64 s[88:89], vcc
	s_cbranch_execz .LBB6_11656
; %bb.11655:                            ;   in Loop: Header=BB6_10271 Depth=2
	v_and_b32_e32 v8, 7, v16
	v_ffbh_u32_e32 v1, v8
	v_min_u32_e32 v17, 32, v1
	v_subrev_u32_e32 v1, 28, v17
	v_lshrrev_b32_e32 v9, 3, v2
	v_cmp_gt_u32_e32 vcc, 8, v2
	v_lshlrev_b64 v[1:2], v1, v[16:17]
	v_sub_u32_e32 v2, 29, v17
	v_and_b32_e32 v1, 7, v1
	v_cndmask_b32_e32 v2, v9, v2, vcc
	v_cndmask_b32_e32 v1, v8, v1, vcc
	v_lshlrev_b32_e32 v8, 24, v18
	v_lshlrev_b32_e32 v1, 20, v1
	v_and_b32_e32 v8, 0x80000000, v8
	v_lshl_add_u32 v2, v2, 23, v62
	v_or3_b32 v1, v8, v2, v1
.LBB6_11656:                            ;   in Loop: Header=BB6_10271 Depth=2
	s_or_b64 exec, exec, s[88:89]
.LBB6_11657:                            ;   in Loop: Header=BB6_10271 Depth=2
	s_or_b64 exec, exec, s[78:79]
.LBB6_11658:                            ;   in Loop: Header=BB6_10271 Depth=2
	s_or_b64 exec, exec, s[18:19]
	v_and_b32_e32 v16, 0xff, v52
	v_cmp_ne_u16_e32 vcc, 0, v16
	s_and_saveexec_b64 s[18:19], vcc
	s_cbranch_execz .LBB6_11664
; %bb.11659:                            ;   in Loop: Header=BB6_10271 Depth=2
	v_cmp_ne_u16_e32 vcc, s50, v16
	v_bfrev_b32_e32 v0, 1
	s_and_saveexec_b64 s[78:79], vcc
	s_cbranch_execz .LBB6_11663
; %bb.11660:                            ;   in Loop: Header=BB6_10271 Depth=2
	v_and_b32_e32 v2, 0x7f, v52
	v_cmp_ne_u32_e32 vcc, s39, v2
	v_mov_b32_e32 v0, 0x7f800001
	s_and_saveexec_b64 s[88:89], vcc
	s_cbranch_execz .LBB6_11662
; %bb.11661:                            ;   in Loop: Header=BB6_10271 Depth=2
	v_and_b32_e32 v0, 7, v16
	v_lshrrev_b32_e32 v17, 3, v2
	v_cmp_gt_u32_e32 vcc, 8, v2
	v_ffbh_u32_e32 v2, v0
	v_min_u32_e32 v2, 32, v2
	v_subrev_u32_e32 v8, 28, v2
	v_lshlrev_b64 v[8:9], v8, v[16:17]
	v_sub_u32_e32 v2, 29, v2
	v_and_b32_e32 v8, 7, v8
	v_cndmask_b32_e32 v2, v17, v2, vcc
	v_cndmask_b32_e32 v0, v0, v8, vcc
	v_lshlrev_b32_e32 v8, 24, v52
	v_lshlrev_b32_e32 v0, 20, v0
	v_and_b32_e32 v8, 0x80000000, v8
	v_lshl_add_u32 v2, v2, 23, v62
	v_or3_b32 v0, v8, v2, v0
.LBB6_11662:                            ;   in Loop: Header=BB6_10271 Depth=2
	s_or_b64 exec, exec, s[88:89]
.LBB6_11663:                            ;   in Loop: Header=BB6_10271 Depth=2
	s_or_b64 exec, exec, s[78:79]
.LBB6_11664:                            ;   in Loop: Header=BB6_10271 Depth=2
	s_or_b64 exec, exec, s[18:19]
	v_add_f32_e32 v1, v1, v0
	v_and_b32_e32 v50, 0x7f800000, v1
	v_cmp_ne_u64_e32 vcc, s[46:47], v[50:51]
                                        ; implicit-def: $vgpr35
	s_and_saveexec_b64 s[18:19], vcc
	s_xor_b64 s[78:79], exec, s[18:19]
	s_cbranch_execz .LBB6_11682
; %bb.11665:                            ;   in Loop: Header=BB6_10271 Depth=2
	v_and_b32_e32 v50, 0x7fffffff, v1
	v_cmp_gt_u64_e32 vcc, s[56:57], v[50:51]
	v_and_b32_sdwa v0, v1, s50 dst_sel:DWORD dst_unused:UNUSED_PAD src0_sel:BYTE_3 src1_sel:DWORD
                                        ; implicit-def: $vgpr35
	s_and_saveexec_b64 s[18:19], vcc
	s_xor_b64 s[88:89], exec, s[18:19]
	s_cbranch_execz .LBB6_11679
; %bb.11666:                            ;   in Loop: Header=BB6_10271 Depth=2
	v_cmp_ne_u32_e32 vcc, 0, v1
	v_mov_b32_e32 v35, 0
	s_and_saveexec_b64 s[90:91], vcc
	s_cbranch_execz .LBB6_11678
; %bb.11667:                            ;   in Loop: Header=BB6_10271 Depth=2
	v_and_b32_e32 v8, 0x7fffff, v1
	v_bfe_u32 v1, v1, 23, 8
	v_cmp_gt_u32_e64 s[18:19], s51, v1
	v_sub_u32_e32 v2, 0x79, v1
	v_cmp_eq_u32_e32 vcc, 0, v1
	v_cndmask_b32_e64 v2, 0, v2, s[18:19]
	v_mov_b32_e32 v16, 0x78
	v_or_b32_e32 v9, 0x800000, v8
	v_cndmask_b32_e32 v2, v2, v16, vcc
	v_cndmask_b32_e32 v50, v9, v8, vcc
	v_add_u32_e32 v8, 20, v2
	v_lshlrev_b64 v[8:9], v8, -1
	v_add_u32_e32 v16, 19, v2
	v_lshlrev_b64 v[16:17], v16, 1
	v_bfi_b32 v9, v9, 0, 0
	v_bfi_b32 v8, v8, 0, v50
	v_cmp_eq_u64_e64 s[18:19], v[8:9], v[16:17]
	v_lshrrev_b64 v[16:17], v2, v[50:51]
	v_mov_b32_e32 v18, v17
	v_mov_b32_e32 v17, v16
	s_and_saveexec_b64 s[92:93], s[18:19]
; %bb.11668:                            ;   in Loop: Header=BB6_10271 Depth=2
	v_bfe_u32 v8, v16, 20, 1
	v_add_co_u32_e64 v8, s[18:19], v16, v8
	v_add_co_u32_e64 v17, s[18:19], -1, v8
; %bb.11669:                            ;   in Loop: Header=BB6_10271 Depth=2
	s_or_b64 exec, exec, s[92:93]
	v_add_u32_e32 v1, 0xffffff81, v1
	v_mov_b32_e32 v8, 0xffffff82
	v_cndmask_b32_e32 v1, v1, v8, vcc
	v_lshrrev_b32_e32 v8, 23, v16
	v_add3_u32 v8, v2, v1, v8
	v_add_u32_e32 v2, 6, v8
	v_and_b32_e32 v1, 0xfffff, v17
	v_add_u32_e32 v50, v1, v16
	v_cmp_ne_u32_e32 vcc, 0, v2
                                        ; implicit-def: $vgpr16_vgpr17
                                        ; implicit-def: $vgpr1
	s_and_saveexec_b64 s[18:19], vcc
	s_xor_b64 s[18:19], exec, s[18:19]
; %bb.11670:                            ;   in Loop: Header=BB6_10271 Depth=2
	v_cmp_lt_u64_e32 vcc, s[58:59], v[50:51]
	v_add_u32_e32 v1, 7, v8
	v_cndmask_b32_e32 v1, v2, v1, vcc
	v_cndmask_b32_e64 v2, 0, 1, vcc
	v_lshrrev_b64 v[16:17], v2, v[50:51]
; %bb.11671:                            ;   in Loop: Header=BB6_10271 Depth=2
	s_andn2_saveexec_b64 s[18:19], s[18:19]
; %bb.11672:                            ;   in Loop: Header=BB6_10271 Depth=2
	v_mov_b32_e32 v16, v50
	v_mov_b32_e32 v17, v51
	v_bfe_u32 v1, v50, 23, 1
; %bb.11673:                            ;   in Loop: Header=BB6_10271 Depth=2
	s_or_b64 exec, exec, s[18:19]
	v_lshrrev_b64 v[8:9], 20, v[16:17]
	v_cmp_gt_i32_e32 vcc, 16, v1
	v_cndmask_b32_e32 v17, 0, v9, vcc
	v_cndmask_b32_e32 v16, 7, v8, vcc
	v_cmp_ne_u64_e32 vcc, 0, v[16:17]
	v_cmp_ne_u32_e64 s[18:19], 0, v1
	s_or_b64 s[18:19], s[18:19], vcc
                                        ; implicit-def: $vgpr35
	s_and_saveexec_b64 s[92:93], s[18:19]
	s_xor_b64 s[18:19], exec, s[92:93]
; %bb.11674:                            ;   in Loop: Header=BB6_10271 Depth=2
	v_min_i32_e32 v1, 15, v1
	v_lshl_or_b32 v0, v1, 3, v0
	v_and_or_b32 v35, v16, 7, v0
                                        ; implicit-def: $vgpr0
; %bb.11675:                            ;   in Loop: Header=BB6_10271 Depth=2
	s_andn2_saveexec_b64 s[18:19], s[18:19]
; %bb.11676:                            ;   in Loop: Header=BB6_10271 Depth=2
	v_mov_b32_e32 v35, v0
; %bb.11677:                            ;   in Loop: Header=BB6_10271 Depth=2
	s_or_b64 exec, exec, s[18:19]
.LBB6_11678:                            ;   in Loop: Header=BB6_10271 Depth=2
	s_or_b64 exec, exec, s[90:91]
                                        ; implicit-def: $vgpr0
.LBB6_11679:                            ;   in Loop: Header=BB6_10271 Depth=2
	s_andn2_saveexec_b64 s[18:19], s[88:89]
; %bb.11680:                            ;   in Loop: Header=BB6_10271 Depth=2
	v_or_b32_e32 v35, 0x7e, v0
; %bb.11681:                            ;   in Loop: Header=BB6_10271 Depth=2
	s_or_b64 exec, exec, s[18:19]
                                        ; implicit-def: $vgpr1
.LBB6_11682:                            ;   in Loop: Header=BB6_10271 Depth=2
	s_andn2_saveexec_b64 s[18:19], s[78:79]
; %bb.11683:                            ;   in Loop: Header=BB6_10271 Depth=2
	v_or_b32_sdwa v35, v1, s39 dst_sel:DWORD dst_unused:UNUSED_PAD src0_sel:BYTE_3 src1_sel:DWORD
; %bb.11684:                            ;   in Loop: Header=BB6_10271 Depth=2
	s_or_b64 exec, exec, s[18:19]
	buffer_load_dword v0, off, s[0:3], s33 offset:152 ; 4-byte Folded Reload
	v_mov_b32_e32 v1, 0
	s_waitcnt vmcnt(0)
	v_and_b32_e32 v16, 0xff, v0
	v_cmp_ne_u16_e32 vcc, 0, v16
	v_mov_b32_e32 v0, 0
	s_and_saveexec_b64 s[18:19], vcc
	s_cbranch_execz .LBB6_11690
; %bb.11685:                            ;   in Loop: Header=BB6_10271 Depth=2
	v_cmp_ne_u16_e32 vcc, s50, v16
	v_bfrev_b32_e32 v1, 1
	s_and_saveexec_b64 s[78:79], vcc
	s_cbranch_execz .LBB6_11689
; %bb.11686:                            ;   in Loop: Header=BB6_10271 Depth=2
	buffer_load_dword v18, off, s[0:3], s33 offset:152 ; 4-byte Folded Reload
	v_mov_b32_e32 v1, 0x7f800001
	s_waitcnt vmcnt(0)
	v_and_b32_e32 v2, 0x7f, v18
	v_cmp_ne_u32_e32 vcc, s39, v2
	s_and_saveexec_b64 s[88:89], vcc
	s_cbranch_execz .LBB6_11688
; %bb.11687:                            ;   in Loop: Header=BB6_10271 Depth=2
	v_and_b32_e32 v8, 7, v16
	v_ffbh_u32_e32 v1, v8
	v_min_u32_e32 v17, 32, v1
	v_subrev_u32_e32 v1, 28, v17
	v_lshrrev_b32_e32 v9, 3, v2
	v_cmp_gt_u32_e32 vcc, 8, v2
	v_lshlrev_b64 v[1:2], v1, v[16:17]
	v_sub_u32_e32 v2, 29, v17
	v_and_b32_e32 v1, 7, v1
	v_cndmask_b32_e32 v2, v9, v2, vcc
	v_cndmask_b32_e32 v1, v8, v1, vcc
	v_lshlrev_b32_e32 v8, 24, v18
	v_lshlrev_b32_e32 v1, 20, v1
	v_and_b32_e32 v8, 0x80000000, v8
	v_lshl_add_u32 v2, v2, 23, v62
	v_or3_b32 v1, v8, v2, v1
.LBB6_11688:                            ;   in Loop: Header=BB6_10271 Depth=2
	s_or_b64 exec, exec, s[88:89]
.LBB6_11689:                            ;   in Loop: Header=BB6_10271 Depth=2
	s_or_b64 exec, exec, s[78:79]
.LBB6_11690:                            ;   in Loop: Header=BB6_10271 Depth=2
	s_or_b64 exec, exec, s[18:19]
	v_and_b32_e32 v16, 0xff, v4
	v_cmp_ne_u16_e32 vcc, 0, v16
	s_and_saveexec_b64 s[18:19], vcc
	s_cbranch_execz .LBB6_11696
; %bb.11691:                            ;   in Loop: Header=BB6_10271 Depth=2
	v_cmp_ne_u16_e32 vcc, s50, v16
	v_bfrev_b32_e32 v0, 1
	s_and_saveexec_b64 s[78:79], vcc
	s_cbranch_execz .LBB6_11695
; %bb.11692:                            ;   in Loop: Header=BB6_10271 Depth=2
	v_and_b32_e32 v2, 0x7f, v4
	v_cmp_ne_u32_e32 vcc, s39, v2
	v_mov_b32_e32 v0, 0x7f800001
	s_and_saveexec_b64 s[88:89], vcc
	s_cbranch_execz .LBB6_11694
; %bb.11693:                            ;   in Loop: Header=BB6_10271 Depth=2
	v_and_b32_e32 v0, 7, v16
	v_lshrrev_b32_e32 v17, 3, v2
	v_cmp_gt_u32_e32 vcc, 8, v2
	v_ffbh_u32_e32 v2, v0
	v_min_u32_e32 v2, 32, v2
	v_subrev_u32_e32 v8, 28, v2
	v_lshlrev_b64 v[8:9], v8, v[16:17]
	v_sub_u32_e32 v2, 29, v2
	v_and_b32_e32 v8, 7, v8
	v_cndmask_b32_e32 v2, v17, v2, vcc
	v_cndmask_b32_e32 v0, v0, v8, vcc
	v_lshlrev_b32_e32 v4, 24, v4
	v_lshlrev_b32_e32 v0, 20, v0
	v_and_b32_e32 v4, 0x80000000, v4
	v_lshl_add_u32 v2, v2, 23, v62
	v_or3_b32 v0, v4, v2, v0
.LBB6_11694:                            ;   in Loop: Header=BB6_10271 Depth=2
	s_or_b64 exec, exec, s[88:89]
.LBB6_11695:                            ;   in Loop: Header=BB6_10271 Depth=2
	s_or_b64 exec, exec, s[78:79]
.LBB6_11696:                            ;   in Loop: Header=BB6_10271 Depth=2
	s_or_b64 exec, exec, s[18:19]
	v_add_f32_e32 v1, v1, v0
	v_and_b32_e32 v50, 0x7f800000, v1
	v_cmp_ne_u64_e32 vcc, s[46:47], v[50:51]
                                        ; implicit-def: $vgpr2
	s_and_saveexec_b64 s[18:19], vcc
	s_xor_b64 s[78:79], exec, s[18:19]
	s_cbranch_execz .LBB6_11714
; %bb.11697:                            ;   in Loop: Header=BB6_10271 Depth=2
	v_and_b32_e32 v50, 0x7fffffff, v1
	v_cmp_gt_u64_e32 vcc, s[56:57], v[50:51]
	v_and_b32_sdwa v0, v1, s50 dst_sel:DWORD dst_unused:UNUSED_PAD src0_sel:BYTE_3 src1_sel:DWORD
                                        ; implicit-def: $vgpr2
	s_and_saveexec_b64 s[18:19], vcc
	s_xor_b64 s[88:89], exec, s[18:19]
	s_cbranch_execz .LBB6_11711
; %bb.11698:                            ;   in Loop: Header=BB6_10271 Depth=2
	v_cmp_ne_u32_e32 vcc, 0, v1
	v_mov_b32_e32 v2, 0
	s_and_saveexec_b64 s[90:91], vcc
	s_cbranch_execz .LBB6_11710
; %bb.11699:                            ;   in Loop: Header=BB6_10271 Depth=2
	v_and_b32_e32 v4, 0x7fffff, v1
	v_bfe_u32 v1, v1, 23, 8
	v_cmp_gt_u32_e64 s[18:19], s51, v1
	v_sub_u32_e32 v2, 0x79, v1
	v_cmp_eq_u32_e32 vcc, 0, v1
	v_cndmask_b32_e64 v2, 0, v2, s[18:19]
	v_mov_b32_e32 v9, 0x78
	v_or_b32_e32 v8, 0x800000, v4
	v_cndmask_b32_e32 v2, v2, v9, vcc
	v_cndmask_b32_e32 v50, v8, v4, vcc
	v_add_u32_e32 v4, 20, v2
	v_lshlrev_b64 v[8:9], v4, -1
	v_add_u32_e32 v4, 19, v2
	v_lshlrev_b64 v[16:17], v4, 1
	v_bfi_b32 v9, v9, 0, 0
	v_bfi_b32 v8, v8, 0, v50
	v_cmp_eq_u64_e64 s[18:19], v[8:9], v[16:17]
	v_lshrrev_b64 v[16:17], v2, v[50:51]
	v_mov_b32_e32 v18, v17
	v_mov_b32_e32 v17, v16
	s_and_saveexec_b64 s[92:93], s[18:19]
; %bb.11700:                            ;   in Loop: Header=BB6_10271 Depth=2
	v_bfe_u32 v4, v16, 20, 1
	v_add_co_u32_e64 v4, s[18:19], v16, v4
	v_add_co_u32_e64 v17, s[18:19], -1, v4
; %bb.11701:                            ;   in Loop: Header=BB6_10271 Depth=2
	s_or_b64 exec, exec, s[92:93]
	v_add_u32_e32 v1, 0xffffff81, v1
	v_mov_b32_e32 v4, 0xffffff82
	v_cndmask_b32_e32 v1, v1, v4, vcc
	v_lshrrev_b32_e32 v4, 23, v16
	v_add3_u32 v4, v2, v1, v4
	v_add_u32_e32 v2, 6, v4
	v_and_b32_e32 v1, 0xfffff, v17
	v_add_u32_e32 v50, v1, v16
	v_cmp_ne_u32_e32 vcc, 0, v2
                                        ; implicit-def: $vgpr16_vgpr17
                                        ; implicit-def: $vgpr1
	s_and_saveexec_b64 s[18:19], vcc
	s_xor_b64 s[18:19], exec, s[18:19]
; %bb.11702:                            ;   in Loop: Header=BB6_10271 Depth=2
	v_cmp_lt_u64_e32 vcc, s[58:59], v[50:51]
	v_add_u32_e32 v1, 7, v4
	v_cndmask_b32_e32 v1, v2, v1, vcc
	v_cndmask_b32_e64 v2, 0, 1, vcc
	v_lshrrev_b64 v[16:17], v2, v[50:51]
; %bb.11703:                            ;   in Loop: Header=BB6_10271 Depth=2
	s_andn2_saveexec_b64 s[18:19], s[18:19]
; %bb.11704:                            ;   in Loop: Header=BB6_10271 Depth=2
	v_mov_b32_e32 v16, v50
	v_mov_b32_e32 v17, v51
	v_bfe_u32 v1, v50, 23, 1
; %bb.11705:                            ;   in Loop: Header=BB6_10271 Depth=2
	s_or_b64 exec, exec, s[18:19]
	v_lshrrev_b64 v[8:9], 20, v[16:17]
	v_cmp_gt_i32_e32 vcc, 16, v1
	v_cndmask_b32_e32 v17, 0, v9, vcc
	v_cndmask_b32_e32 v16, 7, v8, vcc
	v_cmp_ne_u64_e32 vcc, 0, v[16:17]
	v_cmp_ne_u32_e64 s[18:19], 0, v1
	s_or_b64 s[18:19], s[18:19], vcc
                                        ; implicit-def: $vgpr2
	s_and_saveexec_b64 s[92:93], s[18:19]
	s_xor_b64 s[18:19], exec, s[92:93]
; %bb.11706:                            ;   in Loop: Header=BB6_10271 Depth=2
	v_min_i32_e32 v1, 15, v1
	v_lshl_or_b32 v0, v1, 3, v0
	v_and_or_b32 v2, v16, 7, v0
                                        ; implicit-def: $vgpr0
; %bb.11707:                            ;   in Loop: Header=BB6_10271 Depth=2
	s_andn2_saveexec_b64 s[18:19], s[18:19]
; %bb.11708:                            ;   in Loop: Header=BB6_10271 Depth=2
	v_mov_b32_e32 v2, v0
; %bb.11709:                            ;   in Loop: Header=BB6_10271 Depth=2
	s_or_b64 exec, exec, s[18:19]
.LBB6_11710:                            ;   in Loop: Header=BB6_10271 Depth=2
	s_or_b64 exec, exec, s[90:91]
                                        ; implicit-def: $vgpr0
.LBB6_11711:                            ;   in Loop: Header=BB6_10271 Depth=2
	s_andn2_saveexec_b64 s[18:19], s[88:89]
; %bb.11712:                            ;   in Loop: Header=BB6_10271 Depth=2
	v_or_b32_e32 v2, 0x7e, v0
; %bb.11713:                            ;   in Loop: Header=BB6_10271 Depth=2
	s_or_b64 exec, exec, s[18:19]
                                        ; implicit-def: $vgpr1
.LBB6_11714:                            ;   in Loop: Header=BB6_10271 Depth=2
	s_andn2_saveexec_b64 s[18:19], s[78:79]
; %bb.11715:                            ;   in Loop: Header=BB6_10271 Depth=2
	v_or_b32_sdwa v2, v1, s39 dst_sel:DWORD dst_unused:UNUSED_PAD src0_sel:BYTE_3 src1_sel:DWORD
; %bb.11716:                            ;   in Loop: Header=BB6_10271 Depth=2
	s_or_b64 exec, exec, s[18:19]
	buffer_load_dword v0, off, s[0:3], s33 offset:148 ; 4-byte Folded Reload
	v_mov_b32_e32 v1, 0
	s_waitcnt vmcnt(0)
	v_and_b32_e32 v16, 0xff, v0
	v_cmp_ne_u16_e32 vcc, 0, v16
	v_mov_b32_e32 v0, 0
	s_and_saveexec_b64 s[18:19], vcc
	s_cbranch_execz .LBB6_11722
; %bb.11717:                            ;   in Loop: Header=BB6_10271 Depth=2
	v_cmp_ne_u16_e32 vcc, s50, v16
	v_bfrev_b32_e32 v1, 1
	s_and_saveexec_b64 s[78:79], vcc
	s_cbranch_execz .LBB6_11721
; %bb.11718:                            ;   in Loop: Header=BB6_10271 Depth=2
	buffer_load_dword v18, off, s[0:3], s33 offset:148 ; 4-byte Folded Reload
	v_mov_b32_e32 v1, 0x7f800001
	s_waitcnt vmcnt(0)
	v_and_b32_e32 v4, 0x7f, v18
	v_cmp_ne_u32_e32 vcc, s39, v4
	s_and_saveexec_b64 s[88:89], vcc
	s_cbranch_execz .LBB6_11720
; %bb.11719:                            ;   in Loop: Header=BB6_10271 Depth=2
	v_and_b32_e32 v1, 7, v16
	v_lshrrev_b32_e32 v17, 3, v4
	v_cmp_gt_u32_e32 vcc, 8, v4
	v_ffbh_u32_e32 v4, v1
	v_min_u32_e32 v4, 32, v4
	v_subrev_u32_e32 v8, 28, v4
	v_lshlrev_b64 v[8:9], v8, v[16:17]
	v_sub_u32_e32 v4, 29, v4
	v_and_b32_e32 v8, 7, v8
	v_cndmask_b32_e32 v4, v17, v4, vcc
	v_cndmask_b32_e32 v1, v1, v8, vcc
	v_lshlrev_b32_e32 v8, 24, v18
	v_lshlrev_b32_e32 v1, 20, v1
	v_and_b32_e32 v8, 0x80000000, v8
	v_lshl_add_u32 v4, v4, 23, v62
	v_or3_b32 v1, v8, v4, v1
.LBB6_11720:                            ;   in Loop: Header=BB6_10271 Depth=2
	s_or_b64 exec, exec, s[88:89]
.LBB6_11721:                            ;   in Loop: Header=BB6_10271 Depth=2
	s_or_b64 exec, exec, s[78:79]
.LBB6_11722:                            ;   in Loop: Header=BB6_10271 Depth=2
	s_or_b64 exec, exec, s[18:19]
	v_and_b32_e32 v16, 0xff, v5
	v_cmp_ne_u16_e32 vcc, 0, v16
	s_and_saveexec_b64 s[18:19], vcc
	s_cbranch_execz .LBB6_11728
; %bb.11723:                            ;   in Loop: Header=BB6_10271 Depth=2
	v_cmp_ne_u16_e32 vcc, s50, v16
	v_bfrev_b32_e32 v0, 1
	s_and_saveexec_b64 s[78:79], vcc
	s_cbranch_execz .LBB6_11727
; %bb.11724:                            ;   in Loop: Header=BB6_10271 Depth=2
	v_and_b32_e32 v4, 0x7f, v5
	v_cmp_ne_u32_e32 vcc, s39, v4
	v_mov_b32_e32 v0, 0x7f800001
	s_and_saveexec_b64 s[88:89], vcc
	s_cbranch_execz .LBB6_11726
; %bb.11725:                            ;   in Loop: Header=BB6_10271 Depth=2
	v_and_b32_e32 v0, 7, v16
	v_lshrrev_b32_e32 v17, 3, v4
	v_cmp_gt_u32_e32 vcc, 8, v4
	v_ffbh_u32_e32 v4, v0
	v_min_u32_e32 v4, 32, v4
	v_subrev_u32_e32 v8, 28, v4
	v_lshlrev_b64 v[8:9], v8, v[16:17]
	v_sub_u32_e32 v4, 29, v4
	v_and_b32_e32 v8, 7, v8
	v_cndmask_b32_e32 v4, v17, v4, vcc
	v_cndmask_b32_e32 v0, v0, v8, vcc
	v_lshlrev_b32_e32 v5, 24, v5
	v_lshlrev_b32_e32 v0, 20, v0
	v_and_b32_e32 v5, 0x80000000, v5
	v_lshl_add_u32 v4, v4, 23, v62
	v_or3_b32 v0, v5, v4, v0
.LBB6_11726:                            ;   in Loop: Header=BB6_10271 Depth=2
	s_or_b64 exec, exec, s[88:89]
.LBB6_11727:                            ;   in Loop: Header=BB6_10271 Depth=2
	s_or_b64 exec, exec, s[78:79]
.LBB6_11728:                            ;   in Loop: Header=BB6_10271 Depth=2
	s_or_b64 exec, exec, s[18:19]
	v_add_f32_e32 v4, v1, v0
	v_and_b32_e32 v50, 0x7f800000, v4
	v_cmp_ne_u64_e32 vcc, s[46:47], v[50:51]
                                        ; implicit-def: $vgpr1
	s_and_saveexec_b64 s[18:19], vcc
	s_xor_b64 s[78:79], exec, s[18:19]
	s_cbranch_execz .LBB6_11746
; %bb.11729:                            ;   in Loop: Header=BB6_10271 Depth=2
	v_and_b32_e32 v50, 0x7fffffff, v4
	v_cmp_gt_u64_e32 vcc, s[56:57], v[50:51]
	v_and_b32_sdwa v0, v4, s50 dst_sel:DWORD dst_unused:UNUSED_PAD src0_sel:BYTE_3 src1_sel:DWORD
                                        ; implicit-def: $vgpr1
	s_and_saveexec_b64 s[18:19], vcc
	s_xor_b64 s[88:89], exec, s[18:19]
	s_cbranch_execz .LBB6_11743
; %bb.11730:                            ;   in Loop: Header=BB6_10271 Depth=2
	v_cmp_ne_u32_e32 vcc, 0, v4
	v_mov_b32_e32 v1, 0
	s_and_saveexec_b64 s[90:91], vcc
	s_cbranch_execz .LBB6_11742
; %bb.11731:                            ;   in Loop: Header=BB6_10271 Depth=2
	v_bfe_u32 v1, v4, 23, 8
	v_and_b32_e32 v5, 0x7fffff, v4
	v_cmp_gt_u32_e64 s[18:19], s51, v1
	v_sub_u32_e32 v4, 0x79, v1
	v_cmp_eq_u32_e32 vcc, 0, v1
	v_cndmask_b32_e64 v4, 0, v4, s[18:19]
	v_mov_b32_e32 v9, 0x78
	v_or_b32_e32 v8, 0x800000, v5
	v_cndmask_b32_e32 v4, v4, v9, vcc
	v_cndmask_b32_e32 v50, v8, v5, vcc
	v_add_u32_e32 v5, 20, v4
	v_lshlrev_b64 v[8:9], v5, -1
	v_add_u32_e32 v5, 19, v4
	v_lshlrev_b64 v[16:17], v5, 1
	v_bfi_b32 v9, v9, 0, 0
	v_bfi_b32 v8, v8, 0, v50
	v_cmp_eq_u64_e64 s[18:19], v[8:9], v[16:17]
	v_lshrrev_b64 v[16:17], v4, v[50:51]
	v_mov_b32_e32 v18, v17
	v_mov_b32_e32 v17, v16
	s_and_saveexec_b64 s[92:93], s[18:19]
; %bb.11732:                            ;   in Loop: Header=BB6_10271 Depth=2
	v_bfe_u32 v5, v16, 20, 1
	v_add_co_u32_e64 v5, s[18:19], v16, v5
	v_add_co_u32_e64 v17, s[18:19], -1, v5
; %bb.11733:                            ;   in Loop: Header=BB6_10271 Depth=2
	s_or_b64 exec, exec, s[92:93]
	v_add_u32_e32 v1, 0xffffff81, v1
	v_mov_b32_e32 v5, 0xffffff82
	v_cndmask_b32_e32 v1, v1, v5, vcc
	v_lshrrev_b32_e32 v5, 23, v16
	v_add3_u32 v5, v4, v1, v5
	v_add_u32_e32 v1, 6, v5
	v_and_b32_e32 v4, 0xfffff, v17
	v_add_u32_e32 v50, v4, v16
	v_cmp_ne_u32_e32 vcc, 0, v1
                                        ; implicit-def: $vgpr16_vgpr17
                                        ; implicit-def: $vgpr4
	s_and_saveexec_b64 s[18:19], vcc
	s_xor_b64 s[18:19], exec, s[18:19]
; %bb.11734:                            ;   in Loop: Header=BB6_10271 Depth=2
	v_cmp_lt_u64_e32 vcc, s[58:59], v[50:51]
	v_add_u32_e32 v4, 7, v5
	v_cndmask_b32_e32 v4, v1, v4, vcc
	v_cndmask_b32_e64 v1, 0, 1, vcc
	v_lshrrev_b64 v[16:17], v1, v[50:51]
; %bb.11735:                            ;   in Loop: Header=BB6_10271 Depth=2
	s_andn2_saveexec_b64 s[18:19], s[18:19]
; %bb.11736:                            ;   in Loop: Header=BB6_10271 Depth=2
	v_mov_b32_e32 v16, v50
	v_mov_b32_e32 v17, v51
	v_bfe_u32 v4, v50, 23, 1
; %bb.11737:                            ;   in Loop: Header=BB6_10271 Depth=2
	s_or_b64 exec, exec, s[18:19]
	v_lshrrev_b64 v[8:9], 20, v[16:17]
	v_cmp_gt_i32_e32 vcc, 16, v4
	v_cndmask_b32_e32 v17, 0, v9, vcc
	v_cndmask_b32_e32 v16, 7, v8, vcc
	v_cmp_ne_u64_e32 vcc, 0, v[16:17]
	v_cmp_ne_u32_e64 s[18:19], 0, v4
	s_or_b64 s[18:19], s[18:19], vcc
                                        ; implicit-def: $vgpr1
	s_and_saveexec_b64 s[92:93], s[18:19]
	s_xor_b64 s[18:19], exec, s[92:93]
; %bb.11738:                            ;   in Loop: Header=BB6_10271 Depth=2
	v_min_i32_e32 v1, 15, v4
	v_lshl_or_b32 v0, v1, 3, v0
	v_and_or_b32 v1, v16, 7, v0
                                        ; implicit-def: $vgpr0
; %bb.11739:                            ;   in Loop: Header=BB6_10271 Depth=2
	s_andn2_saveexec_b64 s[18:19], s[18:19]
; %bb.11740:                            ;   in Loop: Header=BB6_10271 Depth=2
	v_mov_b32_e32 v1, v0
; %bb.11741:                            ;   in Loop: Header=BB6_10271 Depth=2
	s_or_b64 exec, exec, s[18:19]
.LBB6_11742:                            ;   in Loop: Header=BB6_10271 Depth=2
	s_or_b64 exec, exec, s[90:91]
                                        ; implicit-def: $vgpr0
.LBB6_11743:                            ;   in Loop: Header=BB6_10271 Depth=2
	s_andn2_saveexec_b64 s[18:19], s[88:89]
; %bb.11744:                            ;   in Loop: Header=BB6_10271 Depth=2
	v_or_b32_e32 v1, 0x7e, v0
; %bb.11745:                            ;   in Loop: Header=BB6_10271 Depth=2
	s_or_b64 exec, exec, s[18:19]
                                        ; implicit-def: $vgpr4
.LBB6_11746:                            ;   in Loop: Header=BB6_10271 Depth=2
	s_andn2_saveexec_b64 s[18:19], s[78:79]
; %bb.11747:                            ;   in Loop: Header=BB6_10271 Depth=2
	v_or_b32_sdwa v1, v4, s39 dst_sel:DWORD dst_unused:UNUSED_PAD src0_sel:BYTE_3 src1_sel:DWORD
; %bb.11748:                            ;   in Loop: Header=BB6_10271 Depth=2
	s_or_b64 exec, exec, s[18:19]
	buffer_load_dword v0, off, s[0:3], s33 offset:144 ; 4-byte Folded Reload
	v_mov_b32_e32 v4, 0
	s_waitcnt vmcnt(0)
	v_and_b32_e32 v16, 0xff, v0
	v_cmp_ne_u16_e32 vcc, 0, v16
	v_mov_b32_e32 v0, 0
	s_and_saveexec_b64 s[18:19], vcc
	s_cbranch_execz .LBB6_11754
; %bb.11749:                            ;   in Loop: Header=BB6_10271 Depth=2
	v_cmp_ne_u16_e32 vcc, s50, v16
	v_bfrev_b32_e32 v4, 1
	s_and_saveexec_b64 s[78:79], vcc
	s_cbranch_execz .LBB6_11753
; %bb.11750:                            ;   in Loop: Header=BB6_10271 Depth=2
	buffer_load_dword v18, off, s[0:3], s33 offset:144 ; 4-byte Folded Reload
	v_mov_b32_e32 v4, 0x7f800001
	s_waitcnt vmcnt(0)
	v_and_b32_e32 v5, 0x7f, v18
	v_cmp_ne_u32_e32 vcc, s39, v5
	s_and_saveexec_b64 s[88:89], vcc
	s_cbranch_execz .LBB6_11752
; %bb.11751:                            ;   in Loop: Header=BB6_10271 Depth=2
	v_and_b32_e32 v8, 7, v16
	v_ffbh_u32_e32 v4, v8
	v_min_u32_e32 v17, 32, v4
	v_subrev_u32_e32 v4, 28, v17
	v_lshrrev_b32_e32 v9, 3, v5
	v_cmp_gt_u32_e32 vcc, 8, v5
	v_lshlrev_b64 v[4:5], v4, v[16:17]
	v_sub_u32_e32 v5, 29, v17
	v_and_b32_e32 v4, 7, v4
	v_cndmask_b32_e32 v5, v9, v5, vcc
	v_cndmask_b32_e32 v4, v8, v4, vcc
	v_lshlrev_b32_e32 v8, 24, v18
	v_lshlrev_b32_e32 v4, 20, v4
	v_and_b32_e32 v8, 0x80000000, v8
	v_lshl_add_u32 v5, v5, 23, v62
	v_or3_b32 v4, v8, v5, v4
.LBB6_11752:                            ;   in Loop: Header=BB6_10271 Depth=2
	s_or_b64 exec, exec, s[88:89]
.LBB6_11753:                            ;   in Loop: Header=BB6_10271 Depth=2
	s_or_b64 exec, exec, s[78:79]
.LBB6_11754:                            ;   in Loop: Header=BB6_10271 Depth=2
	s_or_b64 exec, exec, s[18:19]
	v_and_b32_e32 v16, 0xff, v3
	v_cmp_ne_u16_e32 vcc, 0, v16
	s_and_saveexec_b64 s[18:19], vcc
	s_cbranch_execz .LBB6_11760
; %bb.11755:                            ;   in Loop: Header=BB6_10271 Depth=2
	v_cmp_ne_u16_e32 vcc, s50, v16
	v_bfrev_b32_e32 v0, 1
	s_and_saveexec_b64 s[78:79], vcc
	s_cbranch_execz .LBB6_11759
; %bb.11756:                            ;   in Loop: Header=BB6_10271 Depth=2
	v_and_b32_e32 v5, 0x7f, v3
	v_cmp_ne_u32_e32 vcc, s39, v5
	v_mov_b32_e32 v0, 0x7f800001
	s_and_saveexec_b64 s[88:89], vcc
	s_cbranch_execz .LBB6_11758
; %bb.11757:                            ;   in Loop: Header=BB6_10271 Depth=2
	v_and_b32_e32 v0, 7, v16
	v_lshrrev_b32_e32 v17, 3, v5
	v_cmp_gt_u32_e32 vcc, 8, v5
	v_ffbh_u32_e32 v5, v0
	v_min_u32_e32 v5, 32, v5
	v_subrev_u32_e32 v8, 28, v5
	v_lshlrev_b64 v[8:9], v8, v[16:17]
	v_sub_u32_e32 v5, 29, v5
	v_and_b32_e32 v8, 7, v8
	v_cndmask_b32_e32 v5, v17, v5, vcc
	v_cndmask_b32_e32 v0, v0, v8, vcc
	v_lshlrev_b32_e32 v3, 24, v3
	v_lshlrev_b32_e32 v0, 20, v0
	v_and_b32_e32 v3, 0x80000000, v3
	v_lshl_add_u32 v5, v5, 23, v62
	v_or3_b32 v0, v3, v5, v0
.LBB6_11758:                            ;   in Loop: Header=BB6_10271 Depth=2
	s_or_b64 exec, exec, s[88:89]
.LBB6_11759:                            ;   in Loop: Header=BB6_10271 Depth=2
	s_or_b64 exec, exec, s[78:79]
.LBB6_11760:                            ;   in Loop: Header=BB6_10271 Depth=2
	s_or_b64 exec, exec, s[18:19]
	v_add_f32_e32 v4, v4, v0
	v_and_b32_e32 v50, 0x7f800000, v4
	v_cmp_ne_u64_e32 vcc, s[46:47], v[50:51]
                                        ; implicit-def: $vgpr3
	s_and_saveexec_b64 s[18:19], vcc
	s_xor_b64 s[78:79], exec, s[18:19]
	s_cbranch_execz .LBB6_11778
; %bb.11761:                            ;   in Loop: Header=BB6_10271 Depth=2
	v_and_b32_e32 v50, 0x7fffffff, v4
	v_cmp_gt_u64_e32 vcc, s[56:57], v[50:51]
	v_and_b32_sdwa v0, v4, s50 dst_sel:DWORD dst_unused:UNUSED_PAD src0_sel:BYTE_3 src1_sel:DWORD
                                        ; implicit-def: $vgpr3
	s_and_saveexec_b64 s[18:19], vcc
	s_xor_b64 s[88:89], exec, s[18:19]
	s_cbranch_execz .LBB6_11775
; %bb.11762:                            ;   in Loop: Header=BB6_10271 Depth=2
	v_cmp_ne_u32_e32 vcc, 0, v4
	v_mov_b32_e32 v3, 0
	s_and_saveexec_b64 s[90:91], vcc
	s_cbranch_execz .LBB6_11774
; %bb.11763:                            ;   in Loop: Header=BB6_10271 Depth=2
	v_bfe_u32 v3, v4, 23, 8
	v_and_b32_e32 v5, 0x7fffff, v4
	v_cmp_gt_u32_e64 s[18:19], s51, v3
	v_sub_u32_e32 v4, 0x79, v3
	v_cmp_eq_u32_e32 vcc, 0, v3
	v_cndmask_b32_e64 v4, 0, v4, s[18:19]
	v_mov_b32_e32 v9, 0x78
	v_or_b32_e32 v8, 0x800000, v5
	v_cndmask_b32_e32 v4, v4, v9, vcc
	v_cndmask_b32_e32 v50, v8, v5, vcc
	v_add_u32_e32 v5, 20, v4
	v_lshlrev_b64 v[8:9], v5, -1
	v_add_u32_e32 v5, 19, v4
	v_lshlrev_b64 v[16:17], v5, 1
	v_bfi_b32 v9, v9, 0, 0
	v_bfi_b32 v8, v8, 0, v50
	v_cmp_eq_u64_e64 s[18:19], v[8:9], v[16:17]
	v_lshrrev_b64 v[16:17], v4, v[50:51]
	v_mov_b32_e32 v18, v17
	v_mov_b32_e32 v17, v16
	s_and_saveexec_b64 s[92:93], s[18:19]
; %bb.11764:                            ;   in Loop: Header=BB6_10271 Depth=2
	v_bfe_u32 v5, v16, 20, 1
	v_add_co_u32_e64 v5, s[18:19], v16, v5
	v_add_co_u32_e64 v17, s[18:19], -1, v5
; %bb.11765:                            ;   in Loop: Header=BB6_10271 Depth=2
	s_or_b64 exec, exec, s[92:93]
	v_add_u32_e32 v3, 0xffffff81, v3
	v_mov_b32_e32 v5, 0xffffff82
	v_cndmask_b32_e32 v3, v3, v5, vcc
	v_lshrrev_b32_e32 v5, 23, v16
	v_add3_u32 v5, v4, v3, v5
	v_add_u32_e32 v3, 6, v5
	v_and_b32_e32 v4, 0xfffff, v17
	v_add_u32_e32 v50, v4, v16
	v_cmp_ne_u32_e32 vcc, 0, v3
                                        ; implicit-def: $vgpr16_vgpr17
                                        ; implicit-def: $vgpr4
	s_and_saveexec_b64 s[18:19], vcc
	s_xor_b64 s[18:19], exec, s[18:19]
; %bb.11766:                            ;   in Loop: Header=BB6_10271 Depth=2
	v_cmp_lt_u64_e32 vcc, s[58:59], v[50:51]
	v_add_u32_e32 v4, 7, v5
	v_cndmask_b32_e32 v4, v3, v4, vcc
	v_cndmask_b32_e64 v3, 0, 1, vcc
	v_lshrrev_b64 v[16:17], v3, v[50:51]
; %bb.11767:                            ;   in Loop: Header=BB6_10271 Depth=2
	s_andn2_saveexec_b64 s[18:19], s[18:19]
; %bb.11768:                            ;   in Loop: Header=BB6_10271 Depth=2
	v_mov_b32_e32 v16, v50
	v_mov_b32_e32 v17, v51
	v_bfe_u32 v4, v50, 23, 1
; %bb.11769:                            ;   in Loop: Header=BB6_10271 Depth=2
	s_or_b64 exec, exec, s[18:19]
	v_lshrrev_b64 v[8:9], 20, v[16:17]
	v_cmp_gt_i32_e32 vcc, 16, v4
	v_cndmask_b32_e32 v17, 0, v9, vcc
	v_cndmask_b32_e32 v16, 7, v8, vcc
	v_cmp_ne_u64_e32 vcc, 0, v[16:17]
	v_cmp_ne_u32_e64 s[18:19], 0, v4
	s_or_b64 s[18:19], s[18:19], vcc
                                        ; implicit-def: $vgpr3
	s_and_saveexec_b64 s[92:93], s[18:19]
	s_xor_b64 s[18:19], exec, s[92:93]
; %bb.11770:                            ;   in Loop: Header=BB6_10271 Depth=2
	v_min_i32_e32 v3, 15, v4
	v_lshl_or_b32 v0, v3, 3, v0
	v_and_or_b32 v3, v16, 7, v0
                                        ; implicit-def: $vgpr0
; %bb.11771:                            ;   in Loop: Header=BB6_10271 Depth=2
	s_andn2_saveexec_b64 s[18:19], s[18:19]
; %bb.11772:                            ;   in Loop: Header=BB6_10271 Depth=2
	v_mov_b32_e32 v3, v0
; %bb.11773:                            ;   in Loop: Header=BB6_10271 Depth=2
	s_or_b64 exec, exec, s[18:19]
.LBB6_11774:                            ;   in Loop: Header=BB6_10271 Depth=2
	s_or_b64 exec, exec, s[90:91]
                                        ; implicit-def: $vgpr0
.LBB6_11775:                            ;   in Loop: Header=BB6_10271 Depth=2
	s_andn2_saveexec_b64 s[18:19], s[88:89]
; %bb.11776:                            ;   in Loop: Header=BB6_10271 Depth=2
	v_or_b32_e32 v3, 0x7e, v0
; %bb.11777:                            ;   in Loop: Header=BB6_10271 Depth=2
	s_or_b64 exec, exec, s[18:19]
                                        ; implicit-def: $vgpr4
.LBB6_11778:                            ;   in Loop: Header=BB6_10271 Depth=2
	s_andn2_saveexec_b64 s[18:19], s[78:79]
; %bb.11779:                            ;   in Loop: Header=BB6_10271 Depth=2
	v_or_b32_sdwa v3, v4, s39 dst_sel:DWORD dst_unused:UNUSED_PAD src0_sel:BYTE_3 src1_sel:DWORD
; %bb.11780:                            ;   in Loop: Header=BB6_10271 Depth=2
	s_or_b64 exec, exec, s[18:19]
	buffer_load_dword v0, off, s[0:3], s33 offset:140 ; 4-byte Folded Reload
	v_mov_b32_e32 v4, 0
	s_waitcnt vmcnt(0)
	v_and_b32_e32 v16, 0xff, v0
	v_cmp_ne_u16_e32 vcc, 0, v16
	v_mov_b32_e32 v0, 0
	s_and_saveexec_b64 s[18:19], vcc
	s_cbranch_execz .LBB6_11786
; %bb.11781:                            ;   in Loop: Header=BB6_10271 Depth=2
	v_cmp_ne_u16_e32 vcc, s50, v16
	v_bfrev_b32_e32 v4, 1
	s_and_saveexec_b64 s[78:79], vcc
	s_cbranch_execz .LBB6_11785
; %bb.11782:                            ;   in Loop: Header=BB6_10271 Depth=2
	buffer_load_dword v18, off, s[0:3], s33 offset:140 ; 4-byte Folded Reload
	v_mov_b32_e32 v4, 0x7f800001
	s_waitcnt vmcnt(0)
	v_and_b32_e32 v5, 0x7f, v18
	v_cmp_ne_u32_e32 vcc, s39, v5
	s_and_saveexec_b64 s[88:89], vcc
	s_cbranch_execz .LBB6_11784
; %bb.11783:                            ;   in Loop: Header=BB6_10271 Depth=2
	v_and_b32_e32 v8, 7, v16
	v_ffbh_u32_e32 v4, v8
	v_min_u32_e32 v17, 32, v4
	v_subrev_u32_e32 v4, 28, v17
	v_lshrrev_b32_e32 v9, 3, v5
	v_cmp_gt_u32_e32 vcc, 8, v5
	v_lshlrev_b64 v[4:5], v4, v[16:17]
	v_sub_u32_e32 v5, 29, v17
	v_and_b32_e32 v4, 7, v4
	v_cndmask_b32_e32 v5, v9, v5, vcc
	v_cndmask_b32_e32 v4, v8, v4, vcc
	v_lshlrev_b32_e32 v8, 24, v18
	v_lshlrev_b32_e32 v4, 20, v4
	v_and_b32_e32 v8, 0x80000000, v8
	v_lshl_add_u32 v5, v5, 23, v62
	v_or3_b32 v4, v8, v5, v4
.LBB6_11784:                            ;   in Loop: Header=BB6_10271 Depth=2
	s_or_b64 exec, exec, s[88:89]
.LBB6_11785:                            ;   in Loop: Header=BB6_10271 Depth=2
	s_or_b64 exec, exec, s[78:79]
.LBB6_11786:                            ;   in Loop: Header=BB6_10271 Depth=2
	s_or_b64 exec, exec, s[18:19]
	v_and_b32_e32 v16, 0xff, v6
	v_cmp_ne_u16_e32 vcc, 0, v16
	s_and_saveexec_b64 s[18:19], vcc
	s_cbranch_execz .LBB6_11792
; %bb.11787:                            ;   in Loop: Header=BB6_10271 Depth=2
	v_cmp_ne_u16_e32 vcc, s50, v16
	v_bfrev_b32_e32 v0, 1
	s_and_saveexec_b64 s[78:79], vcc
	s_cbranch_execz .LBB6_11791
; %bb.11788:                            ;   in Loop: Header=BB6_10271 Depth=2
	v_and_b32_e32 v5, 0x7f, v6
	v_cmp_ne_u32_e32 vcc, s39, v5
	v_mov_b32_e32 v0, 0x7f800001
	s_and_saveexec_b64 s[88:89], vcc
	s_cbranch_execz .LBB6_11790
; %bb.11789:                            ;   in Loop: Header=BB6_10271 Depth=2
	v_and_b32_e32 v0, 7, v16
	v_lshrrev_b32_e32 v17, 3, v5
	v_cmp_gt_u32_e32 vcc, 8, v5
	v_ffbh_u32_e32 v5, v0
	v_min_u32_e32 v5, 32, v5
	v_subrev_u32_e32 v8, 28, v5
	v_lshlrev_b64 v[8:9], v8, v[16:17]
	v_sub_u32_e32 v5, 29, v5
	v_and_b32_e32 v8, 7, v8
	v_cndmask_b32_e32 v5, v17, v5, vcc
	v_cndmask_b32_e32 v0, v0, v8, vcc
	v_lshlrev_b32_e32 v6, 24, v6
	v_lshlrev_b32_e32 v0, 20, v0
	v_and_b32_e32 v6, 0x80000000, v6
	v_lshl_add_u32 v5, v5, 23, v62
	v_or3_b32 v0, v6, v5, v0
.LBB6_11790:                            ;   in Loop: Header=BB6_10271 Depth=2
	s_or_b64 exec, exec, s[88:89]
.LBB6_11791:                            ;   in Loop: Header=BB6_10271 Depth=2
	s_or_b64 exec, exec, s[78:79]
.LBB6_11792:                            ;   in Loop: Header=BB6_10271 Depth=2
	s_or_b64 exec, exec, s[18:19]
	v_add_f32_e32 v5, v4, v0
	v_and_b32_e32 v50, 0x7f800000, v5
	v_cmp_ne_u64_e32 vcc, s[46:47], v[50:51]
                                        ; implicit-def: $vgpr0
	s_and_saveexec_b64 s[18:19], vcc
	s_xor_b64 s[78:79], exec, s[18:19]
	s_cbranch_execz .LBB6_11810
; %bb.11793:                            ;   in Loop: Header=BB6_10271 Depth=2
	v_and_b32_e32 v50, 0x7fffffff, v5
	v_cmp_gt_u64_e32 vcc, s[56:57], v[50:51]
	v_and_b32_sdwa v4, v5, s50 dst_sel:DWORD dst_unused:UNUSED_PAD src0_sel:BYTE_3 src1_sel:DWORD
                                        ; implicit-def: $vgpr0
	s_and_saveexec_b64 s[18:19], vcc
	s_xor_b64 s[88:89], exec, s[18:19]
	s_cbranch_execz .LBB6_11807
; %bb.11794:                            ;   in Loop: Header=BB6_10271 Depth=2
	v_cmp_ne_u32_e32 vcc, 0, v5
	v_mov_b32_e32 v0, 0
	s_and_saveexec_b64 s[90:91], vcc
	s_cbranch_execz .LBB6_11806
; %bb.11795:                            ;   in Loop: Header=BB6_10271 Depth=2
	v_bfe_u32 v0, v5, 23, 8
	v_and_b32_e32 v6, 0x7fffff, v5
	v_cmp_gt_u32_e64 s[18:19], s51, v0
	v_sub_u32_e32 v5, 0x79, v0
	v_cmp_eq_u32_e32 vcc, 0, v0
	v_cndmask_b32_e64 v5, 0, v5, s[18:19]
	v_mov_b32_e32 v9, 0x78
	v_or_b32_e32 v8, 0x800000, v6
	v_cndmask_b32_e32 v5, v5, v9, vcc
	v_cndmask_b32_e32 v50, v8, v6, vcc
	v_add_u32_e32 v6, 20, v5
	v_lshlrev_b64 v[8:9], v6, -1
	v_add_u32_e32 v6, 19, v5
	v_lshlrev_b64 v[16:17], v6, 1
	v_bfi_b32 v9, v9, 0, 0
	v_bfi_b32 v8, v8, 0, v50
	v_cmp_eq_u64_e64 s[18:19], v[8:9], v[16:17]
	v_lshrrev_b64 v[16:17], v5, v[50:51]
	v_mov_b32_e32 v18, v17
	v_mov_b32_e32 v17, v16
	s_and_saveexec_b64 s[92:93], s[18:19]
; %bb.11796:                            ;   in Loop: Header=BB6_10271 Depth=2
	v_bfe_u32 v6, v16, 20, 1
	v_add_co_u32_e64 v6, s[18:19], v16, v6
	v_add_co_u32_e64 v17, s[18:19], -1, v6
; %bb.11797:                            ;   in Loop: Header=BB6_10271 Depth=2
	s_or_b64 exec, exec, s[92:93]
	v_add_u32_e32 v0, 0xffffff81, v0
	v_mov_b32_e32 v6, 0xffffff82
	v_cndmask_b32_e32 v0, v0, v6, vcc
	v_lshrrev_b32_e32 v6, 23, v16
	v_add3_u32 v6, v5, v0, v6
	v_add_u32_e32 v0, 6, v6
	v_and_b32_e32 v5, 0xfffff, v17
	v_add_u32_e32 v50, v5, v16
	v_cmp_ne_u32_e32 vcc, 0, v0
                                        ; implicit-def: $vgpr16_vgpr17
                                        ; implicit-def: $vgpr5
	s_and_saveexec_b64 s[18:19], vcc
	s_xor_b64 s[18:19], exec, s[18:19]
; %bb.11798:                            ;   in Loop: Header=BB6_10271 Depth=2
	v_cmp_lt_u64_e32 vcc, s[58:59], v[50:51]
	v_add_u32_e32 v5, 7, v6
	v_cndmask_b32_e32 v5, v0, v5, vcc
	v_cndmask_b32_e64 v0, 0, 1, vcc
	v_lshrrev_b64 v[16:17], v0, v[50:51]
; %bb.11799:                            ;   in Loop: Header=BB6_10271 Depth=2
	s_andn2_saveexec_b64 s[18:19], s[18:19]
; %bb.11800:                            ;   in Loop: Header=BB6_10271 Depth=2
	v_mov_b32_e32 v16, v50
	v_mov_b32_e32 v17, v51
	v_bfe_u32 v5, v50, 23, 1
; %bb.11801:                            ;   in Loop: Header=BB6_10271 Depth=2
	s_or_b64 exec, exec, s[18:19]
	v_lshrrev_b64 v[8:9], 20, v[16:17]
	v_cmp_gt_i32_e32 vcc, 16, v5
	v_cndmask_b32_e32 v17, 0, v9, vcc
	v_cndmask_b32_e32 v16, 7, v8, vcc
	v_cmp_ne_u64_e32 vcc, 0, v[16:17]
	v_cmp_ne_u32_e64 s[18:19], 0, v5
	s_or_b64 s[18:19], s[18:19], vcc
                                        ; implicit-def: $vgpr0
	s_and_saveexec_b64 s[92:93], s[18:19]
	s_xor_b64 s[18:19], exec, s[92:93]
; %bb.11802:                            ;   in Loop: Header=BB6_10271 Depth=2
	v_min_i32_e32 v0, 15, v5
	v_lshl_or_b32 v0, v0, 3, v4
	v_and_or_b32 v0, v16, 7, v0
                                        ; implicit-def: $vgpr4
; %bb.11803:                            ;   in Loop: Header=BB6_10271 Depth=2
	s_andn2_saveexec_b64 s[18:19], s[18:19]
; %bb.11804:                            ;   in Loop: Header=BB6_10271 Depth=2
	v_mov_b32_e32 v0, v4
; %bb.11805:                            ;   in Loop: Header=BB6_10271 Depth=2
	s_or_b64 exec, exec, s[18:19]
.LBB6_11806:                            ;   in Loop: Header=BB6_10271 Depth=2
	s_or_b64 exec, exec, s[90:91]
                                        ; implicit-def: $vgpr4
.LBB6_11807:                            ;   in Loop: Header=BB6_10271 Depth=2
	s_andn2_saveexec_b64 s[18:19], s[88:89]
; %bb.11808:                            ;   in Loop: Header=BB6_10271 Depth=2
	v_or_b32_e32 v0, 0x7e, v4
; %bb.11809:                            ;   in Loop: Header=BB6_10271 Depth=2
	s_or_b64 exec, exec, s[18:19]
                                        ; implicit-def: $vgpr5
.LBB6_11810:                            ;   in Loop: Header=BB6_10271 Depth=2
	s_andn2_saveexec_b64 s[18:19], s[78:79]
; %bb.11811:                            ;   in Loop: Header=BB6_10271 Depth=2
	v_or_b32_sdwa v0, v5, s39 dst_sel:DWORD dst_unused:UNUSED_PAD src0_sel:BYTE_3 src1_sel:DWORD
; %bb.11812:                            ;   in Loop: Header=BB6_10271 Depth=2
	s_or_b64 exec, exec, s[18:19]
	buffer_load_dword v4, off, s[0:3], s33 offset:136 ; 4-byte Folded Reload
	v_mov_b32_e32 v5, 0
	s_waitcnt vmcnt(0)
	v_and_b32_e32 v16, 0xff, v4
	v_cmp_ne_u16_e32 vcc, 0, v16
	v_mov_b32_e32 v4, 0
	s_and_saveexec_b64 s[18:19], vcc
	s_cbranch_execz .LBB6_11818
; %bb.11813:                            ;   in Loop: Header=BB6_10271 Depth=2
	v_cmp_ne_u16_e32 vcc, s50, v16
	v_bfrev_b32_e32 v5, 1
	s_and_saveexec_b64 s[78:79], vcc
	s_cbranch_execz .LBB6_11817
; %bb.11814:                            ;   in Loop: Header=BB6_10271 Depth=2
	buffer_load_dword v18, off, s[0:3], s33 offset:136 ; 4-byte Folded Reload
	v_mov_b32_e32 v5, 0x7f800001
	s_waitcnt vmcnt(0)
	v_and_b32_e32 v6, 0x7f, v18
	v_cmp_ne_u32_e32 vcc, s39, v6
	s_and_saveexec_b64 s[88:89], vcc
	s_cbranch_execz .LBB6_11816
; %bb.11815:                            ;   in Loop: Header=BB6_10271 Depth=2
	v_and_b32_e32 v8, 7, v16
	v_ffbh_u32_e32 v5, v8
	v_min_u32_e32 v17, 32, v5
	v_subrev_u32_e32 v5, 28, v17
	v_lshrrev_b32_e32 v9, 3, v6
	v_cmp_gt_u32_e32 vcc, 8, v6
	v_lshlrev_b64 v[5:6], v5, v[16:17]
	v_sub_u32_e32 v6, 29, v17
	v_and_b32_e32 v5, 7, v5
	v_cndmask_b32_e32 v6, v9, v6, vcc
	v_cndmask_b32_e32 v5, v8, v5, vcc
	v_lshlrev_b32_e32 v8, 24, v18
	v_lshlrev_b32_e32 v5, 20, v5
	v_and_b32_e32 v8, 0x80000000, v8
	v_lshl_add_u32 v6, v6, 23, v62
	v_or3_b32 v5, v8, v6, v5
.LBB6_11816:                            ;   in Loop: Header=BB6_10271 Depth=2
	s_or_b64 exec, exec, s[88:89]
.LBB6_11817:                            ;   in Loop: Header=BB6_10271 Depth=2
	s_or_b64 exec, exec, s[78:79]
.LBB6_11818:                            ;   in Loop: Header=BB6_10271 Depth=2
	s_or_b64 exec, exec, s[18:19]
	v_and_b32_e32 v16, 0xff, v61
	v_cmp_ne_u16_e32 vcc, 0, v16
	s_and_saveexec_b64 s[18:19], vcc
	s_cbranch_execz .LBB6_11824
; %bb.11819:                            ;   in Loop: Header=BB6_10271 Depth=2
	v_cmp_ne_u16_e32 vcc, s50, v16
	v_bfrev_b32_e32 v4, 1
	s_and_saveexec_b64 s[78:79], vcc
	s_cbranch_execz .LBB6_11823
; %bb.11820:                            ;   in Loop: Header=BB6_10271 Depth=2
	v_and_b32_e32 v6, 0x7f, v61
	v_cmp_ne_u32_e32 vcc, s39, v6
	v_mov_b32_e32 v4, 0x7f800001
	s_and_saveexec_b64 s[88:89], vcc
	s_cbranch_execz .LBB6_11822
; %bb.11821:                            ;   in Loop: Header=BB6_10271 Depth=2
	v_and_b32_e32 v4, 7, v16
	v_lshrrev_b32_e32 v17, 3, v6
	v_cmp_gt_u32_e32 vcc, 8, v6
	v_ffbh_u32_e32 v6, v4
	v_min_u32_e32 v6, 32, v6
	v_subrev_u32_e32 v8, 28, v6
	v_lshlrev_b64 v[8:9], v8, v[16:17]
	v_sub_u32_e32 v6, 29, v6
	v_and_b32_e32 v8, 7, v8
	v_cndmask_b32_e32 v6, v17, v6, vcc
	v_cndmask_b32_e32 v4, v4, v8, vcc
	v_lshlrev_b32_e32 v8, 24, v61
	v_lshlrev_b32_e32 v4, 20, v4
	v_and_b32_e32 v8, 0x80000000, v8
	v_lshl_add_u32 v6, v6, 23, v62
	v_or3_b32 v4, v8, v6, v4
.LBB6_11822:                            ;   in Loop: Header=BB6_10271 Depth=2
	s_or_b64 exec, exec, s[88:89]
.LBB6_11823:                            ;   in Loop: Header=BB6_10271 Depth=2
	s_or_b64 exec, exec, s[78:79]
.LBB6_11824:                            ;   in Loop: Header=BB6_10271 Depth=2
	s_or_b64 exec, exec, s[18:19]
	v_add_f32_e32 v6, v5, v4
	v_and_b32_e32 v50, 0x7f800000, v6
	v_cmp_ne_u64_e32 vcc, s[46:47], v[50:51]
                                        ; implicit-def: $vgpr4
	s_and_saveexec_b64 s[18:19], vcc
	s_xor_b64 s[78:79], exec, s[18:19]
	s_cbranch_execz .LBB6_11842
; %bb.11825:                            ;   in Loop: Header=BB6_10271 Depth=2
	v_and_b32_e32 v50, 0x7fffffff, v6
	v_cmp_gt_u64_e32 vcc, s[56:57], v[50:51]
	v_and_b32_sdwa v5, v6, s50 dst_sel:DWORD dst_unused:UNUSED_PAD src0_sel:BYTE_3 src1_sel:DWORD
                                        ; implicit-def: $vgpr4
	s_and_saveexec_b64 s[18:19], vcc
	s_xor_b64 s[88:89], exec, s[18:19]
	s_cbranch_execz .LBB6_11839
; %bb.11826:                            ;   in Loop: Header=BB6_10271 Depth=2
	v_cmp_ne_u32_e32 vcc, 0, v6
	v_mov_b32_e32 v4, 0
	s_and_saveexec_b64 s[90:91], vcc
	s_cbranch_execz .LBB6_11838
; %bb.11827:                            ;   in Loop: Header=BB6_10271 Depth=2
	v_bfe_u32 v4, v6, 23, 8
	v_and_b32_e32 v8, 0x7fffff, v6
	v_cmp_gt_u32_e64 s[18:19], s51, v4
	v_sub_u32_e32 v6, 0x79, v4
	v_cmp_eq_u32_e32 vcc, 0, v4
	v_cndmask_b32_e64 v6, 0, v6, s[18:19]
	v_mov_b32_e32 v16, 0x78
	v_or_b32_e32 v9, 0x800000, v8
	v_cndmask_b32_e32 v6, v6, v16, vcc
	v_cndmask_b32_e32 v50, v9, v8, vcc
	v_add_u32_e32 v8, 20, v6
	v_lshlrev_b64 v[8:9], v8, -1
	v_add_u32_e32 v16, 19, v6
	v_lshlrev_b64 v[16:17], v16, 1
	v_bfi_b32 v9, v9, 0, 0
	v_bfi_b32 v8, v8, 0, v50
	v_cmp_eq_u64_e64 s[18:19], v[8:9], v[16:17]
	v_lshrrev_b64 v[16:17], v6, v[50:51]
	v_mov_b32_e32 v18, v17
	v_mov_b32_e32 v17, v16
	s_and_saveexec_b64 s[92:93], s[18:19]
; %bb.11828:                            ;   in Loop: Header=BB6_10271 Depth=2
	v_bfe_u32 v8, v16, 20, 1
	v_add_co_u32_e64 v8, s[18:19], v16, v8
	v_add_co_u32_e64 v17, s[18:19], -1, v8
; %bb.11829:                            ;   in Loop: Header=BB6_10271 Depth=2
	s_or_b64 exec, exec, s[92:93]
	v_add_u32_e32 v4, 0xffffff81, v4
	v_mov_b32_e32 v8, 0xffffff82
	v_cndmask_b32_e32 v4, v4, v8, vcc
	v_lshrrev_b32_e32 v8, 23, v16
	v_add3_u32 v8, v6, v4, v8
	v_add_u32_e32 v4, 6, v8
	v_and_b32_e32 v6, 0xfffff, v17
	v_add_u32_e32 v50, v6, v16
	v_cmp_ne_u32_e32 vcc, 0, v4
                                        ; implicit-def: $vgpr16_vgpr17
                                        ; implicit-def: $vgpr6
	s_and_saveexec_b64 s[18:19], vcc
	s_xor_b64 s[18:19], exec, s[18:19]
; %bb.11830:                            ;   in Loop: Header=BB6_10271 Depth=2
	v_cmp_lt_u64_e32 vcc, s[58:59], v[50:51]
	v_add_u32_e32 v6, 7, v8
	v_cndmask_b32_e32 v6, v4, v6, vcc
	v_cndmask_b32_e64 v4, 0, 1, vcc
	v_lshrrev_b64 v[16:17], v4, v[50:51]
; %bb.11831:                            ;   in Loop: Header=BB6_10271 Depth=2
	s_andn2_saveexec_b64 s[18:19], s[18:19]
; %bb.11832:                            ;   in Loop: Header=BB6_10271 Depth=2
	v_mov_b32_e32 v16, v50
	v_mov_b32_e32 v17, v51
	v_bfe_u32 v6, v50, 23, 1
; %bb.11833:                            ;   in Loop: Header=BB6_10271 Depth=2
	s_or_b64 exec, exec, s[18:19]
	v_lshrrev_b64 v[8:9], 20, v[16:17]
	v_cmp_gt_i32_e32 vcc, 16, v6
	v_cndmask_b32_e32 v17, 0, v9, vcc
	v_cndmask_b32_e32 v16, 7, v8, vcc
	v_cmp_ne_u64_e32 vcc, 0, v[16:17]
	v_cmp_ne_u32_e64 s[18:19], 0, v6
	s_or_b64 s[18:19], s[18:19], vcc
                                        ; implicit-def: $vgpr4
	s_and_saveexec_b64 s[92:93], s[18:19]
	s_xor_b64 s[18:19], exec, s[92:93]
; %bb.11834:                            ;   in Loop: Header=BB6_10271 Depth=2
	v_min_i32_e32 v4, 15, v6
	v_lshl_or_b32 v4, v4, 3, v5
	v_and_or_b32 v4, v16, 7, v4
                                        ; implicit-def: $vgpr5
; %bb.11835:                            ;   in Loop: Header=BB6_10271 Depth=2
	s_andn2_saveexec_b64 s[18:19], s[18:19]
; %bb.11836:                            ;   in Loop: Header=BB6_10271 Depth=2
	v_mov_b32_e32 v4, v5
; %bb.11837:                            ;   in Loop: Header=BB6_10271 Depth=2
	s_or_b64 exec, exec, s[18:19]
.LBB6_11838:                            ;   in Loop: Header=BB6_10271 Depth=2
	s_or_b64 exec, exec, s[90:91]
                                        ; implicit-def: $vgpr5
.LBB6_11839:                            ;   in Loop: Header=BB6_10271 Depth=2
	s_andn2_saveexec_b64 s[18:19], s[88:89]
; %bb.11840:                            ;   in Loop: Header=BB6_10271 Depth=2
	v_or_b32_e32 v4, 0x7e, v5
; %bb.11841:                            ;   in Loop: Header=BB6_10271 Depth=2
	s_or_b64 exec, exec, s[18:19]
                                        ; implicit-def: $vgpr6
.LBB6_11842:                            ;   in Loop: Header=BB6_10271 Depth=2
	s_andn2_saveexec_b64 s[18:19], s[78:79]
; %bb.11843:                            ;   in Loop: Header=BB6_10271 Depth=2
	v_or_b32_sdwa v4, v6, s39 dst_sel:DWORD dst_unused:UNUSED_PAD src0_sel:BYTE_3 src1_sel:DWORD
; %bb.11844:                            ;   in Loop: Header=BB6_10271 Depth=2
	s_or_b64 exec, exec, s[18:19]
	buffer_load_dword v5, off, s[0:3], s33 offset:132 ; 4-byte Folded Reload
	v_mov_b32_e32 v6, 0
	s_waitcnt vmcnt(0)
	v_and_b32_e32 v16, 0xff, v5
	v_cmp_ne_u16_e32 vcc, 0, v16
	v_mov_b32_e32 v5, 0
	s_and_saveexec_b64 s[18:19], vcc
	s_cbranch_execz .LBB6_11850
; %bb.11845:                            ;   in Loop: Header=BB6_10271 Depth=2
	v_cmp_ne_u16_e32 vcc, s50, v16
	v_bfrev_b32_e32 v6, 1
	s_and_saveexec_b64 s[78:79], vcc
	s_cbranch_execz .LBB6_11849
; %bb.11846:                            ;   in Loop: Header=BB6_10271 Depth=2
	buffer_load_dword v19, off, s[0:3], s33 offset:132 ; 4-byte Folded Reload
	v_mov_b32_e32 v6, 0x7f800001
	s_waitcnt vmcnt(0)
	v_and_b32_e32 v8, 0x7f, v19
	v_cmp_ne_u32_e32 vcc, s39, v8
	s_and_saveexec_b64 s[88:89], vcc
	s_cbranch_execz .LBB6_11848
; %bb.11847:                            ;   in Loop: Header=BB6_10271 Depth=2
	v_and_b32_e32 v6, 7, v16
	v_lshrrev_b32_e32 v17, 3, v8
	v_cmp_gt_u32_e32 vcc, 8, v8
	v_ffbh_u32_e32 v8, v6
	v_min_u32_e32 v18, 32, v8
	v_subrev_u32_e32 v8, 28, v18
	v_lshlrev_b64 v[8:9], v8, v[16:17]
	v_sub_u32_e32 v9, 29, v18
	v_and_b32_e32 v8, 7, v8
	v_cndmask_b32_e32 v9, v17, v9, vcc
	v_cndmask_b32_e32 v6, v6, v8, vcc
	v_lshlrev_b32_e32 v8, 24, v19
	v_lshlrev_b32_e32 v6, 20, v6
	v_and_b32_e32 v8, 0x80000000, v8
	v_lshl_add_u32 v9, v9, 23, v62
	v_or3_b32 v6, v8, v9, v6
.LBB6_11848:                            ;   in Loop: Header=BB6_10271 Depth=2
	s_or_b64 exec, exec, s[88:89]
.LBB6_11849:                            ;   in Loop: Header=BB6_10271 Depth=2
	s_or_b64 exec, exec, s[78:79]
.LBB6_11850:                            ;   in Loop: Header=BB6_10271 Depth=2
	s_or_b64 exec, exec, s[18:19]
	v_and_b32_e32 v16, 0xff, v59
	v_cmp_ne_u16_e32 vcc, 0, v16
	s_and_saveexec_b64 s[18:19], vcc
	s_cbranch_execz .LBB6_11856
; %bb.11851:                            ;   in Loop: Header=BB6_10271 Depth=2
	v_cmp_ne_u16_e32 vcc, s50, v16
	v_bfrev_b32_e32 v5, 1
	s_and_saveexec_b64 s[78:79], vcc
	s_cbranch_execz .LBB6_11855
; %bb.11852:                            ;   in Loop: Header=BB6_10271 Depth=2
	v_and_b32_e32 v8, 0x7f, v59
	v_cmp_ne_u32_e32 vcc, s39, v8
	v_mov_b32_e32 v5, 0x7f800001
	s_and_saveexec_b64 s[88:89], vcc
	s_cbranch_execz .LBB6_11854
; %bb.11853:                            ;   in Loop: Header=BB6_10271 Depth=2
	v_and_b32_e32 v5, 7, v16
	v_lshrrev_b32_e32 v17, 3, v8
	v_cmp_gt_u32_e32 vcc, 8, v8
	v_ffbh_u32_e32 v8, v5
	v_min_u32_e32 v18, 32, v8
	v_subrev_u32_e32 v8, 28, v18
	v_lshlrev_b64 v[8:9], v8, v[16:17]
	v_sub_u32_e32 v9, 29, v18
	v_and_b32_e32 v8, 7, v8
	v_cndmask_b32_e32 v9, v17, v9, vcc
	v_cndmask_b32_e32 v5, v5, v8, vcc
	v_lshlrev_b32_e32 v8, 24, v59
	v_lshlrev_b32_e32 v5, 20, v5
	v_and_b32_e32 v8, 0x80000000, v8
	v_lshl_add_u32 v9, v9, 23, v62
	v_or3_b32 v5, v8, v9, v5
.LBB6_11854:                            ;   in Loop: Header=BB6_10271 Depth=2
	s_or_b64 exec, exec, s[88:89]
.LBB6_11855:                            ;   in Loop: Header=BB6_10271 Depth=2
	s_or_b64 exec, exec, s[78:79]
.LBB6_11856:                            ;   in Loop: Header=BB6_10271 Depth=2
	s_or_b64 exec, exec, s[18:19]
	v_add_f32_e32 v8, v6, v5
	v_and_b32_e32 v50, 0x7f800000, v8
	v_cmp_ne_u64_e32 vcc, s[46:47], v[50:51]
                                        ; implicit-def: $vgpr5
	s_and_saveexec_b64 s[18:19], vcc
	s_xor_b64 s[78:79], exec, s[18:19]
	s_cbranch_execz .LBB6_11874
; %bb.11857:                            ;   in Loop: Header=BB6_10271 Depth=2
	v_and_b32_e32 v50, 0x7fffffff, v8
	v_cmp_gt_u64_e32 vcc, s[56:57], v[50:51]
	v_and_b32_sdwa v6, v8, s50 dst_sel:DWORD dst_unused:UNUSED_PAD src0_sel:BYTE_3 src1_sel:DWORD
                                        ; implicit-def: $vgpr5
	s_and_saveexec_b64 s[18:19], vcc
	s_xor_b64 s[88:89], exec, s[18:19]
	s_cbranch_execz .LBB6_11871
; %bb.11858:                            ;   in Loop: Header=BB6_10271 Depth=2
	v_cmp_ne_u32_e32 vcc, 0, v8
	v_mov_b32_e32 v5, 0
	s_and_saveexec_b64 s[90:91], vcc
	s_cbranch_execz .LBB6_11870
; %bb.11859:                            ;   in Loop: Header=BB6_10271 Depth=2
	v_bfe_u32 v5, v8, 23, 8
	v_and_b32_e32 v9, 0x7fffff, v8
	v_cmp_gt_u32_e64 s[18:19], s51, v5
	v_sub_u32_e32 v8, 0x79, v5
	v_cmp_eq_u32_e32 vcc, 0, v5
	v_cndmask_b32_e64 v8, 0, v8, s[18:19]
	v_mov_b32_e32 v17, 0x78
	v_or_b32_e32 v16, 0x800000, v9
	v_cndmask_b32_e32 v8, v8, v17, vcc
	v_cndmask_b32_e32 v50, v16, v9, vcc
	v_add_u32_e32 v9, 20, v8
	v_lshlrev_b64 v[16:17], v9, -1
	v_add_u32_e32 v9, 19, v8
	v_lshlrev_b64 v[18:19], v9, 1
	v_bfi_b32 v17, v17, 0, 0
	v_bfi_b32 v16, v16, 0, v50
	v_cmp_eq_u64_e64 s[18:19], v[16:17], v[18:19]
	v_lshrrev_b64 v[16:17], v8, v[50:51]
	v_mov_b32_e32 v18, v17
	v_mov_b32_e32 v17, v16
	s_and_saveexec_b64 s[92:93], s[18:19]
; %bb.11860:                            ;   in Loop: Header=BB6_10271 Depth=2
	v_bfe_u32 v9, v16, 20, 1
	v_add_co_u32_e64 v9, s[18:19], v16, v9
	v_add_co_u32_e64 v17, s[18:19], -1, v9
; %bb.11861:                            ;   in Loop: Header=BB6_10271 Depth=2
	s_or_b64 exec, exec, s[92:93]
	v_add_u32_e32 v5, 0xffffff81, v5
	v_mov_b32_e32 v9, 0xffffff82
	v_cndmask_b32_e32 v5, v5, v9, vcc
	v_lshrrev_b32_e32 v9, 23, v16
	v_add3_u32 v9, v8, v5, v9
	v_add_u32_e32 v5, 6, v9
	v_and_b32_e32 v8, 0xfffff, v17
	v_add_u32_e32 v50, v8, v16
	v_cmp_ne_u32_e32 vcc, 0, v5
                                        ; implicit-def: $vgpr16_vgpr17
                                        ; implicit-def: $vgpr8
	s_and_saveexec_b64 s[18:19], vcc
	s_xor_b64 s[18:19], exec, s[18:19]
; %bb.11862:                            ;   in Loop: Header=BB6_10271 Depth=2
	v_cmp_lt_u64_e32 vcc, s[58:59], v[50:51]
	v_add_u32_e32 v8, 7, v9
	v_cndmask_b32_e32 v8, v5, v8, vcc
	v_cndmask_b32_e64 v5, 0, 1, vcc
	v_lshrrev_b64 v[16:17], v5, v[50:51]
; %bb.11863:                            ;   in Loop: Header=BB6_10271 Depth=2
	s_andn2_saveexec_b64 s[18:19], s[18:19]
; %bb.11864:                            ;   in Loop: Header=BB6_10271 Depth=2
	v_mov_b32_e32 v16, v50
	v_mov_b32_e32 v17, v51
	v_bfe_u32 v8, v50, 23, 1
; %bb.11865:                            ;   in Loop: Header=BB6_10271 Depth=2
	s_or_b64 exec, exec, s[18:19]
	v_lshrrev_b64 v[16:17], 20, v[16:17]
	v_cmp_gt_i32_e32 vcc, 16, v8
	v_cndmask_b32_e32 v17, 0, v17, vcc
	v_cndmask_b32_e32 v16, 7, v16, vcc
	v_cmp_ne_u64_e32 vcc, 0, v[16:17]
	v_cmp_ne_u32_e64 s[18:19], 0, v8
	s_or_b64 s[18:19], s[18:19], vcc
                                        ; implicit-def: $vgpr5
	s_and_saveexec_b64 s[92:93], s[18:19]
	s_xor_b64 s[18:19], exec, s[92:93]
; %bb.11866:                            ;   in Loop: Header=BB6_10271 Depth=2
	v_min_i32_e32 v5, 15, v8
	v_lshl_or_b32 v5, v5, 3, v6
	v_and_or_b32 v5, v16, 7, v5
                                        ; implicit-def: $vgpr6
; %bb.11867:                            ;   in Loop: Header=BB6_10271 Depth=2
	s_andn2_saveexec_b64 s[18:19], s[18:19]
; %bb.11868:                            ;   in Loop: Header=BB6_10271 Depth=2
	v_mov_b32_e32 v5, v6
; %bb.11869:                            ;   in Loop: Header=BB6_10271 Depth=2
	s_or_b64 exec, exec, s[18:19]
.LBB6_11870:                            ;   in Loop: Header=BB6_10271 Depth=2
	s_or_b64 exec, exec, s[90:91]
                                        ; implicit-def: $vgpr6
.LBB6_11871:                            ;   in Loop: Header=BB6_10271 Depth=2
	s_andn2_saveexec_b64 s[18:19], s[88:89]
; %bb.11872:                            ;   in Loop: Header=BB6_10271 Depth=2
	v_or_b32_e32 v5, 0x7e, v6
; %bb.11873:                            ;   in Loop: Header=BB6_10271 Depth=2
	s_or_b64 exec, exec, s[18:19]
                                        ; implicit-def: $vgpr8
.LBB6_11874:                            ;   in Loop: Header=BB6_10271 Depth=2
	s_andn2_saveexec_b64 s[18:19], s[78:79]
; %bb.11875:                            ;   in Loop: Header=BB6_10271 Depth=2
	v_or_b32_sdwa v5, v8, s39 dst_sel:DWORD dst_unused:UNUSED_PAD src0_sel:BYTE_3 src1_sel:DWORD
; %bb.11876:                            ;   in Loop: Header=BB6_10271 Depth=2
	s_or_b64 exec, exec, s[18:19]
	buffer_load_dword v6, off, s[0:3], s33 offset:128 ; 4-byte Folded Reload
	v_mov_b32_e32 v8, 0
	s_waitcnt vmcnt(0)
	v_and_b32_e32 v16, 0xff, v6
	v_cmp_ne_u16_e32 vcc, 0, v16
	v_mov_b32_e32 v6, 0
	s_and_saveexec_b64 s[18:19], vcc
	s_cbranch_execz .LBB6_11882
; %bb.11877:                            ;   in Loop: Header=BB6_10271 Depth=2
	v_cmp_ne_u16_e32 vcc, s50, v16
	v_bfrev_b32_e32 v8, 1
	s_and_saveexec_b64 s[78:79], vcc
	s_cbranch_execz .LBB6_11881
; %bb.11878:                            ;   in Loop: Header=BB6_10271 Depth=2
	buffer_load_dword v20, off, s[0:3], s33 offset:128 ; 4-byte Folded Reload
	v_mov_b32_e32 v8, 0x7f800001
	s_waitcnt vmcnt(0)
	v_and_b32_e32 v9, 0x7f, v20
	v_cmp_ne_u32_e32 vcc, s39, v9
	s_and_saveexec_b64 s[88:89], vcc
	s_cbranch_execz .LBB6_11880
; %bb.11879:                            ;   in Loop: Header=BB6_10271 Depth=2
	v_and_b32_e32 v17, 7, v16
	v_ffbh_u32_e32 v8, v17
	v_min_u32_e32 v19, 32, v8
	v_subrev_u32_e32 v8, 28, v19
	v_lshrrev_b32_e32 v18, 3, v9
	v_cmp_gt_u32_e32 vcc, 8, v9
	v_lshlrev_b64 v[8:9], v8, v[16:17]
	v_sub_u32_e32 v9, 29, v19
	v_and_b32_e32 v8, 7, v8
	v_cndmask_b32_e32 v9, v18, v9, vcc
	v_cndmask_b32_e32 v8, v17, v8, vcc
	v_lshlrev_b32_e32 v16, 24, v20
	v_lshlrev_b32_e32 v8, 20, v8
	v_and_b32_e32 v16, 0x80000000, v16
	v_lshl_add_u32 v9, v9, 23, v62
	v_or3_b32 v8, v16, v9, v8
.LBB6_11880:                            ;   in Loop: Header=BB6_10271 Depth=2
	s_or_b64 exec, exec, s[88:89]
.LBB6_11881:                            ;   in Loop: Header=BB6_10271 Depth=2
	s_or_b64 exec, exec, s[78:79]
.LBB6_11882:                            ;   in Loop: Header=BB6_10271 Depth=2
	s_or_b64 exec, exec, s[18:19]
	v_and_b32_e32 v16, 0xff, v58
	v_cmp_ne_u16_e32 vcc, 0, v16
	s_and_saveexec_b64 s[18:19], vcc
	s_cbranch_execz .LBB6_11888
; %bb.11883:                            ;   in Loop: Header=BB6_10271 Depth=2
	v_cmp_ne_u16_e32 vcc, s50, v16
	v_bfrev_b32_e32 v6, 1
	s_and_saveexec_b64 s[78:79], vcc
	s_cbranch_execz .LBB6_11887
; %bb.11884:                            ;   in Loop: Header=BB6_10271 Depth=2
	v_and_b32_e32 v9, 0x7f, v58
	v_cmp_ne_u32_e32 vcc, s39, v9
	v_mov_b32_e32 v6, 0x7f800001
	s_and_saveexec_b64 s[88:89], vcc
	s_cbranch_execz .LBB6_11886
; %bb.11885:                            ;   in Loop: Header=BB6_10271 Depth=2
	v_and_b32_e32 v6, 7, v16
	v_lshrrev_b32_e32 v18, 3, v9
	v_cmp_gt_u32_e32 vcc, 8, v9
	v_ffbh_u32_e32 v9, v6
	v_min_u32_e32 v9, 32, v9
	v_subrev_u32_e32 v17, 28, v9
	v_lshlrev_b64 v[16:17], v17, v[16:17]
	v_sub_u32_e32 v9, 29, v9
	v_and_b32_e32 v16, 7, v16
	v_cndmask_b32_e32 v9, v18, v9, vcc
	v_cndmask_b32_e32 v6, v6, v16, vcc
	v_lshlrev_b32_e32 v16, 24, v58
	v_lshlrev_b32_e32 v6, 20, v6
	v_and_b32_e32 v16, 0x80000000, v16
	v_lshl_add_u32 v9, v9, 23, v62
	v_or3_b32 v6, v16, v9, v6
.LBB6_11886:                            ;   in Loop: Header=BB6_10271 Depth=2
	s_or_b64 exec, exec, s[88:89]
.LBB6_11887:                            ;   in Loop: Header=BB6_10271 Depth=2
	s_or_b64 exec, exec, s[78:79]
.LBB6_11888:                            ;   in Loop: Header=BB6_10271 Depth=2
	s_or_b64 exec, exec, s[18:19]
	v_add_f32_e32 v9, v8, v6
	v_and_b32_e32 v50, 0x7f800000, v9
	v_cmp_ne_u64_e32 vcc, s[46:47], v[50:51]
                                        ; implicit-def: $vgpr6
	s_and_saveexec_b64 s[18:19], vcc
	s_xor_b64 s[78:79], exec, s[18:19]
	s_cbranch_execz .LBB6_11906
; %bb.11889:                            ;   in Loop: Header=BB6_10271 Depth=2
	v_and_b32_e32 v50, 0x7fffffff, v9
	v_cmp_gt_u64_e32 vcc, s[56:57], v[50:51]
	v_and_b32_sdwa v8, v9, s50 dst_sel:DWORD dst_unused:UNUSED_PAD src0_sel:BYTE_3 src1_sel:DWORD
                                        ; implicit-def: $vgpr6
	s_and_saveexec_b64 s[18:19], vcc
	s_xor_b64 s[88:89], exec, s[18:19]
	s_cbranch_execz .LBB6_11903
; %bb.11890:                            ;   in Loop: Header=BB6_10271 Depth=2
	v_cmp_ne_u32_e32 vcc, 0, v9
	v_mov_b32_e32 v6, 0
	s_and_saveexec_b64 s[90:91], vcc
	s_cbranch_execz .LBB6_11902
; %bb.11891:                            ;   in Loop: Header=BB6_10271 Depth=2
	v_bfe_u32 v6, v9, 23, 8
	v_and_b32_e32 v16, 0x7fffff, v9
	v_cmp_gt_u32_e64 s[18:19], s51, v6
	v_sub_u32_e32 v9, 0x79, v6
	v_cmp_eq_u32_e32 vcc, 0, v6
	v_cndmask_b32_e64 v9, 0, v9, s[18:19]
	v_mov_b32_e32 v18, 0x78
	v_or_b32_e32 v17, 0x800000, v16
	v_cndmask_b32_e32 v9, v9, v18, vcc
	v_cndmask_b32_e32 v50, v17, v16, vcc
	v_add_u32_e32 v16, 20, v9
	v_lshlrev_b64 v[16:17], v16, -1
	v_add_u32_e32 v18, 19, v9
	v_lshlrev_b64 v[18:19], v18, 1
	v_bfi_b32 v17, v17, 0, 0
	v_bfi_b32 v16, v16, 0, v50
	v_cmp_eq_u64_e64 s[18:19], v[16:17], v[18:19]
	v_lshrrev_b64 v[16:17], v9, v[50:51]
	v_mov_b32_e32 v18, v17
	v_mov_b32_e32 v17, v16
	s_and_saveexec_b64 s[92:93], s[18:19]
; %bb.11892:                            ;   in Loop: Header=BB6_10271 Depth=2
	v_bfe_u32 v17, v16, 20, 1
	v_add_co_u32_e64 v17, s[18:19], v16, v17
	v_add_co_u32_e64 v17, s[18:19], -1, v17
; %bb.11893:                            ;   in Loop: Header=BB6_10271 Depth=2
	s_or_b64 exec, exec, s[92:93]
	v_add_u32_e32 v6, 0xffffff81, v6
	v_mov_b32_e32 v18, 0xffffff82
	v_cndmask_b32_e32 v6, v6, v18, vcc
	v_lshrrev_b32_e32 v18, 23, v16
	v_add3_u32 v18, v9, v6, v18
	v_add_u32_e32 v6, 6, v18
	v_and_b32_e32 v9, 0xfffff, v17
	v_add_u32_e32 v50, v9, v16
	v_cmp_ne_u32_e32 vcc, 0, v6
                                        ; implicit-def: $vgpr16_vgpr17
                                        ; implicit-def: $vgpr9
	s_and_saveexec_b64 s[18:19], vcc
	s_xor_b64 s[18:19], exec, s[18:19]
; %bb.11894:                            ;   in Loop: Header=BB6_10271 Depth=2
	v_cmp_lt_u64_e32 vcc, s[58:59], v[50:51]
	v_add_u32_e32 v9, 7, v18
	v_cndmask_b32_e32 v9, v6, v9, vcc
	v_cndmask_b32_e64 v6, 0, 1, vcc
	v_lshrrev_b64 v[16:17], v6, v[50:51]
; %bb.11895:                            ;   in Loop: Header=BB6_10271 Depth=2
	s_andn2_saveexec_b64 s[18:19], s[18:19]
; %bb.11896:                            ;   in Loop: Header=BB6_10271 Depth=2
	v_mov_b32_e32 v16, v50
	v_mov_b32_e32 v17, v51
	v_bfe_u32 v9, v50, 23, 1
; %bb.11897:                            ;   in Loop: Header=BB6_10271 Depth=2
	s_or_b64 exec, exec, s[18:19]
	v_lshrrev_b64 v[16:17], 20, v[16:17]
	v_cmp_gt_i32_e32 vcc, 16, v9
	v_cndmask_b32_e32 v17, 0, v17, vcc
	v_cndmask_b32_e32 v16, 7, v16, vcc
	v_cmp_ne_u64_e32 vcc, 0, v[16:17]
	v_cmp_ne_u32_e64 s[18:19], 0, v9
	s_or_b64 s[18:19], s[18:19], vcc
                                        ; implicit-def: $vgpr6
	s_and_saveexec_b64 s[92:93], s[18:19]
	s_xor_b64 s[18:19], exec, s[92:93]
; %bb.11898:                            ;   in Loop: Header=BB6_10271 Depth=2
	v_min_i32_e32 v6, 15, v9
	v_lshl_or_b32 v6, v6, 3, v8
	v_and_or_b32 v6, v16, 7, v6
                                        ; implicit-def: $vgpr8
; %bb.11899:                            ;   in Loop: Header=BB6_10271 Depth=2
	s_andn2_saveexec_b64 s[18:19], s[18:19]
; %bb.11900:                            ;   in Loop: Header=BB6_10271 Depth=2
	v_mov_b32_e32 v6, v8
; %bb.11901:                            ;   in Loop: Header=BB6_10271 Depth=2
	s_or_b64 exec, exec, s[18:19]
.LBB6_11902:                            ;   in Loop: Header=BB6_10271 Depth=2
	s_or_b64 exec, exec, s[90:91]
                                        ; implicit-def: $vgpr8
.LBB6_11903:                            ;   in Loop: Header=BB6_10271 Depth=2
	s_andn2_saveexec_b64 s[18:19], s[88:89]
; %bb.11904:                            ;   in Loop: Header=BB6_10271 Depth=2
	v_or_b32_e32 v6, 0x7e, v8
; %bb.11905:                            ;   in Loop: Header=BB6_10271 Depth=2
	s_or_b64 exec, exec, s[18:19]
                                        ; implicit-def: $vgpr9
.LBB6_11906:                            ;   in Loop: Header=BB6_10271 Depth=2
	s_andn2_saveexec_b64 s[18:19], s[78:79]
; %bb.11907:                            ;   in Loop: Header=BB6_10271 Depth=2
	v_or_b32_sdwa v6, v9, s39 dst_sel:DWORD dst_unused:UNUSED_PAD src0_sel:BYTE_3 src1_sel:DWORD
; %bb.11908:                            ;   in Loop: Header=BB6_10271 Depth=2
	s_or_b64 exec, exec, s[18:19]
	buffer_load_dword v8, off, s[0:3], s33 offset:124 ; 4-byte Folded Reload
	v_mov_b32_e32 v9, 0
	s_waitcnt vmcnt(0)
	v_and_b32_e32 v16, 0xff, v8
	v_cmp_ne_u16_e32 vcc, 0, v16
	v_mov_b32_e32 v8, 0
	s_and_saveexec_b64 s[18:19], vcc
	s_cbranch_execz .LBB6_11914
; %bb.11909:                            ;   in Loop: Header=BB6_10271 Depth=2
	v_cmp_ne_u16_e32 vcc, s50, v16
	v_bfrev_b32_e32 v9, 1
	s_and_saveexec_b64 s[78:79], vcc
	s_cbranch_execz .LBB6_11913
; %bb.11910:                            ;   in Loop: Header=BB6_10271 Depth=2
	buffer_load_dword v20, off, s[0:3], s33 offset:124 ; 4-byte Folded Reload
	v_mov_b32_e32 v9, 0x7f800001
	s_waitcnt vmcnt(0)
	v_and_b32_e32 v17, 0x7f, v20
	v_cmp_ne_u32_e32 vcc, s39, v17
	s_and_saveexec_b64 s[88:89], vcc
	s_cbranch_execz .LBB6_11912
; %bb.11911:                            ;   in Loop: Header=BB6_10271 Depth=2
	v_and_b32_e32 v9, 7, v16
	v_lshrrev_b32_e32 v18, 3, v17
	v_cmp_gt_u32_e32 vcc, 8, v17
	v_ffbh_u32_e32 v17, v9
	v_min_u32_e32 v19, 32, v17
	v_subrev_u32_e32 v17, 28, v19
	v_lshlrev_b64 v[16:17], v17, v[16:17]
	v_sub_u32_e32 v17, 29, v19
	v_and_b32_e32 v16, 7, v16
	v_cndmask_b32_e32 v17, v18, v17, vcc
	v_cndmask_b32_e32 v9, v9, v16, vcc
	v_lshlrev_b32_e32 v16, 24, v20
	v_lshlrev_b32_e32 v9, 20, v9
	v_and_b32_e32 v16, 0x80000000, v16
	v_lshl_add_u32 v17, v17, 23, v62
	v_or3_b32 v9, v16, v17, v9
.LBB6_11912:                            ;   in Loop: Header=BB6_10271 Depth=2
	s_or_b64 exec, exec, s[88:89]
.LBB6_11913:                            ;   in Loop: Header=BB6_10271 Depth=2
	s_or_b64 exec, exec, s[78:79]
.LBB6_11914:                            ;   in Loop: Header=BB6_10271 Depth=2
	s_or_b64 exec, exec, s[18:19]
	v_and_b32_e32 v16, 0xff, v57
	v_cmp_ne_u16_e32 vcc, 0, v16
	s_and_saveexec_b64 s[18:19], vcc
	s_cbranch_execz .LBB6_11920
; %bb.11915:                            ;   in Loop: Header=BB6_10271 Depth=2
	v_cmp_ne_u16_e32 vcc, s50, v16
	v_bfrev_b32_e32 v8, 1
	s_and_saveexec_b64 s[78:79], vcc
	s_cbranch_execz .LBB6_11919
; %bb.11916:                            ;   in Loop: Header=BB6_10271 Depth=2
	v_and_b32_e32 v17, 0x7f, v57
	v_cmp_ne_u32_e32 vcc, s39, v17
	v_mov_b32_e32 v8, 0x7f800001
	s_and_saveexec_b64 s[88:89], vcc
	s_cbranch_execz .LBB6_11918
; %bb.11917:                            ;   in Loop: Header=BB6_10271 Depth=2
	v_and_b32_e32 v8, 7, v16
	v_lshrrev_b32_e32 v18, 3, v17
	v_cmp_gt_u32_e32 vcc, 8, v17
	v_ffbh_u32_e32 v17, v8
	v_min_u32_e32 v19, 32, v17
	v_subrev_u32_e32 v17, 28, v19
	v_lshlrev_b64 v[16:17], v17, v[16:17]
	v_sub_u32_e32 v17, 29, v19
	v_and_b32_e32 v16, 7, v16
	v_cndmask_b32_e32 v17, v18, v17, vcc
	v_cndmask_b32_e32 v8, v8, v16, vcc
	v_lshlrev_b32_e32 v16, 24, v57
	v_lshlrev_b32_e32 v8, 20, v8
	v_and_b32_e32 v16, 0x80000000, v16
	v_lshl_add_u32 v17, v17, 23, v62
	v_or3_b32 v8, v16, v17, v8
.LBB6_11918:                            ;   in Loop: Header=BB6_10271 Depth=2
	s_or_b64 exec, exec, s[88:89]
.LBB6_11919:                            ;   in Loop: Header=BB6_10271 Depth=2
	s_or_b64 exec, exec, s[78:79]
.LBB6_11920:                            ;   in Loop: Header=BB6_10271 Depth=2
	s_or_b64 exec, exec, s[18:19]
	v_add_f32_e32 v16, v9, v8
	v_and_b32_e32 v50, 0x7f800000, v16
	v_cmp_ne_u64_e32 vcc, s[46:47], v[50:51]
                                        ; implicit-def: $vgpr8
	s_and_saveexec_b64 s[18:19], vcc
	s_xor_b64 s[78:79], exec, s[18:19]
	s_cbranch_execz .LBB6_11938
; %bb.11921:                            ;   in Loop: Header=BB6_10271 Depth=2
	v_and_b32_e32 v50, 0x7fffffff, v16
	v_cmp_gt_u64_e32 vcc, s[56:57], v[50:51]
	v_and_b32_sdwa v9, v16, s50 dst_sel:DWORD dst_unused:UNUSED_PAD src0_sel:BYTE_3 src1_sel:DWORD
                                        ; implicit-def: $vgpr8
	s_and_saveexec_b64 s[18:19], vcc
	s_xor_b64 s[88:89], exec, s[18:19]
	s_cbranch_execz .LBB6_11935
; %bb.11922:                            ;   in Loop: Header=BB6_10271 Depth=2
	v_cmp_ne_u32_e32 vcc, 0, v16
	v_mov_b32_e32 v8, 0
	s_and_saveexec_b64 s[90:91], vcc
	s_cbranch_execz .LBB6_11934
; %bb.11923:                            ;   in Loop: Header=BB6_10271 Depth=2
	v_bfe_u32 v8, v16, 23, 8
	v_and_b32_e32 v17, 0x7fffff, v16
	v_cmp_gt_u32_e64 s[18:19], s51, v8
	v_sub_u32_e32 v16, 0x79, v8
	v_cmp_eq_u32_e32 vcc, 0, v8
	v_cndmask_b32_e64 v16, 0, v16, s[18:19]
	v_mov_b32_e32 v19, 0x78
	v_cndmask_b32_e32 v19, v16, v19, vcc
	v_or_b32_e32 v18, 0x800000, v17
	v_add_u32_e32 v16, 20, v19
	v_cndmask_b32_e32 v50, v18, v17, vcc
	v_lshlrev_b64 v[16:17], v16, -1
	v_add_u32_e32 v18, 19, v19
	v_lshlrev_b64 v[20:21], v18, 1
	v_bfi_b32 v17, v17, 0, 0
	v_bfi_b32 v16, v16, 0, v50
	v_cmp_eq_u64_e64 s[18:19], v[16:17], v[20:21]
	v_lshrrev_b64 v[16:17], v19, v[50:51]
	v_mov_b32_e32 v18, v17
	v_mov_b32_e32 v17, v16
	s_and_saveexec_b64 s[92:93], s[18:19]
; %bb.11924:                            ;   in Loop: Header=BB6_10271 Depth=2
	v_bfe_u32 v17, v16, 20, 1
	v_add_co_u32_e64 v17, s[18:19], v16, v17
	v_add_co_u32_e64 v17, s[18:19], -1, v17
; %bb.11925:                            ;   in Loop: Header=BB6_10271 Depth=2
	s_or_b64 exec, exec, s[92:93]
	v_add_u32_e32 v8, 0xffffff81, v8
	v_mov_b32_e32 v18, 0xffffff82
	v_cndmask_b32_e32 v8, v8, v18, vcc
	v_lshrrev_b32_e32 v18, 23, v16
	v_add3_u32 v19, v19, v8, v18
	v_add_u32_e32 v8, 6, v19
	v_and_b32_e32 v17, 0xfffff, v17
	v_add_u32_e32 v50, v17, v16
	v_cmp_ne_u32_e32 vcc, 0, v8
                                        ; implicit-def: $vgpr16_vgpr17
                                        ; implicit-def: $vgpr18
	s_and_saveexec_b64 s[18:19], vcc
	s_xor_b64 s[18:19], exec, s[18:19]
; %bb.11926:                            ;   in Loop: Header=BB6_10271 Depth=2
	v_cmp_lt_u64_e32 vcc, s[58:59], v[50:51]
	v_add_u32_e32 v16, 7, v19
	v_cndmask_b32_e32 v18, v8, v16, vcc
	v_cndmask_b32_e64 v8, 0, 1, vcc
	v_lshrrev_b64 v[16:17], v8, v[50:51]
; %bb.11927:                            ;   in Loop: Header=BB6_10271 Depth=2
	s_andn2_saveexec_b64 s[18:19], s[18:19]
; %bb.11928:                            ;   in Loop: Header=BB6_10271 Depth=2
	v_mov_b32_e32 v16, v50
	v_mov_b32_e32 v17, v51
	v_bfe_u32 v18, v50, 23, 1
; %bb.11929:                            ;   in Loop: Header=BB6_10271 Depth=2
	s_or_b64 exec, exec, s[18:19]
	v_lshrrev_b64 v[16:17], 20, v[16:17]
	v_cmp_gt_i32_e32 vcc, 16, v18
	v_cndmask_b32_e32 v17, 0, v17, vcc
	v_cndmask_b32_e32 v16, 7, v16, vcc
	v_cmp_ne_u64_e32 vcc, 0, v[16:17]
	v_cmp_ne_u32_e64 s[18:19], 0, v18
	s_or_b64 s[18:19], s[18:19], vcc
                                        ; implicit-def: $vgpr8
	s_and_saveexec_b64 s[92:93], s[18:19]
	s_xor_b64 s[18:19], exec, s[92:93]
; %bb.11930:                            ;   in Loop: Header=BB6_10271 Depth=2
	v_min_i32_e32 v8, 15, v18
	v_lshl_or_b32 v8, v8, 3, v9
	v_and_or_b32 v8, v16, 7, v8
                                        ; implicit-def: $vgpr9
; %bb.11931:                            ;   in Loop: Header=BB6_10271 Depth=2
	s_andn2_saveexec_b64 s[18:19], s[18:19]
; %bb.11932:                            ;   in Loop: Header=BB6_10271 Depth=2
	v_mov_b32_e32 v8, v9
; %bb.11933:                            ;   in Loop: Header=BB6_10271 Depth=2
	s_or_b64 exec, exec, s[18:19]
.LBB6_11934:                            ;   in Loop: Header=BB6_10271 Depth=2
	s_or_b64 exec, exec, s[90:91]
                                        ; implicit-def: $vgpr9
.LBB6_11935:                            ;   in Loop: Header=BB6_10271 Depth=2
	s_andn2_saveexec_b64 s[18:19], s[88:89]
; %bb.11936:                            ;   in Loop: Header=BB6_10271 Depth=2
	v_or_b32_e32 v8, 0x7e, v9
; %bb.11937:                            ;   in Loop: Header=BB6_10271 Depth=2
	s_or_b64 exec, exec, s[18:19]
                                        ; implicit-def: $vgpr16
.LBB6_11938:                            ;   in Loop: Header=BB6_10271 Depth=2
	s_andn2_saveexec_b64 s[18:19], s[78:79]
; %bb.11939:                            ;   in Loop: Header=BB6_10271 Depth=2
	v_or_b32_sdwa v8, v16, s39 dst_sel:DWORD dst_unused:UNUSED_PAD src0_sel:BYTE_3 src1_sel:DWORD
; %bb.11940:                            ;   in Loop: Header=BB6_10271 Depth=2
	s_or_b64 exec, exec, s[18:19]
	buffer_load_dword v9, off, s[0:3], s33 offset:120 ; 4-byte Folded Reload
	v_mov_b32_e32 v17, 0
	s_waitcnt vmcnt(0)
	v_and_b32_e32 v16, 0xff, v9
	v_cmp_ne_u16_e32 vcc, 0, v16
	v_mov_b32_e32 v9, 0
	s_and_saveexec_b64 s[18:19], vcc
	s_cbranch_execz .LBB6_11946
; %bb.11941:                            ;   in Loop: Header=BB6_10271 Depth=2
	v_cmp_ne_u16_e32 vcc, s50, v16
	v_bfrev_b32_e32 v17, 1
	s_and_saveexec_b64 s[78:79], vcc
	s_cbranch_execz .LBB6_11945
; %bb.11942:                            ;   in Loop: Header=BB6_10271 Depth=2
	buffer_load_dword v21, off, s[0:3], s33 offset:120 ; 4-byte Folded Reload
	v_mov_b32_e32 v17, 0x7f800001
	s_waitcnt vmcnt(0)
	v_and_b32_e32 v18, 0x7f, v21
	v_cmp_ne_u32_e32 vcc, s39, v18
	s_and_saveexec_b64 s[88:89], vcc
	s_cbranch_execz .LBB6_11944
; %bb.11943:                            ;   in Loop: Header=BB6_10271 Depth=2
	v_and_b32_e32 v19, 7, v16
	v_ffbh_u32_e32 v17, v19
	v_lshrrev_b32_e32 v20, 3, v18
	v_cmp_gt_u32_e32 vcc, 8, v18
	v_min_u32_e32 v18, 32, v17
	v_subrev_u32_e32 v17, 28, v18
	v_lshlrev_b64 v[16:17], v17, v[16:17]
	v_sub_u32_e32 v17, 29, v18
	v_and_b32_e32 v16, 7, v16
	v_cndmask_b32_e32 v17, v20, v17, vcc
	v_cndmask_b32_e32 v16, v19, v16, vcc
	v_lshlrev_b32_e32 v18, 24, v21
	v_lshlrev_b32_e32 v16, 20, v16
	v_and_b32_e32 v18, 0x80000000, v18
	v_lshl_add_u32 v17, v17, 23, v62
	v_or3_b32 v17, v18, v17, v16
.LBB6_11944:                            ;   in Loop: Header=BB6_10271 Depth=2
	s_or_b64 exec, exec, s[88:89]
.LBB6_11945:                            ;   in Loop: Header=BB6_10271 Depth=2
	s_or_b64 exec, exec, s[78:79]
.LBB6_11946:                            ;   in Loop: Header=BB6_10271 Depth=2
	s_or_b64 exec, exec, s[18:19]
	v_and_b32_e32 v16, 0xff, v56
	v_cmp_ne_u16_e32 vcc, 0, v16
	s_and_saveexec_b64 s[18:19], vcc
	s_cbranch_execz .LBB6_11952
; %bb.11947:                            ;   in Loop: Header=BB6_10271 Depth=2
	v_cmp_ne_u16_e32 vcc, s50, v16
	v_bfrev_b32_e32 v9, 1
	s_and_saveexec_b64 s[78:79], vcc
	s_cbranch_execz .LBB6_11951
; %bb.11948:                            ;   in Loop: Header=BB6_10271 Depth=2
	v_and_b32_e32 v18, 0x7f, v56
	v_cmp_ne_u32_e32 vcc, s39, v18
	v_mov_b32_e32 v9, 0x7f800001
	s_and_saveexec_b64 s[88:89], vcc
	s_cbranch_execz .LBB6_11950
; %bb.11949:                            ;   in Loop: Header=BB6_10271 Depth=2
	v_and_b32_e32 v9, 7, v16
	v_lshrrev_b32_e32 v20, 3, v18
	v_cmp_gt_u32_e32 vcc, 8, v18
	v_ffbh_u32_e32 v18, v9
	v_min_u32_e32 v21, 32, v18
	v_subrev_u32_e32 v18, 28, v21
	v_lshlrev_b64 v[18:19], v18, v[16:17]
	v_sub_u32_e32 v16, 29, v21
	v_and_b32_e32 v18, 7, v18
	v_cndmask_b32_e32 v16, v20, v16, vcc
	v_cndmask_b32_e32 v9, v9, v18, vcc
	v_lshlrev_b32_e32 v18, 24, v56
	v_lshlrev_b32_e32 v9, 20, v9
	v_and_b32_e32 v18, 0x80000000, v18
	v_lshl_add_u32 v16, v16, 23, v62
	v_or3_b32 v9, v18, v16, v9
.LBB6_11950:                            ;   in Loop: Header=BB6_10271 Depth=2
	s_or_b64 exec, exec, s[88:89]
.LBB6_11951:                            ;   in Loop: Header=BB6_10271 Depth=2
	s_or_b64 exec, exec, s[78:79]
.LBB6_11952:                            ;   in Loop: Header=BB6_10271 Depth=2
	s_or_b64 exec, exec, s[18:19]
	v_add_f32_e32 v16, v17, v9
	v_and_b32_e32 v50, 0x7f800000, v16
	v_cmp_ne_u64_e32 vcc, s[46:47], v[50:51]
                                        ; implicit-def: $vgpr19
	s_and_saveexec_b64 s[18:19], vcc
	s_xor_b64 s[78:79], exec, s[18:19]
	s_cbranch_execz .LBB6_11970
; %bb.11953:                            ;   in Loop: Header=BB6_10271 Depth=2
	v_and_b32_e32 v50, 0x7fffffff, v16
	v_cmp_gt_u64_e32 vcc, s[56:57], v[50:51]
	v_and_b32_sdwa v9, v16, s50 dst_sel:DWORD dst_unused:UNUSED_PAD src0_sel:BYTE_3 src1_sel:DWORD
                                        ; implicit-def: $vgpr19
	s_and_saveexec_b64 s[18:19], vcc
	s_xor_b64 s[88:89], exec, s[18:19]
	s_cbranch_execz .LBB6_11967
; %bb.11954:                            ;   in Loop: Header=BB6_10271 Depth=2
	v_cmp_ne_u32_e32 vcc, 0, v16
	v_mov_b32_e32 v19, 0
	s_and_saveexec_b64 s[90:91], vcc
	s_cbranch_execz .LBB6_11966
; %bb.11955:                            ;   in Loop: Header=BB6_10271 Depth=2
	v_bfe_u32 v19, v16, 23, 8
	v_and_b32_e32 v17, 0x7fffff, v16
	v_cmp_gt_u32_e64 s[18:19], s51, v19
	v_sub_u32_e32 v16, 0x79, v19
	v_cmp_eq_u32_e32 vcc, 0, v19
	v_cndmask_b32_e64 v16, 0, v16, s[18:19]
	v_mov_b32_e32 v20, 0x78
	v_cndmask_b32_e32 v20, v16, v20, vcc
	v_or_b32_e32 v18, 0x800000, v17
	v_add_u32_e32 v16, 20, v20
	v_cndmask_b32_e32 v50, v18, v17, vcc
	v_lshlrev_b64 v[16:17], v16, -1
	v_add_u32_e32 v18, 19, v20
	v_lshlrev_b64 v[21:22], v18, 1
	v_bfi_b32 v17, v17, 0, 0
	v_bfi_b32 v16, v16, 0, v50
	v_cmp_eq_u64_e64 s[18:19], v[16:17], v[21:22]
	v_lshrrev_b64 v[16:17], v20, v[50:51]
	v_mov_b32_e32 v18, v17
	v_mov_b32_e32 v17, v16
	s_and_saveexec_b64 s[92:93], s[18:19]
; %bb.11956:                            ;   in Loop: Header=BB6_10271 Depth=2
	v_bfe_u32 v17, v16, 20, 1
	v_add_co_u32_e64 v17, s[18:19], v16, v17
	v_add_co_u32_e64 v17, s[18:19], -1, v17
; %bb.11957:                            ;   in Loop: Header=BB6_10271 Depth=2
	s_or_b64 exec, exec, s[92:93]
	v_add_u32_e32 v18, 0xffffff81, v19
	v_mov_b32_e32 v19, 0xffffff82
	v_cndmask_b32_e32 v18, v18, v19, vcc
	v_lshrrev_b32_e32 v19, 23, v16
	v_add3_u32 v20, v20, v18, v19
	v_add_u32_e32 v19, 6, v20
	v_and_b32_e32 v17, 0xfffff, v17
	v_add_u32_e32 v50, v17, v16
	v_cmp_ne_u32_e32 vcc, 0, v19
                                        ; implicit-def: $vgpr16_vgpr17
                                        ; implicit-def: $vgpr18
	s_and_saveexec_b64 s[18:19], vcc
	s_xor_b64 s[18:19], exec, s[18:19]
; %bb.11958:                            ;   in Loop: Header=BB6_10271 Depth=2
	v_cmp_lt_u64_e32 vcc, s[58:59], v[50:51]
	v_add_u32_e32 v16, 7, v20
	v_cndmask_b32_e32 v18, v19, v16, vcc
	v_cndmask_b32_e64 v16, 0, 1, vcc
	v_lshrrev_b64 v[16:17], v16, v[50:51]
; %bb.11959:                            ;   in Loop: Header=BB6_10271 Depth=2
	s_andn2_saveexec_b64 s[18:19], s[18:19]
; %bb.11960:                            ;   in Loop: Header=BB6_10271 Depth=2
	v_mov_b32_e32 v16, v50
	v_mov_b32_e32 v17, v51
	v_bfe_u32 v18, v50, 23, 1
; %bb.11961:                            ;   in Loop: Header=BB6_10271 Depth=2
	s_or_b64 exec, exec, s[18:19]
	v_lshrrev_b64 v[16:17], 20, v[16:17]
	v_cmp_gt_i32_e32 vcc, 16, v18
	v_cndmask_b32_e32 v17, 0, v17, vcc
	v_cndmask_b32_e32 v16, 7, v16, vcc
	v_cmp_ne_u64_e32 vcc, 0, v[16:17]
	v_cmp_ne_u32_e64 s[18:19], 0, v18
	s_or_b64 s[18:19], s[18:19], vcc
                                        ; implicit-def: $vgpr19
	s_and_saveexec_b64 s[92:93], s[18:19]
	s_xor_b64 s[18:19], exec, s[92:93]
; %bb.11962:                            ;   in Loop: Header=BB6_10271 Depth=2
	v_min_i32_e32 v17, 15, v18
	v_lshl_or_b32 v9, v17, 3, v9
	v_and_or_b32 v19, v16, 7, v9
                                        ; implicit-def: $vgpr9
; %bb.11963:                            ;   in Loop: Header=BB6_10271 Depth=2
	s_andn2_saveexec_b64 s[18:19], s[18:19]
; %bb.11964:                            ;   in Loop: Header=BB6_10271 Depth=2
	v_mov_b32_e32 v19, v9
; %bb.11965:                            ;   in Loop: Header=BB6_10271 Depth=2
	s_or_b64 exec, exec, s[18:19]
.LBB6_11966:                            ;   in Loop: Header=BB6_10271 Depth=2
	s_or_b64 exec, exec, s[90:91]
                                        ; implicit-def: $vgpr9
.LBB6_11967:                            ;   in Loop: Header=BB6_10271 Depth=2
	s_andn2_saveexec_b64 s[18:19], s[88:89]
; %bb.11968:                            ;   in Loop: Header=BB6_10271 Depth=2
	v_or_b32_e32 v19, 0x7e, v9
; %bb.11969:                            ;   in Loop: Header=BB6_10271 Depth=2
	s_or_b64 exec, exec, s[18:19]
                                        ; implicit-def: $vgpr16
.LBB6_11970:                            ;   in Loop: Header=BB6_10271 Depth=2
	s_andn2_saveexec_b64 s[18:19], s[78:79]
; %bb.11971:                            ;   in Loop: Header=BB6_10271 Depth=2
	v_or_b32_sdwa v19, v16, s39 dst_sel:DWORD dst_unused:UNUSED_PAD src0_sel:BYTE_3 src1_sel:DWORD
; %bb.11972:                            ;   in Loop: Header=BB6_10271 Depth=2
	s_or_b64 exec, exec, s[18:19]
	buffer_load_dword v9, off, s[0:3], s33 offset:116 ; 4-byte Folded Reload
	v_mov_b32_e32 v17, 0
	s_waitcnt vmcnt(0)
	v_and_b32_e32 v16, 0xff, v9
	v_cmp_ne_u16_e32 vcc, 0, v16
	v_mov_b32_e32 v9, 0
	s_and_saveexec_b64 s[18:19], vcc
	s_cbranch_execz .LBB6_11978
; %bb.11973:                            ;   in Loop: Header=BB6_10271 Depth=2
	v_cmp_ne_u16_e32 vcc, s50, v16
	v_bfrev_b32_e32 v17, 1
	s_and_saveexec_b64 s[78:79], vcc
	s_cbranch_execz .LBB6_11977
; %bb.11974:                            ;   in Loop: Header=BB6_10271 Depth=2
	buffer_load_dword v22, off, s[0:3], s33 offset:116 ; 4-byte Folded Reload
	v_mov_b32_e32 v17, 0x7f800001
	s_waitcnt vmcnt(0)
	v_and_b32_e32 v18, 0x7f, v22
	v_cmp_ne_u32_e32 vcc, s39, v18
	s_and_saveexec_b64 s[88:89], vcc
	s_cbranch_execz .LBB6_11976
; %bb.11975:                            ;   in Loop: Header=BB6_10271 Depth=2
	v_and_b32_e32 v20, 7, v16
	v_ffbh_u32_e32 v17, v20
	v_lshrrev_b32_e32 v21, 3, v18
	v_cmp_gt_u32_e32 vcc, 8, v18
	v_min_u32_e32 v18, 32, v17
	v_subrev_u32_e32 v17, 28, v18
	v_lshlrev_b64 v[16:17], v17, v[16:17]
	v_sub_u32_e32 v17, 29, v18
	v_and_b32_e32 v16, 7, v16
	v_cndmask_b32_e32 v17, v21, v17, vcc
	v_cndmask_b32_e32 v16, v20, v16, vcc
	v_lshlrev_b32_e32 v18, 24, v22
	v_lshlrev_b32_e32 v16, 20, v16
	v_and_b32_e32 v18, 0x80000000, v18
	v_lshl_add_u32 v17, v17, 23, v62
	v_or3_b32 v17, v18, v17, v16
.LBB6_11976:                            ;   in Loop: Header=BB6_10271 Depth=2
	s_or_b64 exec, exec, s[88:89]
.LBB6_11977:                            ;   in Loop: Header=BB6_10271 Depth=2
	s_or_b64 exec, exec, s[78:79]
.LBB6_11978:                            ;   in Loop: Header=BB6_10271 Depth=2
	s_or_b64 exec, exec, s[18:19]
	v_and_b32_e32 v16, 0xff, v45
	v_cmp_ne_u16_e32 vcc, 0, v16
	s_and_saveexec_b64 s[18:19], vcc
	s_cbranch_execz .LBB6_11984
; %bb.11979:                            ;   in Loop: Header=BB6_10271 Depth=2
	v_cmp_ne_u16_e32 vcc, s50, v16
	v_bfrev_b32_e32 v9, 1
	s_and_saveexec_b64 s[78:79], vcc
	s_cbranch_execz .LBB6_11983
; %bb.11980:                            ;   in Loop: Header=BB6_10271 Depth=2
	v_and_b32_e32 v18, 0x7f, v45
	v_cmp_ne_u32_e32 vcc, s39, v18
	v_mov_b32_e32 v9, 0x7f800001
	s_and_saveexec_b64 s[88:89], vcc
	s_cbranch_execz .LBB6_11982
; %bb.11981:                            ;   in Loop: Header=BB6_10271 Depth=2
	v_and_b32_e32 v9, 7, v16
	v_lshrrev_b32_e32 v22, 3, v18
	v_cmp_gt_u32_e32 vcc, 8, v18
	v_ffbh_u32_e32 v18, v9
	v_min_u32_e32 v18, 32, v18
	v_subrev_u32_e32 v20, 28, v18
	v_lshlrev_b64 v[20:21], v20, v[16:17]
	v_sub_u32_e32 v16, 29, v18
	v_and_b32_e32 v18, 7, v20
	v_cndmask_b32_e32 v16, v22, v16, vcc
	v_cndmask_b32_e32 v9, v9, v18, vcc
	v_lshlrev_b32_e32 v18, 24, v45
	v_lshlrev_b32_e32 v9, 20, v9
	v_and_b32_e32 v18, 0x80000000, v18
	v_lshl_add_u32 v16, v16, 23, v62
	v_or3_b32 v9, v18, v16, v9
.LBB6_11982:                            ;   in Loop: Header=BB6_10271 Depth=2
	s_or_b64 exec, exec, s[88:89]
.LBB6_11983:                            ;   in Loop: Header=BB6_10271 Depth=2
	s_or_b64 exec, exec, s[78:79]
.LBB6_11984:                            ;   in Loop: Header=BB6_10271 Depth=2
	s_or_b64 exec, exec, s[18:19]
	v_add_f32_e32 v16, v17, v9
	v_and_b32_e32 v50, 0x7f800000, v16
	v_cmp_ne_u64_e32 vcc, s[46:47], v[50:51]
                                        ; implicit-def: $vgpr20
	s_and_saveexec_b64 s[18:19], vcc
	s_xor_b64 s[78:79], exec, s[18:19]
	s_cbranch_execz .LBB6_12002
; %bb.11985:                            ;   in Loop: Header=BB6_10271 Depth=2
	v_and_b32_e32 v50, 0x7fffffff, v16
	v_cmp_gt_u64_e32 vcc, s[56:57], v[50:51]
	v_and_b32_sdwa v9, v16, s50 dst_sel:DWORD dst_unused:UNUSED_PAD src0_sel:BYTE_3 src1_sel:DWORD
                                        ; implicit-def: $vgpr20
	s_and_saveexec_b64 s[18:19], vcc
	s_xor_b64 s[88:89], exec, s[18:19]
	s_cbranch_execz .LBB6_11999
; %bb.11986:                            ;   in Loop: Header=BB6_10271 Depth=2
	v_cmp_ne_u32_e32 vcc, 0, v16
	v_mov_b32_e32 v20, 0
	s_and_saveexec_b64 s[90:91], vcc
	s_cbranch_execz .LBB6_11998
; %bb.11987:                            ;   in Loop: Header=BB6_10271 Depth=2
	v_bfe_u32 v20, v16, 23, 8
	v_and_b32_e32 v17, 0x7fffff, v16
	v_cmp_gt_u32_e64 s[18:19], s51, v20
	v_sub_u32_e32 v16, 0x79, v20
	v_cmp_eq_u32_e32 vcc, 0, v20
	v_cndmask_b32_e64 v16, 0, v16, s[18:19]
	v_mov_b32_e32 v21, 0x78
	v_cndmask_b32_e32 v21, v16, v21, vcc
	v_or_b32_e32 v18, 0x800000, v17
	v_add_u32_e32 v16, 20, v21
	v_cndmask_b32_e32 v50, v18, v17, vcc
	v_lshlrev_b64 v[16:17], v16, -1
	v_add_u32_e32 v18, 19, v21
	v_lshlrev_b64 v[22:23], v18, 1
	v_bfi_b32 v17, v17, 0, 0
	v_bfi_b32 v16, v16, 0, v50
	v_cmp_eq_u64_e64 s[18:19], v[16:17], v[22:23]
	v_lshrrev_b64 v[16:17], v21, v[50:51]
	v_mov_b32_e32 v18, v17
	v_mov_b32_e32 v17, v16
	s_and_saveexec_b64 s[92:93], s[18:19]
; %bb.11988:                            ;   in Loop: Header=BB6_10271 Depth=2
	v_bfe_u32 v17, v16, 20, 1
	v_add_co_u32_e64 v17, s[18:19], v16, v17
	v_add_co_u32_e64 v17, s[18:19], -1, v17
; %bb.11989:                            ;   in Loop: Header=BB6_10271 Depth=2
	s_or_b64 exec, exec, s[92:93]
	v_add_u32_e32 v18, 0xffffff81, v20
	v_mov_b32_e32 v20, 0xffffff82
	v_cndmask_b32_e32 v18, v18, v20, vcc
	v_lshrrev_b32_e32 v20, 23, v16
	v_add3_u32 v21, v21, v18, v20
	v_add_u32_e32 v20, 6, v21
	v_and_b32_e32 v17, 0xfffff, v17
	v_add_u32_e32 v50, v17, v16
	v_cmp_ne_u32_e32 vcc, 0, v20
                                        ; implicit-def: $vgpr16_vgpr17
                                        ; implicit-def: $vgpr18
	s_and_saveexec_b64 s[18:19], vcc
	s_xor_b64 s[18:19], exec, s[18:19]
; %bb.11990:                            ;   in Loop: Header=BB6_10271 Depth=2
	v_cmp_lt_u64_e32 vcc, s[58:59], v[50:51]
	v_add_u32_e32 v16, 7, v21
	v_cndmask_b32_e32 v18, v20, v16, vcc
	v_cndmask_b32_e64 v16, 0, 1, vcc
	v_lshrrev_b64 v[16:17], v16, v[50:51]
; %bb.11991:                            ;   in Loop: Header=BB6_10271 Depth=2
	s_andn2_saveexec_b64 s[18:19], s[18:19]
; %bb.11992:                            ;   in Loop: Header=BB6_10271 Depth=2
	v_mov_b32_e32 v16, v50
	v_mov_b32_e32 v17, v51
	v_bfe_u32 v18, v50, 23, 1
; %bb.11993:                            ;   in Loop: Header=BB6_10271 Depth=2
	s_or_b64 exec, exec, s[18:19]
	v_lshrrev_b64 v[16:17], 20, v[16:17]
	v_cmp_gt_i32_e32 vcc, 16, v18
	v_cndmask_b32_e32 v17, 0, v17, vcc
	v_cndmask_b32_e32 v16, 7, v16, vcc
	v_cmp_ne_u64_e32 vcc, 0, v[16:17]
	v_cmp_ne_u32_e64 s[18:19], 0, v18
	s_or_b64 s[18:19], s[18:19], vcc
                                        ; implicit-def: $vgpr20
	s_and_saveexec_b64 s[92:93], s[18:19]
	s_xor_b64 s[18:19], exec, s[92:93]
; %bb.11994:                            ;   in Loop: Header=BB6_10271 Depth=2
	v_min_i32_e32 v17, 15, v18
	v_lshl_or_b32 v9, v17, 3, v9
	v_and_or_b32 v20, v16, 7, v9
                                        ; implicit-def: $vgpr9
; %bb.11995:                            ;   in Loop: Header=BB6_10271 Depth=2
	s_andn2_saveexec_b64 s[18:19], s[18:19]
; %bb.11996:                            ;   in Loop: Header=BB6_10271 Depth=2
	v_mov_b32_e32 v20, v9
; %bb.11997:                            ;   in Loop: Header=BB6_10271 Depth=2
	s_or_b64 exec, exec, s[18:19]
.LBB6_11998:                            ;   in Loop: Header=BB6_10271 Depth=2
	s_or_b64 exec, exec, s[90:91]
                                        ; implicit-def: $vgpr9
.LBB6_11999:                            ;   in Loop: Header=BB6_10271 Depth=2
	s_andn2_saveexec_b64 s[18:19], s[88:89]
; %bb.12000:                            ;   in Loop: Header=BB6_10271 Depth=2
	v_or_b32_e32 v20, 0x7e, v9
; %bb.12001:                            ;   in Loop: Header=BB6_10271 Depth=2
	s_or_b64 exec, exec, s[18:19]
                                        ; implicit-def: $vgpr16
.LBB6_12002:                            ;   in Loop: Header=BB6_10271 Depth=2
	s_andn2_saveexec_b64 s[18:19], s[78:79]
; %bb.12003:                            ;   in Loop: Header=BB6_10271 Depth=2
	v_or_b32_sdwa v20, v16, s39 dst_sel:DWORD dst_unused:UNUSED_PAD src0_sel:BYTE_3 src1_sel:DWORD
; %bb.12004:                            ;   in Loop: Header=BB6_10271 Depth=2
	s_or_b64 exec, exec, s[18:19]
	buffer_load_dword v9, off, s[0:3], s33 offset:112 ; 4-byte Folded Reload
	v_mov_b32_e32 v17, 0
	s_waitcnt vmcnt(0)
	v_and_b32_e32 v16, 0xff, v9
	v_cmp_ne_u16_e32 vcc, 0, v16
	v_mov_b32_e32 v9, 0
	s_and_saveexec_b64 s[18:19], vcc
	s_cbranch_execz .LBB6_12010
; %bb.12005:                            ;   in Loop: Header=BB6_10271 Depth=2
	v_cmp_ne_u16_e32 vcc, s50, v16
	v_bfrev_b32_e32 v17, 1
	s_and_saveexec_b64 s[78:79], vcc
	s_cbranch_execz .LBB6_12009
; %bb.12006:                            ;   in Loop: Header=BB6_10271 Depth=2
	buffer_load_dword v23, off, s[0:3], s33 offset:112 ; 4-byte Folded Reload
	v_mov_b32_e32 v17, 0x7f800001
	s_waitcnt vmcnt(0)
	v_and_b32_e32 v18, 0x7f, v23
	v_cmp_ne_u32_e32 vcc, s39, v18
	s_and_saveexec_b64 s[88:89], vcc
	s_cbranch_execz .LBB6_12008
; %bb.12007:                            ;   in Loop: Header=BB6_10271 Depth=2
	v_and_b32_e32 v21, 7, v16
	v_ffbh_u32_e32 v17, v21
	v_lshrrev_b32_e32 v22, 3, v18
	v_cmp_gt_u32_e32 vcc, 8, v18
	v_min_u32_e32 v18, 32, v17
	v_subrev_u32_e32 v17, 28, v18
	v_lshlrev_b64 v[16:17], v17, v[16:17]
	v_sub_u32_e32 v17, 29, v18
	v_and_b32_e32 v16, 7, v16
	v_cndmask_b32_e32 v17, v22, v17, vcc
	v_cndmask_b32_e32 v16, v21, v16, vcc
	v_lshlrev_b32_e32 v18, 24, v23
	v_lshlrev_b32_e32 v16, 20, v16
	v_and_b32_e32 v18, 0x80000000, v18
	v_lshl_add_u32 v17, v17, 23, v62
	v_or3_b32 v17, v18, v17, v16
.LBB6_12008:                            ;   in Loop: Header=BB6_10271 Depth=2
	s_or_b64 exec, exec, s[88:89]
.LBB6_12009:                            ;   in Loop: Header=BB6_10271 Depth=2
	s_or_b64 exec, exec, s[78:79]
.LBB6_12010:                            ;   in Loop: Header=BB6_10271 Depth=2
	s_or_b64 exec, exec, s[18:19]
	buffer_load_dword v16, off, s[0:3], s33 offset:172 ; 4-byte Folded Reload
	s_waitcnt vmcnt(0)
	v_and_b32_e32 v16, 0xff, v16
	v_cmp_ne_u16_e32 vcc, 0, v16
	s_and_saveexec_b64 s[18:19], vcc
	s_cbranch_execz .LBB6_12016
; %bb.12011:                            ;   in Loop: Header=BB6_10271 Depth=2
	v_cmp_ne_u16_e32 vcc, s50, v16
	v_bfrev_b32_e32 v9, 1
	s_and_saveexec_b64 s[78:79], vcc
	s_cbranch_execz .LBB6_12015
; %bb.12012:                            ;   in Loop: Header=BB6_10271 Depth=2
	buffer_load_dword v24, off, s[0:3], s33 offset:172 ; 4-byte Folded Reload
	v_mov_b32_e32 v9, 0x7f800001
	s_waitcnt vmcnt(0)
	v_and_b32_e32 v18, 0x7f, v24
	v_cmp_ne_u32_e32 vcc, s39, v18
	s_and_saveexec_b64 s[88:89], vcc
	s_cbranch_execz .LBB6_12014
; %bb.12013:                            ;   in Loop: Header=BB6_10271 Depth=2
	v_and_b32_e32 v9, 7, v16
	v_lshrrev_b32_e32 v23, 3, v18
	v_cmp_gt_u32_e32 vcc, 8, v18
	v_ffbh_u32_e32 v18, v9
	v_min_u32_e32 v18, 32, v18
	v_subrev_u32_e32 v21, 28, v18
	v_lshlrev_b64 v[21:22], v21, v[16:17]
	v_sub_u32_e32 v16, 29, v18
	v_and_b32_e32 v18, 7, v21
	v_cndmask_b32_e32 v16, v23, v16, vcc
	v_cndmask_b32_e32 v9, v9, v18, vcc
	v_lshlrev_b32_e32 v18, 24, v24
	v_lshlrev_b32_e32 v9, 20, v9
	v_and_b32_e32 v18, 0x80000000, v18
	v_lshl_add_u32 v16, v16, 23, v62
	v_or3_b32 v9, v18, v16, v9
.LBB6_12014:                            ;   in Loop: Header=BB6_10271 Depth=2
	s_or_b64 exec, exec, s[88:89]
.LBB6_12015:                            ;   in Loop: Header=BB6_10271 Depth=2
	s_or_b64 exec, exec, s[78:79]
.LBB6_12016:                            ;   in Loop: Header=BB6_10271 Depth=2
	s_or_b64 exec, exec, s[18:19]
	v_add_f32_e32 v16, v17, v9
	v_and_b32_e32 v50, 0x7f800000, v16
	v_cmp_ne_u64_e32 vcc, s[46:47], v[50:51]
                                        ; implicit-def: $vgpr21
	s_and_saveexec_b64 s[18:19], vcc
	s_xor_b64 s[78:79], exec, s[18:19]
	s_cbranch_execz .LBB6_12034
; %bb.12017:                            ;   in Loop: Header=BB6_10271 Depth=2
	v_and_b32_e32 v50, 0x7fffffff, v16
	v_cmp_gt_u64_e32 vcc, s[56:57], v[50:51]
	v_and_b32_sdwa v9, v16, s50 dst_sel:DWORD dst_unused:UNUSED_PAD src0_sel:BYTE_3 src1_sel:DWORD
                                        ; implicit-def: $vgpr21
	s_and_saveexec_b64 s[18:19], vcc
	s_xor_b64 s[88:89], exec, s[18:19]
	s_cbranch_execz .LBB6_12031
; %bb.12018:                            ;   in Loop: Header=BB6_10271 Depth=2
	v_cmp_ne_u32_e32 vcc, 0, v16
	v_mov_b32_e32 v21, 0
	s_and_saveexec_b64 s[90:91], vcc
	s_cbranch_execz .LBB6_12030
; %bb.12019:                            ;   in Loop: Header=BB6_10271 Depth=2
	v_bfe_u32 v21, v16, 23, 8
	v_and_b32_e32 v17, 0x7fffff, v16
	v_cmp_gt_u32_e64 s[18:19], s51, v21
	v_sub_u32_e32 v16, 0x79, v21
	v_cmp_eq_u32_e32 vcc, 0, v21
	v_cndmask_b32_e64 v16, 0, v16, s[18:19]
	v_mov_b32_e32 v22, 0x78
	v_cndmask_b32_e32 v22, v16, v22, vcc
	v_or_b32_e32 v18, 0x800000, v17
	v_add_u32_e32 v16, 20, v22
	v_cndmask_b32_e32 v50, v18, v17, vcc
	v_lshlrev_b64 v[16:17], v16, -1
	v_add_u32_e32 v18, 19, v22
	v_lshlrev_b64 v[23:24], v18, 1
	v_bfi_b32 v17, v17, 0, 0
	v_bfi_b32 v16, v16, 0, v50
	v_cmp_eq_u64_e64 s[18:19], v[16:17], v[23:24]
	v_lshrrev_b64 v[16:17], v22, v[50:51]
	v_mov_b32_e32 v18, v17
	v_mov_b32_e32 v17, v16
	s_and_saveexec_b64 s[92:93], s[18:19]
; %bb.12020:                            ;   in Loop: Header=BB6_10271 Depth=2
	v_bfe_u32 v17, v16, 20, 1
	v_add_co_u32_e64 v17, s[18:19], v16, v17
	v_add_co_u32_e64 v17, s[18:19], -1, v17
; %bb.12021:                            ;   in Loop: Header=BB6_10271 Depth=2
	s_or_b64 exec, exec, s[92:93]
	v_add_u32_e32 v18, 0xffffff81, v21
	v_mov_b32_e32 v21, 0xffffff82
	v_cndmask_b32_e32 v18, v18, v21, vcc
	v_lshrrev_b32_e32 v21, 23, v16
	v_add3_u32 v22, v22, v18, v21
	v_add_u32_e32 v21, 6, v22
	v_and_b32_e32 v17, 0xfffff, v17
	v_add_u32_e32 v50, v17, v16
	v_cmp_ne_u32_e32 vcc, 0, v21
                                        ; implicit-def: $vgpr16_vgpr17
                                        ; implicit-def: $vgpr18
	s_and_saveexec_b64 s[18:19], vcc
	s_xor_b64 s[18:19], exec, s[18:19]
; %bb.12022:                            ;   in Loop: Header=BB6_10271 Depth=2
	v_cmp_lt_u64_e32 vcc, s[58:59], v[50:51]
	v_add_u32_e32 v16, 7, v22
	v_cndmask_b32_e32 v18, v21, v16, vcc
	v_cndmask_b32_e64 v16, 0, 1, vcc
	v_lshrrev_b64 v[16:17], v16, v[50:51]
; %bb.12023:                            ;   in Loop: Header=BB6_10271 Depth=2
	s_andn2_saveexec_b64 s[18:19], s[18:19]
; %bb.12024:                            ;   in Loop: Header=BB6_10271 Depth=2
	v_mov_b32_e32 v16, v50
	v_mov_b32_e32 v17, v51
	v_bfe_u32 v18, v50, 23, 1
; %bb.12025:                            ;   in Loop: Header=BB6_10271 Depth=2
	s_or_b64 exec, exec, s[18:19]
	v_lshrrev_b64 v[16:17], 20, v[16:17]
	v_cmp_gt_i32_e32 vcc, 16, v18
	v_cndmask_b32_e32 v17, 0, v17, vcc
	v_cndmask_b32_e32 v16, 7, v16, vcc
	v_cmp_ne_u64_e32 vcc, 0, v[16:17]
	v_cmp_ne_u32_e64 s[18:19], 0, v18
	s_or_b64 s[18:19], s[18:19], vcc
                                        ; implicit-def: $vgpr21
	s_and_saveexec_b64 s[92:93], s[18:19]
	s_xor_b64 s[18:19], exec, s[92:93]
; %bb.12026:                            ;   in Loop: Header=BB6_10271 Depth=2
	v_min_i32_e32 v17, 15, v18
	v_lshl_or_b32 v9, v17, 3, v9
	v_and_or_b32 v21, v16, 7, v9
                                        ; implicit-def: $vgpr9
; %bb.12027:                            ;   in Loop: Header=BB6_10271 Depth=2
	s_andn2_saveexec_b64 s[18:19], s[18:19]
; %bb.12028:                            ;   in Loop: Header=BB6_10271 Depth=2
	v_mov_b32_e32 v21, v9
; %bb.12029:                            ;   in Loop: Header=BB6_10271 Depth=2
	s_or_b64 exec, exec, s[18:19]
.LBB6_12030:                            ;   in Loop: Header=BB6_10271 Depth=2
	s_or_b64 exec, exec, s[90:91]
                                        ; implicit-def: $vgpr9
.LBB6_12031:                            ;   in Loop: Header=BB6_10271 Depth=2
	s_andn2_saveexec_b64 s[18:19], s[88:89]
; %bb.12032:                            ;   in Loop: Header=BB6_10271 Depth=2
	v_or_b32_e32 v21, 0x7e, v9
; %bb.12033:                            ;   in Loop: Header=BB6_10271 Depth=2
	s_or_b64 exec, exec, s[18:19]
                                        ; implicit-def: $vgpr16
.LBB6_12034:                            ;   in Loop: Header=BB6_10271 Depth=2
	s_andn2_saveexec_b64 s[18:19], s[78:79]
; %bb.12035:                            ;   in Loop: Header=BB6_10271 Depth=2
	v_or_b32_sdwa v21, v16, s39 dst_sel:DWORD dst_unused:UNUSED_PAD src0_sel:BYTE_3 src1_sel:DWORD
; %bb.12036:                            ;   in Loop: Header=BB6_10271 Depth=2
	s_or_b64 exec, exec, s[18:19]
	buffer_load_dword v9, off, s[0:3], s33 offset:108 ; 4-byte Folded Reload
	v_mov_b32_e32 v17, 0
	s_waitcnt vmcnt(0)
	v_and_b32_e32 v16, 0xff, v9
	v_cmp_ne_u16_e32 vcc, 0, v16
	v_mov_b32_e32 v9, 0
	s_and_saveexec_b64 s[18:19], vcc
	s_cbranch_execz .LBB6_12042
; %bb.12037:                            ;   in Loop: Header=BB6_10271 Depth=2
	v_cmp_ne_u16_e32 vcc, s50, v16
	v_bfrev_b32_e32 v17, 1
	s_and_saveexec_b64 s[78:79], vcc
	s_cbranch_execz .LBB6_12041
; %bb.12038:                            ;   in Loop: Header=BB6_10271 Depth=2
	buffer_load_dword v24, off, s[0:3], s33 offset:108 ; 4-byte Folded Reload
	v_mov_b32_e32 v17, 0x7f800001
	s_waitcnt vmcnt(0)
	v_and_b32_e32 v18, 0x7f, v24
	v_cmp_ne_u32_e32 vcc, s39, v18
	s_and_saveexec_b64 s[88:89], vcc
	s_cbranch_execz .LBB6_12040
; %bb.12039:                            ;   in Loop: Header=BB6_10271 Depth=2
	v_and_b32_e32 v22, 7, v16
	v_ffbh_u32_e32 v17, v22
	v_lshrrev_b32_e32 v23, 3, v18
	v_cmp_gt_u32_e32 vcc, 8, v18
	v_min_u32_e32 v18, 32, v17
	v_subrev_u32_e32 v17, 28, v18
	v_lshlrev_b64 v[16:17], v17, v[16:17]
	v_sub_u32_e32 v17, 29, v18
	v_and_b32_e32 v16, 7, v16
	v_cndmask_b32_e32 v17, v23, v17, vcc
	v_cndmask_b32_e32 v16, v22, v16, vcc
	v_lshlrev_b32_e32 v18, 24, v24
	v_lshlrev_b32_e32 v16, 20, v16
	v_and_b32_e32 v18, 0x80000000, v18
	v_lshl_add_u32 v17, v17, 23, v62
	v_or3_b32 v17, v18, v17, v16
.LBB6_12040:                            ;   in Loop: Header=BB6_10271 Depth=2
	s_or_b64 exec, exec, s[88:89]
.LBB6_12041:                            ;   in Loop: Header=BB6_10271 Depth=2
	s_or_b64 exec, exec, s[78:79]
.LBB6_12042:                            ;   in Loop: Header=BB6_10271 Depth=2
	s_or_b64 exec, exec, s[18:19]
	buffer_load_dword v16, off, s[0:3], s33 offset:168 ; 4-byte Folded Reload
	s_waitcnt vmcnt(0)
	v_and_b32_e32 v16, 0xff, v16
	v_cmp_ne_u16_e32 vcc, 0, v16
	s_and_saveexec_b64 s[18:19], vcc
	s_cbranch_execz .LBB6_12048
; %bb.12043:                            ;   in Loop: Header=BB6_10271 Depth=2
	v_cmp_ne_u16_e32 vcc, s50, v16
	v_bfrev_b32_e32 v9, 1
	s_and_saveexec_b64 s[78:79], vcc
	s_cbranch_execz .LBB6_12047
; %bb.12044:                            ;   in Loop: Header=BB6_10271 Depth=2
	buffer_load_dword v25, off, s[0:3], s33 offset:168 ; 4-byte Folded Reload
	v_mov_b32_e32 v9, 0x7f800001
	s_waitcnt vmcnt(0)
	v_and_b32_e32 v18, 0x7f, v25
	v_cmp_ne_u32_e32 vcc, s39, v18
	s_and_saveexec_b64 s[88:89], vcc
	s_cbranch_execz .LBB6_12046
; %bb.12045:                            ;   in Loop: Header=BB6_10271 Depth=2
	v_and_b32_e32 v9, 7, v16
	v_lshrrev_b32_e32 v24, 3, v18
	v_cmp_gt_u32_e32 vcc, 8, v18
	v_ffbh_u32_e32 v18, v9
	v_min_u32_e32 v18, 32, v18
	v_subrev_u32_e32 v22, 28, v18
	v_lshlrev_b64 v[22:23], v22, v[16:17]
	v_sub_u32_e32 v16, 29, v18
	v_and_b32_e32 v18, 7, v22
	v_cndmask_b32_e32 v16, v24, v16, vcc
	v_cndmask_b32_e32 v9, v9, v18, vcc
	v_lshlrev_b32_e32 v18, 24, v25
	v_lshlrev_b32_e32 v9, 20, v9
	v_and_b32_e32 v18, 0x80000000, v18
	v_lshl_add_u32 v16, v16, 23, v62
	v_or3_b32 v9, v18, v16, v9
.LBB6_12046:                            ;   in Loop: Header=BB6_10271 Depth=2
	s_or_b64 exec, exec, s[88:89]
.LBB6_12047:                            ;   in Loop: Header=BB6_10271 Depth=2
	s_or_b64 exec, exec, s[78:79]
.LBB6_12048:                            ;   in Loop: Header=BB6_10271 Depth=2
	s_or_b64 exec, exec, s[18:19]
	v_add_f32_e32 v16, v17, v9
	v_and_b32_e32 v50, 0x7f800000, v16
	v_cmp_ne_u64_e32 vcc, s[46:47], v[50:51]
                                        ; implicit-def: $vgpr22
	s_and_saveexec_b64 s[18:19], vcc
	s_xor_b64 s[78:79], exec, s[18:19]
	s_cbranch_execz .LBB6_12066
; %bb.12049:                            ;   in Loop: Header=BB6_10271 Depth=2
	v_and_b32_e32 v50, 0x7fffffff, v16
	v_cmp_gt_u64_e32 vcc, s[56:57], v[50:51]
	v_and_b32_sdwa v9, v16, s50 dst_sel:DWORD dst_unused:UNUSED_PAD src0_sel:BYTE_3 src1_sel:DWORD
                                        ; implicit-def: $vgpr22
	s_and_saveexec_b64 s[18:19], vcc
	s_xor_b64 s[88:89], exec, s[18:19]
	s_cbranch_execz .LBB6_12063
; %bb.12050:                            ;   in Loop: Header=BB6_10271 Depth=2
	v_cmp_ne_u32_e32 vcc, 0, v16
	v_mov_b32_e32 v22, 0
	s_and_saveexec_b64 s[90:91], vcc
	s_cbranch_execz .LBB6_12062
; %bb.12051:                            ;   in Loop: Header=BB6_10271 Depth=2
	v_bfe_u32 v22, v16, 23, 8
	v_and_b32_e32 v17, 0x7fffff, v16
	v_cmp_gt_u32_e64 s[18:19], s51, v22
	v_sub_u32_e32 v16, 0x79, v22
	v_cmp_eq_u32_e32 vcc, 0, v22
	v_cndmask_b32_e64 v16, 0, v16, s[18:19]
	v_mov_b32_e32 v23, 0x78
	v_cndmask_b32_e32 v23, v16, v23, vcc
	v_or_b32_e32 v18, 0x800000, v17
	v_add_u32_e32 v16, 20, v23
	v_cndmask_b32_e32 v50, v18, v17, vcc
	v_lshlrev_b64 v[16:17], v16, -1
	v_add_u32_e32 v18, 19, v23
	v_lshlrev_b64 v[24:25], v18, 1
	v_bfi_b32 v17, v17, 0, 0
	v_bfi_b32 v16, v16, 0, v50
	v_cmp_eq_u64_e64 s[18:19], v[16:17], v[24:25]
	v_lshrrev_b64 v[16:17], v23, v[50:51]
	v_mov_b32_e32 v18, v17
	v_mov_b32_e32 v17, v16
	s_and_saveexec_b64 s[92:93], s[18:19]
; %bb.12052:                            ;   in Loop: Header=BB6_10271 Depth=2
	v_bfe_u32 v17, v16, 20, 1
	v_add_co_u32_e64 v17, s[18:19], v16, v17
	v_add_co_u32_e64 v17, s[18:19], -1, v17
; %bb.12053:                            ;   in Loop: Header=BB6_10271 Depth=2
	s_or_b64 exec, exec, s[92:93]
	v_add_u32_e32 v18, 0xffffff81, v22
	v_mov_b32_e32 v22, 0xffffff82
	v_cndmask_b32_e32 v18, v18, v22, vcc
	v_lshrrev_b32_e32 v22, 23, v16
	v_add3_u32 v23, v23, v18, v22
	v_add_u32_e32 v22, 6, v23
	v_and_b32_e32 v17, 0xfffff, v17
	v_add_u32_e32 v50, v17, v16
	v_cmp_ne_u32_e32 vcc, 0, v22
                                        ; implicit-def: $vgpr16_vgpr17
                                        ; implicit-def: $vgpr18
	s_and_saveexec_b64 s[18:19], vcc
	s_xor_b64 s[18:19], exec, s[18:19]
; %bb.12054:                            ;   in Loop: Header=BB6_10271 Depth=2
	v_cmp_lt_u64_e32 vcc, s[58:59], v[50:51]
	v_add_u32_e32 v16, 7, v23
	v_cndmask_b32_e32 v18, v22, v16, vcc
	v_cndmask_b32_e64 v16, 0, 1, vcc
	v_lshrrev_b64 v[16:17], v16, v[50:51]
; %bb.12055:                            ;   in Loop: Header=BB6_10271 Depth=2
	s_andn2_saveexec_b64 s[18:19], s[18:19]
; %bb.12056:                            ;   in Loop: Header=BB6_10271 Depth=2
	v_mov_b32_e32 v16, v50
	v_mov_b32_e32 v17, v51
	v_bfe_u32 v18, v50, 23, 1
; %bb.12057:                            ;   in Loop: Header=BB6_10271 Depth=2
	s_or_b64 exec, exec, s[18:19]
	v_lshrrev_b64 v[16:17], 20, v[16:17]
	v_cmp_gt_i32_e32 vcc, 16, v18
	v_cndmask_b32_e32 v17, 0, v17, vcc
	v_cndmask_b32_e32 v16, 7, v16, vcc
	v_cmp_ne_u64_e32 vcc, 0, v[16:17]
	v_cmp_ne_u32_e64 s[18:19], 0, v18
	s_or_b64 s[18:19], s[18:19], vcc
                                        ; implicit-def: $vgpr22
	s_and_saveexec_b64 s[92:93], s[18:19]
	s_xor_b64 s[18:19], exec, s[92:93]
; %bb.12058:                            ;   in Loop: Header=BB6_10271 Depth=2
	v_min_i32_e32 v17, 15, v18
	v_lshl_or_b32 v9, v17, 3, v9
	v_and_or_b32 v22, v16, 7, v9
                                        ; implicit-def: $vgpr9
; %bb.12059:                            ;   in Loop: Header=BB6_10271 Depth=2
	s_andn2_saveexec_b64 s[18:19], s[18:19]
; %bb.12060:                            ;   in Loop: Header=BB6_10271 Depth=2
	v_mov_b32_e32 v22, v9
; %bb.12061:                            ;   in Loop: Header=BB6_10271 Depth=2
	s_or_b64 exec, exec, s[18:19]
.LBB6_12062:                            ;   in Loop: Header=BB6_10271 Depth=2
	s_or_b64 exec, exec, s[90:91]
                                        ; implicit-def: $vgpr9
.LBB6_12063:                            ;   in Loop: Header=BB6_10271 Depth=2
	s_andn2_saveexec_b64 s[18:19], s[88:89]
; %bb.12064:                            ;   in Loop: Header=BB6_10271 Depth=2
	v_or_b32_e32 v22, 0x7e, v9
; %bb.12065:                            ;   in Loop: Header=BB6_10271 Depth=2
	s_or_b64 exec, exec, s[18:19]
                                        ; implicit-def: $vgpr16
.LBB6_12066:                            ;   in Loop: Header=BB6_10271 Depth=2
	s_andn2_saveexec_b64 s[18:19], s[78:79]
; %bb.12067:                            ;   in Loop: Header=BB6_10271 Depth=2
	v_or_b32_sdwa v22, v16, s39 dst_sel:DWORD dst_unused:UNUSED_PAD src0_sel:BYTE_3 src1_sel:DWORD
; %bb.12068:                            ;   in Loop: Header=BB6_10271 Depth=2
	s_or_b64 exec, exec, s[18:19]
	buffer_load_dword v9, off, s[0:3], s33 offset:104 ; 4-byte Folded Reload
	v_mov_b32_e32 v17, 0
	s_waitcnt vmcnt(0)
	v_and_b32_e32 v16, 0xff, v9
	v_cmp_ne_u16_e32 vcc, 0, v16
	v_mov_b32_e32 v9, 0
	s_and_saveexec_b64 s[18:19], vcc
	s_cbranch_execz .LBB6_12074
; %bb.12069:                            ;   in Loop: Header=BB6_10271 Depth=2
	v_cmp_ne_u16_e32 vcc, s50, v16
	v_bfrev_b32_e32 v17, 1
	s_and_saveexec_b64 s[78:79], vcc
	s_cbranch_execz .LBB6_12073
; %bb.12070:                            ;   in Loop: Header=BB6_10271 Depth=2
	buffer_load_dword v25, off, s[0:3], s33 offset:104 ; 4-byte Folded Reload
	v_mov_b32_e32 v17, 0x7f800001
	s_waitcnt vmcnt(0)
	v_and_b32_e32 v18, 0x7f, v25
	v_cmp_ne_u32_e32 vcc, s39, v18
	s_and_saveexec_b64 s[88:89], vcc
	s_cbranch_execz .LBB6_12072
; %bb.12071:                            ;   in Loop: Header=BB6_10271 Depth=2
	v_and_b32_e32 v23, 7, v16
	v_ffbh_u32_e32 v17, v23
	v_lshrrev_b32_e32 v24, 3, v18
	v_cmp_gt_u32_e32 vcc, 8, v18
	v_min_u32_e32 v18, 32, v17
	v_subrev_u32_e32 v17, 28, v18
	v_lshlrev_b64 v[16:17], v17, v[16:17]
	v_sub_u32_e32 v17, 29, v18
	v_and_b32_e32 v16, 7, v16
	v_cndmask_b32_e32 v17, v24, v17, vcc
	v_cndmask_b32_e32 v16, v23, v16, vcc
	v_lshlrev_b32_e32 v18, 24, v25
	v_lshlrev_b32_e32 v16, 20, v16
	v_and_b32_e32 v18, 0x80000000, v18
	v_lshl_add_u32 v17, v17, 23, v62
	v_or3_b32 v17, v18, v17, v16
.LBB6_12072:                            ;   in Loop: Header=BB6_10271 Depth=2
	s_or_b64 exec, exec, s[88:89]
.LBB6_12073:                            ;   in Loop: Header=BB6_10271 Depth=2
	s_or_b64 exec, exec, s[78:79]
.LBB6_12074:                            ;   in Loop: Header=BB6_10271 Depth=2
	s_or_b64 exec, exec, s[18:19]
	buffer_load_dword v16, off, s[0:3], s33 offset:164 ; 4-byte Folded Reload
	s_waitcnt vmcnt(0)
	v_and_b32_e32 v16, 0xff, v16
	v_cmp_ne_u16_e32 vcc, 0, v16
	s_and_saveexec_b64 s[18:19], vcc
	s_cbranch_execz .LBB6_12080
; %bb.12075:                            ;   in Loop: Header=BB6_10271 Depth=2
	v_cmp_ne_u16_e32 vcc, s50, v16
	v_bfrev_b32_e32 v9, 1
	s_and_saveexec_b64 s[78:79], vcc
	s_cbranch_execz .LBB6_12079
; %bb.12076:                            ;   in Loop: Header=BB6_10271 Depth=2
	buffer_load_dword v27, off, s[0:3], s33 offset:164 ; 4-byte Folded Reload
	v_mov_b32_e32 v9, 0x7f800001
	s_waitcnt vmcnt(0)
	v_and_b32_e32 v18, 0x7f, v27
	v_cmp_ne_u32_e32 vcc, s39, v18
	s_and_saveexec_b64 s[88:89], vcc
	s_cbranch_execz .LBB6_12078
; %bb.12077:                            ;   in Loop: Header=BB6_10271 Depth=2
	v_and_b32_e32 v9, 7, v16
	v_lshrrev_b32_e32 v25, 3, v18
	v_cmp_gt_u32_e32 vcc, 8, v18
	v_ffbh_u32_e32 v18, v9
	v_min_u32_e32 v18, 32, v18
	v_subrev_u32_e32 v23, 28, v18
	v_lshlrev_b64 v[23:24], v23, v[16:17]
	v_sub_u32_e32 v16, 29, v18
	v_and_b32_e32 v18, 7, v23
	v_cndmask_b32_e32 v16, v25, v16, vcc
	v_cndmask_b32_e32 v9, v9, v18, vcc
	v_lshlrev_b32_e32 v18, 24, v27
	v_lshlrev_b32_e32 v9, 20, v9
	v_and_b32_e32 v18, 0x80000000, v18
	v_lshl_add_u32 v16, v16, 23, v62
	v_or3_b32 v9, v18, v16, v9
.LBB6_12078:                            ;   in Loop: Header=BB6_10271 Depth=2
	s_or_b64 exec, exec, s[88:89]
.LBB6_12079:                            ;   in Loop: Header=BB6_10271 Depth=2
	s_or_b64 exec, exec, s[78:79]
.LBB6_12080:                            ;   in Loop: Header=BB6_10271 Depth=2
	s_or_b64 exec, exec, s[18:19]
	v_add_f32_e32 v16, v17, v9
	v_and_b32_e32 v50, 0x7f800000, v16
	v_cmp_ne_u64_e32 vcc, s[46:47], v[50:51]
                                        ; implicit-def: $vgpr23
	s_and_saveexec_b64 s[18:19], vcc
	s_xor_b64 s[78:79], exec, s[18:19]
	s_cbranch_execz .LBB6_12098
; %bb.12081:                            ;   in Loop: Header=BB6_10271 Depth=2
	v_and_b32_e32 v50, 0x7fffffff, v16
	v_cmp_gt_u64_e32 vcc, s[56:57], v[50:51]
	v_and_b32_sdwa v9, v16, s50 dst_sel:DWORD dst_unused:UNUSED_PAD src0_sel:BYTE_3 src1_sel:DWORD
                                        ; implicit-def: $vgpr23
	s_and_saveexec_b64 s[18:19], vcc
	s_xor_b64 s[88:89], exec, s[18:19]
	s_cbranch_execz .LBB6_12095
; %bb.12082:                            ;   in Loop: Header=BB6_10271 Depth=2
	v_cmp_ne_u32_e32 vcc, 0, v16
	v_mov_b32_e32 v23, 0
	s_and_saveexec_b64 s[90:91], vcc
	s_cbranch_execz .LBB6_12094
; %bb.12083:                            ;   in Loop: Header=BB6_10271 Depth=2
	v_bfe_u32 v23, v16, 23, 8
	v_and_b32_e32 v17, 0x7fffff, v16
	v_cmp_gt_u32_e64 s[18:19], s51, v23
	v_sub_u32_e32 v16, 0x79, v23
	v_cmp_eq_u32_e32 vcc, 0, v23
	v_cndmask_b32_e64 v16, 0, v16, s[18:19]
	v_mov_b32_e32 v24, 0x78
	v_cndmask_b32_e32 v24, v16, v24, vcc
	v_or_b32_e32 v18, 0x800000, v17
	v_add_u32_e32 v16, 20, v24
	v_cndmask_b32_e32 v50, v18, v17, vcc
	v_lshlrev_b64 v[16:17], v16, -1
	v_add_u32_e32 v18, 19, v24
	v_lshlrev_b64 v[27:28], v18, 1
	v_bfi_b32 v17, v17, 0, 0
	v_bfi_b32 v16, v16, 0, v50
	v_cmp_eq_u64_e64 s[18:19], v[16:17], v[27:28]
	v_lshrrev_b64 v[16:17], v24, v[50:51]
	v_mov_b32_e32 v18, v17
	v_mov_b32_e32 v17, v16
	s_and_saveexec_b64 s[92:93], s[18:19]
; %bb.12084:                            ;   in Loop: Header=BB6_10271 Depth=2
	v_bfe_u32 v17, v16, 20, 1
	v_add_co_u32_e64 v17, s[18:19], v16, v17
	v_add_co_u32_e64 v17, s[18:19], -1, v17
; %bb.12085:                            ;   in Loop: Header=BB6_10271 Depth=2
	s_or_b64 exec, exec, s[92:93]
	v_add_u32_e32 v18, 0xffffff81, v23
	v_mov_b32_e32 v23, 0xffffff82
	v_cndmask_b32_e32 v18, v18, v23, vcc
	v_lshrrev_b32_e32 v23, 23, v16
	v_add3_u32 v24, v24, v18, v23
	v_add_u32_e32 v23, 6, v24
	v_and_b32_e32 v17, 0xfffff, v17
	v_add_u32_e32 v50, v17, v16
	v_cmp_ne_u32_e32 vcc, 0, v23
                                        ; implicit-def: $vgpr16_vgpr17
                                        ; implicit-def: $vgpr18
	s_and_saveexec_b64 s[18:19], vcc
	s_xor_b64 s[18:19], exec, s[18:19]
; %bb.12086:                            ;   in Loop: Header=BB6_10271 Depth=2
	v_cmp_lt_u64_e32 vcc, s[58:59], v[50:51]
	v_add_u32_e32 v16, 7, v24
	v_cndmask_b32_e32 v18, v23, v16, vcc
	v_cndmask_b32_e64 v16, 0, 1, vcc
	v_lshrrev_b64 v[16:17], v16, v[50:51]
; %bb.12087:                            ;   in Loop: Header=BB6_10271 Depth=2
	s_andn2_saveexec_b64 s[18:19], s[18:19]
; %bb.12088:                            ;   in Loop: Header=BB6_10271 Depth=2
	v_mov_b32_e32 v16, v50
	v_mov_b32_e32 v17, v51
	v_bfe_u32 v18, v50, 23, 1
; %bb.12089:                            ;   in Loop: Header=BB6_10271 Depth=2
	s_or_b64 exec, exec, s[18:19]
	v_lshrrev_b64 v[16:17], 20, v[16:17]
	v_cmp_gt_i32_e32 vcc, 16, v18
	v_cndmask_b32_e32 v17, 0, v17, vcc
	v_cndmask_b32_e32 v16, 7, v16, vcc
	v_cmp_ne_u64_e32 vcc, 0, v[16:17]
	v_cmp_ne_u32_e64 s[18:19], 0, v18
	s_or_b64 s[18:19], s[18:19], vcc
                                        ; implicit-def: $vgpr23
	s_and_saveexec_b64 s[92:93], s[18:19]
	s_xor_b64 s[18:19], exec, s[92:93]
; %bb.12090:                            ;   in Loop: Header=BB6_10271 Depth=2
	v_min_i32_e32 v17, 15, v18
	v_lshl_or_b32 v9, v17, 3, v9
	v_and_or_b32 v23, v16, 7, v9
                                        ; implicit-def: $vgpr9
; %bb.12091:                            ;   in Loop: Header=BB6_10271 Depth=2
	s_andn2_saveexec_b64 s[18:19], s[18:19]
; %bb.12092:                            ;   in Loop: Header=BB6_10271 Depth=2
	v_mov_b32_e32 v23, v9
; %bb.12093:                            ;   in Loop: Header=BB6_10271 Depth=2
	s_or_b64 exec, exec, s[18:19]
.LBB6_12094:                            ;   in Loop: Header=BB6_10271 Depth=2
	s_or_b64 exec, exec, s[90:91]
                                        ; implicit-def: $vgpr9
.LBB6_12095:                            ;   in Loop: Header=BB6_10271 Depth=2
	s_andn2_saveexec_b64 s[18:19], s[88:89]
; %bb.12096:                            ;   in Loop: Header=BB6_10271 Depth=2
	v_or_b32_e32 v23, 0x7e, v9
; %bb.12097:                            ;   in Loop: Header=BB6_10271 Depth=2
	s_or_b64 exec, exec, s[18:19]
                                        ; implicit-def: $vgpr16
.LBB6_12098:                            ;   in Loop: Header=BB6_10271 Depth=2
	s_andn2_saveexec_b64 s[18:19], s[78:79]
; %bb.12099:                            ;   in Loop: Header=BB6_10271 Depth=2
	v_or_b32_sdwa v23, v16, s39 dst_sel:DWORD dst_unused:UNUSED_PAD src0_sel:BYTE_3 src1_sel:DWORD
; %bb.12100:                            ;   in Loop: Header=BB6_10271 Depth=2
	s_or_b64 exec, exec, s[18:19]
	v_and_b32_e32 v16, 0xff, v31
	v_cmp_ne_u16_e32 vcc, 0, v16
	v_mov_b32_e32 v9, 0
	v_mov_b32_e32 v17, 0
	s_and_saveexec_b64 s[18:19], vcc
	s_cbranch_execz .LBB6_12106
; %bb.12101:                            ;   in Loop: Header=BB6_10271 Depth=2
	v_cmp_ne_u16_e32 vcc, s50, v16
	v_bfrev_b32_e32 v17, 1
	s_and_saveexec_b64 s[78:79], vcc
	s_cbranch_execz .LBB6_12105
; %bb.12102:                            ;   in Loop: Header=BB6_10271 Depth=2
	v_and_b32_e32 v18, 0x7f, v31
	v_cmp_ne_u32_e32 vcc, s39, v18
	v_mov_b32_e32 v17, 0x7f800001
	s_and_saveexec_b64 s[88:89], vcc
	s_cbranch_execz .LBB6_12104
; %bb.12103:                            ;   in Loop: Header=BB6_10271 Depth=2
	v_and_b32_e32 v24, 7, v16
	v_ffbh_u32_e32 v17, v24
	v_lshrrev_b32_e32 v25, 3, v18
	v_cmp_gt_u32_e32 vcc, 8, v18
	v_min_u32_e32 v18, 32, v17
	v_subrev_u32_e32 v17, 28, v18
	v_lshlrev_b64 v[16:17], v17, v[16:17]
	v_sub_u32_e32 v17, 29, v18
	v_and_b32_e32 v16, 7, v16
	v_cndmask_b32_e32 v17, v25, v17, vcc
	v_cndmask_b32_e32 v16, v24, v16, vcc
	v_lshlrev_b32_e32 v18, 24, v31
	v_lshlrev_b32_e32 v16, 20, v16
	v_and_b32_e32 v18, 0x80000000, v18
	v_lshl_add_u32 v17, v17, 23, v62
	v_or3_b32 v17, v18, v17, v16
.LBB6_12104:                            ;   in Loop: Header=BB6_10271 Depth=2
	s_or_b64 exec, exec, s[88:89]
.LBB6_12105:                            ;   in Loop: Header=BB6_10271 Depth=2
	s_or_b64 exec, exec, s[78:79]
.LBB6_12106:                            ;   in Loop: Header=BB6_10271 Depth=2
	s_or_b64 exec, exec, s[18:19]
	v_and_b32_e32 v16, 0xff, v30
	v_cmp_ne_u16_e32 vcc, 0, v16
	s_and_saveexec_b64 s[18:19], vcc
	s_cbranch_execz .LBB6_12112
; %bb.12107:                            ;   in Loop: Header=BB6_10271 Depth=2
	v_cmp_ne_u16_e32 vcc, s50, v16
	v_bfrev_b32_e32 v9, 1
	s_and_saveexec_b64 s[78:79], vcc
	s_cbranch_execz .LBB6_12111
; %bb.12108:                            ;   in Loop: Header=BB6_10271 Depth=2
	v_and_b32_e32 v18, 0x7f, v30
	v_cmp_ne_u32_e32 vcc, s39, v18
	v_mov_b32_e32 v9, 0x7f800001
	s_and_saveexec_b64 s[88:89], vcc
	s_cbranch_execz .LBB6_12110
; %bb.12109:                            ;   in Loop: Header=BB6_10271 Depth=2
	v_and_b32_e32 v9, 7, v16
	v_lshrrev_b32_e32 v27, 3, v18
	v_cmp_gt_u32_e32 vcc, 8, v18
	v_ffbh_u32_e32 v18, v9
	v_min_u32_e32 v18, 32, v18
	v_subrev_u32_e32 v24, 28, v18
	v_lshlrev_b64 v[24:25], v24, v[16:17]
	v_sub_u32_e32 v16, 29, v18
	v_and_b32_e32 v18, 7, v24
	v_cndmask_b32_e32 v16, v27, v16, vcc
	v_cndmask_b32_e32 v9, v9, v18, vcc
	v_lshlrev_b32_e32 v18, 24, v30
	v_lshlrev_b32_e32 v9, 20, v9
	v_and_b32_e32 v18, 0x80000000, v18
	v_lshl_add_u32 v16, v16, 23, v62
	v_or3_b32 v9, v18, v16, v9
.LBB6_12110:                            ;   in Loop: Header=BB6_10271 Depth=2
	s_or_b64 exec, exec, s[88:89]
.LBB6_12111:                            ;   in Loop: Header=BB6_10271 Depth=2
	s_or_b64 exec, exec, s[78:79]
.LBB6_12112:                            ;   in Loop: Header=BB6_10271 Depth=2
	s_or_b64 exec, exec, s[18:19]
	v_add_f32_e32 v16, v17, v9
	v_and_b32_e32 v50, 0x7f800000, v16
	v_cmp_ne_u64_e32 vcc, s[46:47], v[50:51]
                                        ; implicit-def: $vgpr17
	s_and_saveexec_b64 s[18:19], vcc
	s_xor_b64 s[78:79], exec, s[18:19]
	s_cbranch_execz .LBB6_12130
; %bb.12113:                            ;   in Loop: Header=BB6_10271 Depth=2
	v_and_b32_e32 v50, 0x7fffffff, v16
	v_cmp_gt_u64_e32 vcc, s[56:57], v[50:51]
	v_and_b32_sdwa v9, v16, s50 dst_sel:DWORD dst_unused:UNUSED_PAD src0_sel:BYTE_3 src1_sel:DWORD
                                        ; implicit-def: $vgpr17
	s_and_saveexec_b64 s[18:19], vcc
	s_xor_b64 s[88:89], exec, s[18:19]
	s_cbranch_execz .LBB6_12127
; %bb.12114:                            ;   in Loop: Header=BB6_10271 Depth=2
	v_cmp_ne_u32_e32 vcc, 0, v16
	v_mov_b32_e32 v17, 0
	s_and_saveexec_b64 s[90:91], vcc
	s_cbranch_execz .LBB6_12126
; %bb.12115:                            ;   in Loop: Header=BB6_10271 Depth=2
	v_bfe_u32 v24, v16, 23, 8
	v_and_b32_e32 v17, 0x7fffff, v16
	v_cmp_gt_u32_e64 s[18:19], s51, v24
	v_sub_u32_e32 v16, 0x79, v24
	v_cmp_eq_u32_e32 vcc, 0, v24
	v_cndmask_b32_e64 v16, 0, v16, s[18:19]
	v_mov_b32_e32 v25, 0x78
	v_cndmask_b32_e32 v25, v16, v25, vcc
	v_or_b32_e32 v18, 0x800000, v17
	v_add_u32_e32 v16, 20, v25
	v_cndmask_b32_e32 v50, v18, v17, vcc
	v_lshlrev_b64 v[16:17], v16, -1
	v_add_u32_e32 v18, 19, v25
	v_lshlrev_b64 v[27:28], v18, 1
	v_bfi_b32 v17, v17, 0, 0
	v_bfi_b32 v16, v16, 0, v50
	v_cmp_eq_u64_e64 s[18:19], v[16:17], v[27:28]
	v_lshrrev_b64 v[16:17], v25, v[50:51]
	v_mov_b32_e32 v18, v17
	v_mov_b32_e32 v17, v16
	s_and_saveexec_b64 s[92:93], s[18:19]
; %bb.12116:                            ;   in Loop: Header=BB6_10271 Depth=2
	v_bfe_u32 v17, v16, 20, 1
	v_add_co_u32_e64 v17, s[18:19], v16, v17
	v_add_co_u32_e64 v17, s[18:19], -1, v17
; %bb.12117:                            ;   in Loop: Header=BB6_10271 Depth=2
	s_or_b64 exec, exec, s[92:93]
	v_add_u32_e32 v18, 0xffffff81, v24
	v_mov_b32_e32 v24, 0xffffff82
	v_cndmask_b32_e32 v18, v18, v24, vcc
	v_lshrrev_b32_e32 v24, 23, v16
	v_add3_u32 v25, v25, v18, v24
	v_add_u32_e32 v24, 6, v25
	v_and_b32_e32 v17, 0xfffff, v17
	v_add_u32_e32 v50, v17, v16
	v_cmp_ne_u32_e32 vcc, 0, v24
                                        ; implicit-def: $vgpr16_vgpr17
                                        ; implicit-def: $vgpr18
	s_and_saveexec_b64 s[18:19], vcc
	s_xor_b64 s[18:19], exec, s[18:19]
; %bb.12118:                            ;   in Loop: Header=BB6_10271 Depth=2
	v_cmp_lt_u64_e32 vcc, s[58:59], v[50:51]
	v_add_u32_e32 v16, 7, v25
	v_cndmask_b32_e32 v18, v24, v16, vcc
	v_cndmask_b32_e64 v16, 0, 1, vcc
	v_lshrrev_b64 v[16:17], v16, v[50:51]
; %bb.12119:                            ;   in Loop: Header=BB6_10271 Depth=2
	s_andn2_saveexec_b64 s[18:19], s[18:19]
; %bb.12120:                            ;   in Loop: Header=BB6_10271 Depth=2
	v_mov_b32_e32 v16, v50
	v_mov_b32_e32 v17, v51
	v_bfe_u32 v18, v50, 23, 1
; %bb.12121:                            ;   in Loop: Header=BB6_10271 Depth=2
	s_or_b64 exec, exec, s[18:19]
	v_lshrrev_b64 v[16:17], 20, v[16:17]
	v_cmp_gt_i32_e32 vcc, 16, v18
	v_cndmask_b32_e32 v17, 0, v17, vcc
	v_cndmask_b32_e32 v16, 7, v16, vcc
	v_cmp_ne_u64_e32 vcc, 0, v[16:17]
	v_cmp_ne_u32_e64 s[18:19], 0, v18
	s_or_b64 s[18:19], s[18:19], vcc
                                        ; implicit-def: $vgpr17
	s_and_saveexec_b64 s[92:93], s[18:19]
	s_xor_b64 s[18:19], exec, s[92:93]
; %bb.12122:                            ;   in Loop: Header=BB6_10271 Depth=2
	v_min_i32_e32 v17, 15, v18
	v_lshl_or_b32 v9, v17, 3, v9
	v_and_or_b32 v17, v16, 7, v9
                                        ; implicit-def: $vgpr9
; %bb.12123:                            ;   in Loop: Header=BB6_10271 Depth=2
	s_andn2_saveexec_b64 s[18:19], s[18:19]
; %bb.12124:                            ;   in Loop: Header=BB6_10271 Depth=2
	v_mov_b32_e32 v17, v9
; %bb.12125:                            ;   in Loop: Header=BB6_10271 Depth=2
	s_or_b64 exec, exec, s[18:19]
.LBB6_12126:                            ;   in Loop: Header=BB6_10271 Depth=2
	s_or_b64 exec, exec, s[90:91]
                                        ; implicit-def: $vgpr9
.LBB6_12127:                            ;   in Loop: Header=BB6_10271 Depth=2
	s_andn2_saveexec_b64 s[18:19], s[88:89]
; %bb.12128:                            ;   in Loop: Header=BB6_10271 Depth=2
	v_or_b32_e32 v17, 0x7e, v9
; %bb.12129:                            ;   in Loop: Header=BB6_10271 Depth=2
	s_or_b64 exec, exec, s[18:19]
                                        ; implicit-def: $vgpr16
.LBB6_12130:                            ;   in Loop: Header=BB6_10271 Depth=2
	s_andn2_saveexec_b64 s[18:19], s[78:79]
	s_cbranch_execz .LBB6_10270
; %bb.12131:                            ;   in Loop: Header=BB6_10271 Depth=2
	v_or_b32_sdwa v17, v16, s39 dst_sel:DWORD dst_unused:UNUSED_PAD src0_sel:BYTE_3 src1_sel:DWORD
	s_branch .LBB6_10270
.LBB6_12132:                            ;   in Loop: Header=BB6_6169 Depth=1
	s_or_b64 exec, exec, s[76:77]
	buffer_load_dword v8, off, s[0:3], s33 offset:184 ; 4-byte Folded Reload
	buffer_load_dword v3, off, s[0:3], s33 offset:188 ; 4-byte Folded Reload
	;; [unrolled: 1-line block ×4, first 2 shown]
.LBB6_12133:                            ;   in Loop: Header=BB6_6169 Depth=1
	s_or_b64 exec, exec, s[74:75]
	s_waitcnt vmcnt(0)
	v_and_b32_e32 v1, 0xfffff800, v3
	v_cmp_ne_u32_e32 vcc, v3, v1
	s_and_b64 exec, exec, vcc
	s_cbranch_execz .LBB6_12200
; %bb.12134:                            ;   in Loop: Header=BB6_6169 Depth=1
	v_lshlrev_b32_e32 v0, 6, v2
	v_sub_u32_e32 v0, v4, v0
	v_lshlrev_b32_e32 v2, 6, v7
	v_sub_u32_e32 v2, v0, v2
	v_and_b32_e32 v0, 0x7ff, v3
	v_sub_u32_e32 v0, v0, v2
	v_cmp_lt_i32_e32 vcc, 0, v0
	s_and_b64 exec, exec, vcc
	s_cbranch_execz .LBB6_12200
; %bb.12135:                            ;   in Loop: Header=BB6_6169 Depth=1
	s_trap 2
	ds_read_b128 v[3:6], v0
	v_add3_u32 v7, v1, v8, v2
	ds_read_b64 v[1:2], v0
	v_ashrrev_i32_e32 v8, 31, v7
	s_mov_b64 s[74:75], 0
	s_waitcnt lgkmcnt(0)
	v_add_co_u32_e32 v10, vcc, v3, v7
	v_addc_co_u32_e32 v11, vcc, v4, v8, vcc
	v_add_co_u32_e32 v12, vcc, v5, v7
	v_addc_co_u32_e32 v13, vcc, v6, v8, vcc
	;; [unrolled: 2-line block ×3, first 2 shown]
	s_branch .LBB6_12137
.LBB6_12136:                            ;   in Loop: Header=BB6_12137 Depth=2
	s_or_b64 exec, exec, s[18:19]
	buffer_load_dword v1, off, s[0:3], s33 offset:336 ; 4-byte Folded Reload
	s_waitcnt vmcnt(0)
	v_add_co_u32_e32 v10, vcc, v10, v1
	v_addc_co_u32_e32 v11, vcc, 0, v11, vcc
	v_add_co_u32_e32 v12, vcc, v12, v1
	v_addc_co_u32_e32 v13, vcc, 0, v13, vcc
	v_sub_u32_e32 v0, v0, v1
	v_cmp_gt_i32_e32 vcc, 1, v0
	flat_store_byte v[14:15], v2 glc slc
	s_or_b64 s[74:75], vcc, s[74:75]
	v_add_co_u32_e32 v14, vcc, v14, v1
	v_addc_co_u32_e32 v15, vcc, 0, v15, vcc
	s_andn2_b64 exec, exec, s[74:75]
	s_cbranch_execz .LBB6_12200
.LBB6_12137:                            ;   Parent Loop BB6_6169 Depth=1
                                        ; =>  This Inner Loop Header: Depth=2
	s_trap 2
	ds_read_b64 v[16:17], v0
	s_waitcnt lgkmcnt(0)
	v_cmp_eq_u32_sdwa s[76:77], v16, v51 src0_sel:BYTE_0 src1_sel:DWORD
	v_readfirstlane_b32 s18, v16
	s_and_b64 vcc, exec, s[76:77]
	v_readfirstlane_b32 s19, v17
	s_cbranch_vccnz .LBB6_12141
; %bb.12138:                            ;   in Loop: Header=BB6_12137 Depth=2
	v_cmp_eq_u32_sdwa s[76:77], v16, s50 src0_sel:BYTE_0 src1_sel:DWORD
	s_and_b64 vcc, exec, s[76:77]
	s_brev_b32 s88, 1
	s_cbranch_vccnz .LBB6_12142
; %bb.12139:                            ;   in Loop: Header=BB6_12137 Depth=2
	s_and_b32 s76, s18, 0x7f
	s_cmpk_eq_i32 s76, 0x7f
	s_mov_b32 s88, 0x7f800001
	s_cbranch_scc1 .LBB6_12142
; %bb.12140:                            ;   in Loop: Header=BB6_12137 Depth=2
	s_and_b32 s77, s18, 7
	s_flbit_i32_b32 s77, s77
	s_min_u32 s77, s77, 32
	s_lshr_b32 s78, s76, 3
	s_sub_i32 s79, s77, 28
	s_sub_i32 s77, 29, s77
	s_cmp_lt_u32 s76, 8
	s_cselect_b32 s76, s79, 0
	s_cselect_b32 s78, s77, s78
	s_lshl_b64 s[76:77], s[18:19], s76
	s_lshl_b32 s19, s76, 20
	s_lshl_b32 s18, s18, 24
	;; [unrolled: 1-line block ×3, first 2 shown]
	s_and_b32 s18, s18, 0x80000000
	s_add_i32 s76, s76, 0x3c000000
	s_and_b32 s19, s19, 0x700000
	s_or_b32 s18, s18, s76
	s_or_b32 s88, s18, s19
	s_branch .LBB6_12142
.LBB6_12141:                            ;   in Loop: Header=BB6_12137 Depth=2
	s_mov_b32 s88, 0
.LBB6_12142:                            ;   in Loop: Header=BB6_12137 Depth=2
	flat_load_ubyte v1, v[10:11] glc slc
	v_mov_b32_e32 v2, 0
	s_waitcnt vmcnt(0) lgkmcnt(0)
	v_cmp_ne_u16_e32 vcc, 0, v1
	s_and_saveexec_b64 s[18:19], vcc
	s_cbranch_execz .LBB6_12148
; %bb.12143:                            ;   in Loop: Header=BB6_12137 Depth=2
	v_cmp_ne_u16_e32 vcc, s50, v1
	v_bfrev_b32_e32 v2, 1
	s_and_saveexec_b64 s[76:77], vcc
	s_cbranch_execz .LBB6_12147
; %bb.12144:                            ;   in Loop: Header=BB6_12137 Depth=2
	v_and_b32_e32 v16, 0xffff, v1
	v_and_b32_e32 v3, 0x7f, v16
	v_cmp_ne_u32_e32 vcc, s39, v3
	v_mov_b32_e32 v2, 0x7f800001
	s_and_saveexec_b64 s[78:79], vcc
	s_cbranch_execz .LBB6_12146
; %bb.12145:                            ;   in Loop: Header=BB6_12137 Depth=2
	v_and_b32_e32 v4, 7, v16
	v_ffbh_u32_e32 v2, v4
	v_min_u32_e32 v6, 32, v2
	v_subrev_u32_e32 v2, 28, v6
	v_lshrrev_b32_e32 v5, 3, v3
	v_cmp_gt_u32_e32 vcc, 8, v3
	v_lshlrev_b64 v[2:3], v2, v[16:17]
	v_sub_u32_e32 v3, 29, v6
	v_and_b32_e32 v2, 7, v2
	v_cndmask_b32_e32 v3, v5, v3, vcc
	v_cndmask_b32_e32 v2, v4, v2, vcc
	v_lshlrev_b32_e32 v1, 24, v1
	v_lshlrev_b32_e32 v2, 20, v2
	v_and_b32_e32 v1, 0x80000000, v1
	v_lshl_add_u32 v3, v3, 23, v62
	v_or3_b32 v2, v1, v3, v2
.LBB6_12146:                            ;   in Loop: Header=BB6_12137 Depth=2
	s_or_b64 exec, exec, s[78:79]
.LBB6_12147:                            ;   in Loop: Header=BB6_12137 Depth=2
	s_or_b64 exec, exec, s[76:77]
.LBB6_12148:                            ;   in Loop: Header=BB6_12137 Depth=2
	s_or_b64 exec, exec, s[18:19]
	v_mul_f32_e32 v3, s88, v2
	v_and_b32_e32 v50, 0x7f800000, v3
	v_cmp_ne_u64_e32 vcc, s[46:47], v[50:51]
                                        ; implicit-def: $vgpr2
	s_and_saveexec_b64 s[18:19], vcc
	s_xor_b64 s[76:77], exec, s[18:19]
	s_cbranch_execz .LBB6_12166
; %bb.12149:                            ;   in Loop: Header=BB6_12137 Depth=2
	v_and_b32_e32 v50, 0x7fffffff, v3
	v_cmp_gt_u64_e32 vcc, s[56:57], v[50:51]
	v_and_b32_sdwa v1, v3, s50 dst_sel:DWORD dst_unused:UNUSED_PAD src0_sel:BYTE_3 src1_sel:DWORD
                                        ; implicit-def: $vgpr2
	s_and_saveexec_b64 s[18:19], vcc
	s_xor_b64 s[78:79], exec, s[18:19]
	s_cbranch_execz .LBB6_12163
; %bb.12150:                            ;   in Loop: Header=BB6_12137 Depth=2
	v_cmp_ne_u32_e32 vcc, 0, v3
	v_mov_b32_e32 v2, 0
	s_and_saveexec_b64 s[88:89], vcc
	s_cbranch_execz .LBB6_12162
; %bb.12151:                            ;   in Loop: Header=BB6_12137 Depth=2
	v_bfe_u32 v2, v3, 23, 8
	v_and_b32_e32 v4, 0x7fffff, v3
	v_cmp_gt_u32_e64 s[18:19], s51, v2
	v_sub_u32_e32 v3, 0x79, v2
	v_cmp_eq_u32_e32 vcc, 0, v2
	v_cndmask_b32_e64 v3, 0, v3, s[18:19]
	v_mov_b32_e32 v6, 0x78
	v_or_b32_e32 v5, 0x800000, v4
	v_cndmask_b32_e32 v3, v3, v6, vcc
	v_cndmask_b32_e32 v50, v5, v4, vcc
	v_add_u32_e32 v4, 20, v3
	v_lshlrev_b64 v[4:5], v4, -1
	v_add_u32_e32 v6, 19, v3
	v_lshlrev_b64 v[6:7], v6, 1
	v_lshrrev_b64 v[16:17], v3, v[50:51]
	v_bfi_b32 v5, v5, 0, 0
	v_bfi_b32 v4, v4, 0, v50
	v_cmp_eq_u64_e64 s[18:19], v[4:5], v[6:7]
	v_mov_b32_e32 v18, v17
	v_mov_b32_e32 v17, v16
	s_and_saveexec_b64 s[90:91], s[18:19]
; %bb.12152:                            ;   in Loop: Header=BB6_12137 Depth=2
	v_bfe_u32 v4, v16, 20, 1
	v_add_co_u32_e64 v4, s[18:19], v16, v4
	v_add_co_u32_e64 v17, s[18:19], -1, v4
; %bb.12153:                            ;   in Loop: Header=BB6_12137 Depth=2
	s_or_b64 exec, exec, s[90:91]
	v_add_u32_e32 v2, 0xffffff81, v2
	v_mov_b32_e32 v4, 0xffffff82
	v_cndmask_b32_e32 v2, v2, v4, vcc
	v_lshrrev_b32_e32 v4, 23, v16
	v_add3_u32 v4, v3, v2, v4
	v_add_u32_e32 v2, 6, v4
	v_and_b32_e32 v3, 0xfffff, v17
	v_add_u32_e32 v50, v3, v16
	v_cmp_ne_u32_e32 vcc, 0, v2
                                        ; implicit-def: $vgpr16_vgpr17
                                        ; implicit-def: $vgpr3
	s_and_saveexec_b64 s[18:19], vcc
	s_xor_b64 s[18:19], exec, s[18:19]
; %bb.12154:                            ;   in Loop: Header=BB6_12137 Depth=2
	v_cmp_lt_u64_e32 vcc, s[58:59], v[50:51]
	v_add_u32_e32 v3, 7, v4
	v_cndmask_b32_e32 v3, v2, v3, vcc
	v_cndmask_b32_e64 v2, 0, 1, vcc
	v_lshrrev_b64 v[16:17], v2, v[50:51]
; %bb.12155:                            ;   in Loop: Header=BB6_12137 Depth=2
	s_andn2_saveexec_b64 s[18:19], s[18:19]
; %bb.12156:                            ;   in Loop: Header=BB6_12137 Depth=2
	v_mov_b32_e32 v16, v50
	v_mov_b32_e32 v17, v51
	v_bfe_u32 v3, v50, 23, 1
; %bb.12157:                            ;   in Loop: Header=BB6_12137 Depth=2
	s_or_b64 exec, exec, s[18:19]
	v_lshrrev_b64 v[4:5], 20, v[16:17]
	v_cmp_gt_i32_e32 vcc, 16, v3
	v_cndmask_b32_e32 v17, 0, v5, vcc
	v_cndmask_b32_e32 v16, 7, v4, vcc
	v_cmp_ne_u64_e32 vcc, 0, v[16:17]
	v_cmp_ne_u32_e64 s[18:19], 0, v3
	s_or_b64 s[18:19], s[18:19], vcc
                                        ; implicit-def: $vgpr2
	s_and_saveexec_b64 s[90:91], s[18:19]
	s_xor_b64 s[18:19], exec, s[90:91]
; %bb.12158:                            ;   in Loop: Header=BB6_12137 Depth=2
	v_min_i32_e32 v2, 15, v3
	v_lshl_or_b32 v1, v2, 3, v1
	v_and_or_b32 v2, v16, 7, v1
                                        ; implicit-def: $vgpr1
; %bb.12159:                            ;   in Loop: Header=BB6_12137 Depth=2
	s_andn2_saveexec_b64 s[18:19], s[18:19]
; %bb.12160:                            ;   in Loop: Header=BB6_12137 Depth=2
	v_mov_b32_e32 v2, v1
; %bb.12161:                            ;   in Loop: Header=BB6_12137 Depth=2
	s_or_b64 exec, exec, s[18:19]
.LBB6_12162:                            ;   in Loop: Header=BB6_12137 Depth=2
	s_or_b64 exec, exec, s[88:89]
                                        ; implicit-def: $vgpr1
.LBB6_12163:                            ;   in Loop: Header=BB6_12137 Depth=2
	s_andn2_saveexec_b64 s[18:19], s[78:79]
; %bb.12164:                            ;   in Loop: Header=BB6_12137 Depth=2
	v_or_b32_e32 v2, 0x7e, v1
; %bb.12165:                            ;   in Loop: Header=BB6_12137 Depth=2
	s_or_b64 exec, exec, s[18:19]
                                        ; implicit-def: $vgpr3
.LBB6_12166:                            ;   in Loop: Header=BB6_12137 Depth=2
	s_andn2_saveexec_b64 s[18:19], s[76:77]
; %bb.12167:                            ;   in Loop: Header=BB6_12137 Depth=2
	v_or_b32_sdwa v2, v3, s39 dst_sel:DWORD dst_unused:UNUSED_PAD src0_sel:BYTE_3 src1_sel:DWORD
; %bb.12168:                            ;   in Loop: Header=BB6_12137 Depth=2
	s_or_b64 exec, exec, s[18:19]
	flat_load_ubyte v3, v[12:13] glc slc
	v_and_b32_e32 v16, 0xff, v2
	v_cmp_ne_u16_e32 vcc, 0, v16
	v_mov_b32_e32 v1, 0
	v_mov_b32_e32 v4, 0
	s_and_saveexec_b64 s[18:19], vcc
	s_cbranch_execz .LBB6_12174
; %bb.12169:                            ;   in Loop: Header=BB6_12137 Depth=2
	v_cmp_ne_u16_e32 vcc, s50, v16
	v_bfrev_b32_e32 v4, 1
	s_and_saveexec_b64 s[76:77], vcc
	s_cbranch_execz .LBB6_12173
; %bb.12170:                            ;   in Loop: Header=BB6_12137 Depth=2
	v_and_b32_e32 v5, 0x7f, v2
	v_cmp_ne_u32_e32 vcc, s39, v5
	v_mov_b32_e32 v4, 0x7f800001
	s_and_saveexec_b64 s[78:79], vcc
	s_cbranch_execz .LBB6_12172
; %bb.12171:                            ;   in Loop: Header=BB6_12137 Depth=2
	v_and_b32_e32 v6, 7, v16
	v_ffbh_u32_e32 v4, v6
	v_min_u32_e32 v8, 32, v4
	v_subrev_u32_e32 v4, 28, v8
	v_lshrrev_b32_e32 v7, 3, v5
	v_cmp_gt_u32_e32 vcc, 8, v5
	v_lshlrev_b64 v[4:5], v4, v[16:17]
	v_sub_u32_e32 v5, 29, v8
	v_and_b32_e32 v4, 7, v4
	v_cndmask_b32_e32 v5, v7, v5, vcc
	v_cndmask_b32_e32 v4, v6, v4, vcc
	v_lshlrev_b32_e32 v2, 24, v2
	v_lshlrev_b32_e32 v4, 20, v4
	v_and_b32_e32 v2, 0x80000000, v2
	v_lshl_add_u32 v5, v5, 23, v62
	v_or3_b32 v4, v2, v5, v4
.LBB6_12172:                            ;   in Loop: Header=BB6_12137 Depth=2
	s_or_b64 exec, exec, s[78:79]
.LBB6_12173:                            ;   in Loop: Header=BB6_12137 Depth=2
	s_or_b64 exec, exec, s[76:77]
.LBB6_12174:                            ;   in Loop: Header=BB6_12137 Depth=2
	s_or_b64 exec, exec, s[18:19]
	s_waitcnt vmcnt(0) lgkmcnt(0)
	v_and_b32_e32 v16, 0xff, v3
	v_cmp_ne_u16_e32 vcc, 0, v16
	s_and_saveexec_b64 s[18:19], vcc
	s_cbranch_execz .LBB6_12180
; %bb.12175:                            ;   in Loop: Header=BB6_12137 Depth=2
	v_cmp_ne_u16_e32 vcc, s50, v16
	v_bfrev_b32_e32 v1, 1
	s_and_saveexec_b64 s[76:77], vcc
	s_cbranch_execz .LBB6_12179
; %bb.12176:                            ;   in Loop: Header=BB6_12137 Depth=2
	v_and_b32_e32 v2, 0x7f, v3
	v_cmp_ne_u32_e32 vcc, s39, v2
	v_mov_b32_e32 v1, 0x7f800001
	s_and_saveexec_b64 s[78:79], vcc
	s_cbranch_execz .LBB6_12178
; %bb.12177:                            ;   in Loop: Header=BB6_12137 Depth=2
	v_and_b32_e32 v5, 7, v16
	v_lshlrev_b32_e32 v1, 24, v3
	v_and_b32_e32 v3, 0x80000000, v1
	v_ffbh_u32_e32 v1, v5
	v_min_u32_e32 v7, 32, v1
	v_subrev_u32_e32 v1, 28, v7
	v_lshrrev_b32_e32 v6, 3, v2
	v_cmp_gt_u32_e32 vcc, 8, v2
	v_lshlrev_b64 v[1:2], v1, v[16:17]
	v_sub_u32_e32 v2, 29, v7
	v_and_b32_e32 v1, 7, v1
	v_cndmask_b32_e32 v2, v6, v2, vcc
	v_cndmask_b32_e32 v1, v5, v1, vcc
	v_lshlrev_b32_e32 v1, 20, v1
	v_lshl_add_u32 v2, v2, 23, v62
	v_or3_b32 v1, v3, v2, v1
.LBB6_12178:                            ;   in Loop: Header=BB6_12137 Depth=2
	s_or_b64 exec, exec, s[78:79]
.LBB6_12179:                            ;   in Loop: Header=BB6_12137 Depth=2
	s_or_b64 exec, exec, s[76:77]
.LBB6_12180:                            ;   in Loop: Header=BB6_12137 Depth=2
	s_or_b64 exec, exec, s[18:19]
	v_add_f32_e32 v3, v4, v1
	v_and_b32_e32 v50, 0x7f800000, v3
	v_cmp_ne_u64_e32 vcc, s[46:47], v[50:51]
                                        ; implicit-def: $vgpr2
	s_and_saveexec_b64 s[18:19], vcc
	s_xor_b64 s[76:77], exec, s[18:19]
	s_cbranch_execz .LBB6_12198
; %bb.12181:                            ;   in Loop: Header=BB6_12137 Depth=2
	v_and_b32_e32 v50, 0x7fffffff, v3
	v_cmp_gt_u64_e32 vcc, s[56:57], v[50:51]
	v_and_b32_sdwa v1, v3, s50 dst_sel:DWORD dst_unused:UNUSED_PAD src0_sel:BYTE_3 src1_sel:DWORD
                                        ; implicit-def: $vgpr2
	s_and_saveexec_b64 s[18:19], vcc
	s_xor_b64 s[78:79], exec, s[18:19]
	s_cbranch_execz .LBB6_12195
; %bb.12182:                            ;   in Loop: Header=BB6_12137 Depth=2
	v_cmp_ne_u32_e32 vcc, 0, v3
	v_mov_b32_e32 v2, 0
	s_and_saveexec_b64 s[88:89], vcc
	s_cbranch_execz .LBB6_12194
; %bb.12183:                            ;   in Loop: Header=BB6_12137 Depth=2
	v_bfe_u32 v2, v3, 23, 8
	v_and_b32_e32 v4, 0x7fffff, v3
	v_cmp_gt_u32_e64 s[18:19], s51, v2
	v_sub_u32_e32 v3, 0x79, v2
	v_cmp_eq_u32_e32 vcc, 0, v2
	v_cndmask_b32_e64 v3, 0, v3, s[18:19]
	v_mov_b32_e32 v6, 0x78
	v_or_b32_e32 v5, 0x800000, v4
	v_cndmask_b32_e32 v3, v3, v6, vcc
	v_cndmask_b32_e32 v50, v5, v4, vcc
	v_add_u32_e32 v4, 20, v3
	v_lshlrev_b64 v[4:5], v4, -1
	v_add_u32_e32 v6, 19, v3
	v_lshlrev_b64 v[6:7], v6, 1
	v_lshrrev_b64 v[16:17], v3, v[50:51]
	v_bfi_b32 v5, v5, 0, 0
	v_bfi_b32 v4, v4, 0, v50
	v_cmp_eq_u64_e64 s[18:19], v[4:5], v[6:7]
	v_mov_b32_e32 v18, v17
	v_mov_b32_e32 v17, v16
	s_and_saveexec_b64 s[90:91], s[18:19]
; %bb.12184:                            ;   in Loop: Header=BB6_12137 Depth=2
	v_bfe_u32 v4, v16, 20, 1
	v_add_co_u32_e64 v4, s[18:19], v16, v4
	v_add_co_u32_e64 v17, s[18:19], -1, v4
; %bb.12185:                            ;   in Loop: Header=BB6_12137 Depth=2
	s_or_b64 exec, exec, s[90:91]
	v_add_u32_e32 v2, 0xffffff81, v2
	v_mov_b32_e32 v4, 0xffffff82
	v_cndmask_b32_e32 v2, v2, v4, vcc
	v_lshrrev_b32_e32 v4, 23, v16
	v_add3_u32 v4, v3, v2, v4
	v_add_u32_e32 v2, 6, v4
	v_and_b32_e32 v3, 0xfffff, v17
	v_add_u32_e32 v50, v3, v16
	v_cmp_ne_u32_e32 vcc, 0, v2
                                        ; implicit-def: $vgpr16_vgpr17
                                        ; implicit-def: $vgpr3
	s_and_saveexec_b64 s[18:19], vcc
	s_xor_b64 s[18:19], exec, s[18:19]
; %bb.12186:                            ;   in Loop: Header=BB6_12137 Depth=2
	v_cmp_lt_u64_e32 vcc, s[58:59], v[50:51]
	v_add_u32_e32 v3, 7, v4
	v_cndmask_b32_e32 v3, v2, v3, vcc
	v_cndmask_b32_e64 v2, 0, 1, vcc
	v_lshrrev_b64 v[16:17], v2, v[50:51]
; %bb.12187:                            ;   in Loop: Header=BB6_12137 Depth=2
	s_andn2_saveexec_b64 s[18:19], s[18:19]
; %bb.12188:                            ;   in Loop: Header=BB6_12137 Depth=2
	v_mov_b32_e32 v16, v50
	v_mov_b32_e32 v17, v51
	v_bfe_u32 v3, v50, 23, 1
; %bb.12189:                            ;   in Loop: Header=BB6_12137 Depth=2
	s_or_b64 exec, exec, s[18:19]
	v_lshrrev_b64 v[4:5], 20, v[16:17]
	v_cmp_gt_i32_e32 vcc, 16, v3
	v_cndmask_b32_e32 v17, 0, v5, vcc
	v_cndmask_b32_e32 v16, 7, v4, vcc
	v_cmp_ne_u64_e32 vcc, 0, v[16:17]
	v_cmp_ne_u32_e64 s[18:19], 0, v3
	s_or_b64 s[18:19], s[18:19], vcc
                                        ; implicit-def: $vgpr2
	s_and_saveexec_b64 s[90:91], s[18:19]
	s_xor_b64 s[18:19], exec, s[90:91]
; %bb.12190:                            ;   in Loop: Header=BB6_12137 Depth=2
	v_min_i32_e32 v2, 15, v3
	v_lshl_or_b32 v1, v2, 3, v1
	v_and_or_b32 v2, v16, 7, v1
                                        ; implicit-def: $vgpr1
; %bb.12191:                            ;   in Loop: Header=BB6_12137 Depth=2
	s_andn2_saveexec_b64 s[18:19], s[18:19]
; %bb.12192:                            ;   in Loop: Header=BB6_12137 Depth=2
	v_mov_b32_e32 v2, v1
; %bb.12193:                            ;   in Loop: Header=BB6_12137 Depth=2
	s_or_b64 exec, exec, s[18:19]
.LBB6_12194:                            ;   in Loop: Header=BB6_12137 Depth=2
	s_or_b64 exec, exec, s[88:89]
                                        ; implicit-def: $vgpr1
.LBB6_12195:                            ;   in Loop: Header=BB6_12137 Depth=2
	s_andn2_saveexec_b64 s[18:19], s[78:79]
; %bb.12196:                            ;   in Loop: Header=BB6_12137 Depth=2
	v_or_b32_e32 v2, 0x7e, v1
; %bb.12197:                            ;   in Loop: Header=BB6_12137 Depth=2
	s_or_b64 exec, exec, s[18:19]
                                        ; implicit-def: $vgpr3
.LBB6_12198:                            ;   in Loop: Header=BB6_12137 Depth=2
	s_andn2_saveexec_b64 s[18:19], s[76:77]
	s_cbranch_execz .LBB6_12136
; %bb.12199:                            ;   in Loop: Header=BB6_12137 Depth=2
	v_or_b32_sdwa v2, v3, s39 dst_sel:DWORD dst_unused:UNUSED_PAD src0_sel:BYTE_3 src1_sel:DWORD
	s_branch .LBB6_12136
.LBB6_12200:                            ;   in Loop: Header=BB6_6169 Depth=1
	s_or_b64 exec, exec, s[20:21]
	buffer_load_dword v0, off, s[0:3], s33 offset:348 ; 4-byte Folded Reload
	buffer_load_dword v6, off, s[0:3], s33 offset:352 ; 4-byte Folded Reload
	;; [unrolled: 1-line block ×3, first 2 shown]
	s_waitcnt vmcnt(0)
	v_cmp_ne_u32_e64 s[18:19], 0, v0
	s_and_saveexec_b64 s[20:21], s[10:11]
	s_cbranch_execz .LBB6_12219
.LBB6_12201:                            ;   in Loop: Header=BB6_6169 Depth=1
	s_and_saveexec_b64 s[74:75], s[40:41]
	s_xor_b64 s[74:75], exec, s[74:75]
	s_cbranch_execz .LBB6_12216
; %bb.12202:                            ;   in Loop: Header=BB6_6169 Depth=1
	s_and_saveexec_b64 s[76:77], s[12:13]
	s_cbranch_execz .LBB6_12215
; %bb.12203:                            ;   in Loop: Header=BB6_6169 Depth=1
	s_mov_b64 s[88:89], exec
	v_mbcnt_lo_u32_b32 v0, s88, 0
	v_mbcnt_hi_u32_b32 v0, s89, v0
	v_cmp_eq_u32_e32 vcc, 0, v0
	s_waitcnt vmcnt(0) lgkmcnt(0)
	buffer_wbinvl1_vol
	s_and_saveexec_b64 s[78:79], vcc
	s_cbranch_execz .LBB6_12205
; %bb.12204:                            ;   in Loop: Header=BB6_6169 Depth=1
	s_bcnt1_i32_b64 s88, s[88:89]
	v_mov_b32_e32 v0, s88
	v_mov_b32_e32 v1, v51
	ds_add_u64 v0, v[0:1]
	s_trap 2
.LBB6_12205:                            ;   in Loop: Header=BB6_6169 Depth=1
	s_or_b64 exec, exec, s[78:79]
	s_trap 2
	ds_read_b64 v[0:1], v0
	s_waitcnt lgkmcnt(0)
	buffer_load_dword v2, off, s[0:3], s33 offset:96 ; 4-byte Folded Reload
	buffer_load_dword v3, off, s[0:3], s33 offset:100 ; 4-byte Folded Reload
	;; [unrolled: 1-line block ×3, first 2 shown]
	s_waitcnt vmcnt(0)
	v_add_co_u32_e32 v2, vcc, v2, v4
	v_addc_co_u32_e32 v3, vcc, 0, v3, vcc
	buffer_store_dword v2, off, s[0:3], s33 offset:96 ; 4-byte Folded Spill
	s_nop 0
	buffer_store_dword v3, off, s[0:3], s33 offset:100 ; 4-byte Folded Spill
	v_cmp_lt_u64_e32 vcc, v[0:1], v[2:3]
	s_and_saveexec_b64 s[78:79], vcc
	s_cbranch_execz .LBB6_12214
; %bb.12206:                            ;   in Loop: Header=BB6_6169 Depth=1
	s_mov_b32 s34, 0
	s_mov_b64 s[88:89], 0
                                        ; implicit-def: $sgpr90_sgpr91
                                        ; implicit-def: $sgpr92_sgpr93
	s_branch .LBB6_12208
.LBB6_12207:                            ;   in Loop: Header=BB6_12208 Depth=2
	s_or_b64 exec, exec, s[30:31]
	s_and_b64 s[94:95], exec, vcc
	s_or_b64 s[88:89], s[94:95], s[88:89]
	s_andn2_b64 s[90:91], s[90:91], exec
	s_and_b64 s[94:95], s[92:93], exec
	s_or_b64 s[90:91], s[90:91], s[94:95]
	s_andn2_b64 exec, exec, s[88:89]
	s_cbranch_execz .LBB6_12212
.LBB6_12208:                            ;   Parent Loop BB6_6169 Depth=1
                                        ; =>  This Inner Loop Header: Depth=2
	s_add_i32 s34, s34, 1
	s_cmpk_lg_i32 s34, 0x2710
	s_cselect_b64 s[94:95], -1, 0
	s_and_b64 vcc, exec, s[94:95]
	s_cbranch_vccz .LBB6_12210
; %bb.12209:                            ;   in Loop: Header=BB6_12208 Depth=2
	s_mov_b64 vcc, -1
	s_or_b64 s[92:93], s[92:93], exec
	s_and_saveexec_b64 s[30:31], s[94:95]
	s_cbranch_execz .LBB6_12207
	s_branch .LBB6_12211
.LBB6_12210:                            ;   in Loop: Header=BB6_12208 Depth=2
	s_trap 2
	ds_read_b64 v[0:1], v0
	s_andn2_b64 s[94:95], s[94:95], exec
	s_mov_b32 s34, 0
	s_waitcnt vmcnt(0) lgkmcnt(0)
	flat_load_dword v0, v[0:1] glc
	s_waitcnt vmcnt(0) lgkmcnt(0)
	buffer_wbinvl1_vol
	v_cmp_eq_u32_e32 vcc, 0, v0
	s_and_b64 vcc, vcc, exec
	s_or_b64 s[94:95], s[94:95], vcc
	s_mov_b64 vcc, -1
	s_or_b64 s[92:93], s[92:93], exec
	s_and_saveexec_b64 s[30:31], s[94:95]
	s_cbranch_execz .LBB6_12207
.LBB6_12211:                            ;   in Loop: Header=BB6_12208 Depth=2
	s_sleep 1
	s_trap 2
	ds_read_b64 v[0:1], v0
	s_waitcnt lgkmcnt(0)
	buffer_load_dword v2, off, s[0:3], s33 offset:96 ; 4-byte Folded Reload
	buffer_load_dword v3, off, s[0:3], s33 offset:100 ; 4-byte Folded Reload
	s_andn2_b64 s[92:93], s[92:93], exec
	s_waitcnt vmcnt(0)
	v_cmp_ge_u64_e32 vcc, v[0:1], v[2:3]
	s_orn2_b64 vcc, vcc, exec
	s_branch .LBB6_12207
.LBB6_12212:                            ;   in Loop: Header=BB6_6169 Depth=1
	s_or_b64 exec, exec, s[88:89]
	s_and_saveexec_b64 s[88:89], s[90:91]
	s_xor_b64 s[88:89], exec, s[88:89]
	s_cbranch_execz .LBB6_12214
; %bb.12213:                            ;   in Loop: Header=BB6_6169 Depth=1
	v_mov_b32_e32 v0, 1
	ds_write_b32 v0, v0
	s_trap 2
.LBB6_12214:                            ;   in Loop: Header=BB6_6169 Depth=1
	s_or_b64 exec, exec, s[78:79]
	;;#ASMSTART
	s_wakeup
	;;#ASMEND
.LBB6_12215:                            ;   in Loop: Header=BB6_6169 Depth=1
	s_or_b64 exec, exec, s[76:77]
.LBB6_12216:                            ;   in Loop: Header=BB6_6169 Depth=1
	s_andn2_saveexec_b64 s[74:75], s[74:75]
	s_cbranch_execz .LBB6_12218
; %bb.12217:                            ;   in Loop: Header=BB6_6169 Depth=1
	s_waitcnt vmcnt(0) lgkmcnt(0)
	buffer_wbinvl1_vol
	s_barrier
.LBB6_12218:                            ;   in Loop: Header=BB6_6169 Depth=1
	s_or_b64 exec, exec, s[74:75]
.LBB6_12219:                            ;   in Loop: Header=BB6_6169 Depth=1
	s_or_b64 exec, exec, s[20:21]
	buffer_load_dword v0, off, s[0:3], s33 offset:76 ; 4-byte Folded Reload
	s_waitcnt vmcnt(0)
	v_and_b32_e32 v0, 16, v0
	v_cmp_ne_u32_e32 vcc, 0, v0
	s_and_b64 s[20:21], vcc, s[18:19]
	s_and_saveexec_b64 s[18:19], s[20:21]
	s_cbranch_execz .LBB6_12221
; %bb.12220:                            ;   in Loop: Header=BB6_6169 Depth=1
	s_waitcnt lgkmcnt(0)
	buffer_wbinvl1_vol
.LBB6_12221:                            ;   in Loop: Header=BB6_6169 Depth=1
	s_or_b64 exec, exec, s[18:19]
	buffer_load_dword v0, off, s[0:3], s33 offset:76 ; 4-byte Folded Reload
	s_waitcnt vmcnt(0)
	v_and_b32_e32 v0, 32, v0
	v_cmp_ne_u32_e32 vcc, 0, v0
	s_and_saveexec_b64 s[18:19], vcc
	s_cbranch_execz .LBB6_12223
; %bb.12222:                            ;   in Loop: Header=BB6_6169 Depth=1
	buffer_load_dword v0, off, s[0:3], s33 offset:80 ; 4-byte Folded Reload
	buffer_load_dword v1, off, s[0:3], s33 offset:84 ; 4-byte Folded Reload
	;; [unrolled: 1-line block ×4, first 2 shown]
	s_waitcnt vmcnt(0)
	v_add_co_u32_e32 v2, vcc, 1, v2
	v_addc_co_u32_e32 v3, vcc, 0, v3, vcc
	buffer_store_dword v0, off, s[0:3], s33 offset:80 ; 4-byte Folded Spill
	s_nop 0
	buffer_store_dword v1, off, s[0:3], s33 offset:84 ; 4-byte Folded Spill
	buffer_store_dword v2, off, s[0:3], s33 offset:88 ; 4-byte Folded Spill
	;; [unrolled: 1-line block ×3, first 2 shown]
	buffer_load_dword v0, off, s[0:3], s33 offset:68 ; 4-byte Folded Reload
	s_nop 0
	buffer_load_dword v1, off, s[0:3], s33 offset:72 ; 4-byte Folded Reload
	s_waitcnt vmcnt(0)
	flat_store_dwordx2 v[0:1], v[2:3]
.LBB6_12223:                            ;   in Loop: Header=BB6_6169 Depth=1
	s_or_b64 exec, exec, s[18:19]
	buffer_load_dword v0, off, s[0:3], s33 offset:180 ; 4-byte Folded Reload
.LBB6_12224:                            ;   in Loop: Header=BB6_6169 Depth=1
	s_or_b64 exec, exec, s[72:73]
	s_and_saveexec_b64 s[20:21], s[62:63]
	s_cbranch_execnz .LBB6_12225
; %bb.16576:                            ;   in Loop: Header=BB6_6169 Depth=1
	s_getpc_b64 s[66:67]
.Lpost_getpc24:
	s_add_u32 s66, s66, (.LBB6_6168-.Lpost_getpc24)&4294967295
	s_addc_u32 s67, s67, (.LBB6_6168-.Lpost_getpc24)>>32
	s_setpc_b64 s[66:67]
.LBB6_12225:                            ;   in Loop: Header=BB6_6169 Depth=1
	buffer_load_dword v1, off, s[0:3], s33 offset:76 ; 4-byte Folded Reload
	s_waitcnt vmcnt(0)
	v_and_b32_e32 v1, 4, v1
	v_cmp_ne_u32_e32 vcc, 0, v1
	s_and_saveexec_b64 s[62:63], vcc
	s_cbranch_execz .LBB6_12247
; %bb.12226:                            ;   in Loop: Header=BB6_6169 Depth=1
	buffer_load_dword v1, off, s[0:3], s33 offset:80 ; 4-byte Folded Reload
	buffer_load_dword v2, off, s[0:3], s33 offset:84 ; 4-byte Folded Reload
	;; [unrolled: 1-line block ×6, first 2 shown]
	s_waitcnt vmcnt(0)
	v_add_co_u32_e32 v10, vcc, 1, v3
	v_addc_co_u32_e32 v11, vcc, 0, v4, vcc
	v_cmp_lt_u64_e32 vcc, v[1:2], v[10:11]
	s_and_saveexec_b64 s[72:73], vcc
	s_cbranch_execz .LBB6_12238
; %bb.12227:                            ;   in Loop: Header=BB6_6169 Depth=1
	buffer_load_dword v1, off, s[0:3], s33 offset:76 ; 4-byte Folded Reload
	s_mov_b32 s36, 0
	s_mov_b64 s[74:75], 0
                                        ; implicit-def: $sgpr76_sgpr77
                                        ; implicit-def: $sgpr78_sgpr79
                                        ; implicit-def: $sgpr88_sgpr89
	s_waitcnt vmcnt(0)
	v_and_b32_e32 v1, 64, v1
	v_cmp_eq_u32_e32 vcc, 0, v1
	s_branch .LBB6_12230
.LBB6_12228:                            ;   in Loop: Header=BB6_12230 Depth=2
	s_or_b64 exec, exec, s[34:35]
	s_andn2_b64 s[18:19], s[88:89], exec
	s_and_b64 s[88:89], s[94:95], exec
	s_or_b64 s[88:89], s[18:19], s[88:89]
	s_andn2_b64 s[18:19], s[78:79], exec
	s_and_b64 s[78:79], s[92:93], exec
	s_or_b64 s[78:79], s[18:19], s[78:79]
.LBB6_12229:                            ;   in Loop: Header=BB6_12230 Depth=2
	s_or_b64 exec, exec, s[90:91]
	s_and_b64 s[18:19], exec, s[78:79]
	s_or_b64 s[74:75], s[18:19], s[74:75]
	s_andn2_b64 s[18:19], s[76:77], exec
	s_and_b64 s[76:77], s[88:89], exec
	s_or_b64 s[76:77], s[18:19], s[76:77]
	s_andn2_b64 exec, exec, s[74:75]
	s_cbranch_execz .LBB6_12235
.LBB6_12230:                            ;   Parent Loop BB6_6169 Depth=1
                                        ; =>  This Inner Loop Header: Depth=2
	s_sleep 1
	buffer_load_dword v1, off, s[0:3], s33 offset:68 ; 4-byte Folded Reload
	buffer_load_dword v2, off, s[0:3], s33 offset:72 ; 4-byte Folded Reload
	s_or_b64 s[88:89], s[88:89], exec
	s_or_b64 s[78:79], s[78:79], exec
	s_waitcnt vmcnt(0)
	flat_load_dwordx2 v[1:2], v[1:2] glc
	s_waitcnt vmcnt(0) lgkmcnt(0)
	buffer_store_dword v1, off, s[0:3], s33 offset:60 ; 4-byte Folded Spill
	s_nop 0
	buffer_store_dword v2, off, s[0:3], s33 offset:64 ; 4-byte Folded Spill
                                        ; implicit-def: $vgpr1
	s_and_saveexec_b64 s[90:91], vcc
	s_cbranch_execz .LBB6_12229
; %bb.12231:                            ;   in Loop: Header=BB6_12230 Depth=2
	s_cmpk_lt_i32 s36, 0x270f
	s_cselect_b64 s[30:31], -1, 0
	s_cmpk_gt_i32 s36, 0x270e
	s_mov_b64 s[92:93], -1
	s_cbranch_scc0 .LBB6_12233
; %bb.12232:                            ;   in Loop: Header=BB6_12230 Depth=2
	s_trap 2
	ds_read_b64 v[1:2], v0
	s_andn2_b64 s[30:31], s[30:31], exec
	s_mov_b32 s36, 0
	s_mov_b64 s[94:95], 0
	s_waitcnt vmcnt(0) lgkmcnt(0)
	flat_load_dword v1, v[1:2] glc
	s_waitcnt vmcnt(0) lgkmcnt(0)
	buffer_wbinvl1_vol
	v_cmp_eq_u32_e64 s[18:19], 0, v1
	s_and_b64 s[18:19], s[18:19], exec
	s_or_b64 s[30:31], s[30:31], s[18:19]
	s_and_saveexec_b64 s[34:35], s[30:31]
	s_cbranch_execz .LBB6_12228
	s_branch .LBB6_12234
.LBB6_12233:                            ;   in Loop: Header=BB6_12230 Depth=2
	s_add_i32 s36, s36, 1
	s_mov_b64 s[94:95], -1
                                        ; implicit-def: $vgpr1
	s_and_saveexec_b64 s[34:35], s[30:31]
	s_cbranch_execz .LBB6_12228
.LBB6_12234:                            ;   in Loop: Header=BB6_12230 Depth=2
	buffer_load_dword v2, off, s[0:3], s33 offset:60 ; 4-byte Folded Reload
	buffer_load_dword v3, off, s[0:3], s33 offset:64 ; 4-byte Folded Reload
	s_or_b64 s[94:95], s[94:95], exec
	s_waitcnt vmcnt(0)
	v_cmp_ge_u64_e64 s[18:19], v[2:3], v[10:11]
	s_orn2_b64 s[92:93], s[18:19], exec
	s_branch .LBB6_12228
.LBB6_12235:                            ;   in Loop: Header=BB6_6169 Depth=1
	s_or_b64 exec, exec, s[74:75]
	s_xor_b64 s[18:19], s[76:77], -1
	s_and_saveexec_b64 s[74:75], s[18:19]
	s_xor_b64 s[18:19], exec, s[74:75]
	s_cbranch_execz .LBB6_12237
; %bb.12236:                            ;   in Loop: Header=BB6_6169 Depth=1
	ds_write_b32 v0, v1
	s_trap 2
	buffer_load_dword v1, off, s[0:3], s33 offset:76 ; 4-byte Folded Reload
	s_waitcnt vmcnt(0)
	v_or_b32_e32 v1, 64, v1
	buffer_store_dword v1, off, s[0:3], s33 offset:76 ; 4-byte Folded Spill
.LBB6_12237:                            ;   in Loop: Header=BB6_6169 Depth=1
	s_or_b64 exec, exec, s[18:19]
.LBB6_12238:                            ;   in Loop: Header=BB6_6169 Depth=1
	s_or_b64 exec, exec, s[72:73]
	;;#ASMSTART
	s_wakeup
	;;#ASMEND
	buffer_load_dword v1, off, s[0:3], s33 offset:76 ; 4-byte Folded Reload
	s_mov_b64 s[18:19], -1
                                        ; implicit-def: $vgpr8_vgpr9
	s_waitcnt vmcnt(0)
	v_and_b32_e32 v1, 0x100, v1
	v_cmp_ne_u32_e32 vcc, 0, v1
	buffer_load_dword v1, off, s[0:3], s33 offset:80 ; 4-byte Folded Reload
	buffer_load_dword v2, off, s[0:3], s33 offset:84 ; 4-byte Folded Reload
	;; [unrolled: 1-line block ×4, first 2 shown]
	s_waitcnt vmcnt(0)
	v_and_b32_e32 v1, 7, v3
	s_and_saveexec_b64 s[72:73], vcc
	s_cbranch_execz .LBB6_12242
; %bb.12239:                            ;   in Loop: Header=BB6_6169 Depth=1
	buffer_load_dword v2, off, s[0:3], s33 offset:80 ; 4-byte Folded Reload
	buffer_load_dword v3, off, s[0:3], s33 offset:84 ; 4-byte Folded Reload
	;; [unrolled: 1-line block ×4, first 2 shown]
                                        ; implicit-def: $vgpr8_vgpr9
	s_waitcnt vmcnt(0)
	v_mad_u64_u32 v[12:13], s[18:19], v1, 24, v[2:3]
	flat_load_dword v2, v[12:13]
	s_waitcnt vmcnt(0) lgkmcnt(0)
	v_cmp_ne_u32_e32 vcc, 1, v2
	v_cmp_eq_u32_e64 s[18:19], 1, v2
	s_and_saveexec_b64 s[74:75], s[18:19]
	s_cbranch_execz .LBB6_12241
; %bb.12240:                            ;   in Loop: Header=BB6_6169 Depth=1
	flat_load_dword v8, v[12:13] offset:4 glc
	s_waitcnt vmcnt(0) lgkmcnt(0)
	v_ashrrev_i32_e32 v9, 31, v8
.LBB6_12241:                            ;   in Loop: Header=BB6_6169 Depth=1
	s_or_b64 exec, exec, s[74:75]
	s_orn2_b64 s[18:19], vcc, exec
.LBB6_12242:                            ;   in Loop: Header=BB6_6169 Depth=1
	s_or_b64 exec, exec, s[72:73]
	s_and_saveexec_b64 s[72:73], s[18:19]
	s_cbranch_execz .LBB6_12244
; %bb.12243:                            ;   in Loop: Header=BB6_6169 Depth=1
	buffer_load_dword v2, off, s[0:3], s33 offset:588 ; 4-byte Folded Reload
	s_waitcnt vmcnt(0)
	v_mad_i64_i32 v[8:9], s[18:19], v1, v2, 0
.LBB6_12244:                            ;   in Loop: Header=BB6_6169 Depth=1
	s_or_b64 exec, exec, s[72:73]
	buffer_load_dword v1, off, s[0:3], s33 offset:524 ; 4-byte Folded Reload
	buffer_load_dword v2, off, s[0:3], s33 offset:528 ; 4-byte Folded Reload
	s_waitcnt vmcnt(0)
	v_add_co_u32_e32 v1, vcc, v1, v8
	v_addc_co_u32_e32 v2, vcc, v2, v9, vcc
	ds_write_b64 v0, v[1:2] offset:728
	buffer_load_dword v1, off, s[0:3], s33 offset:76 ; 4-byte Folded Reload
	s_waitcnt vmcnt(0)
	v_and_b32_e32 v1, 0x2000, v1
	v_cmp_ne_u32_e32 vcc, 0, v1
	s_and_saveexec_b64 s[18:19], vcc
	s_cbranch_execz .LBB6_12246
; %bb.12245:                            ;   in Loop: Header=BB6_6169 Depth=1
	ds_read_b64 v[1:2], v0 offset:872
	s_waitcnt lgkmcnt(0)
	v_add_co_u32_e32 v1, vcc, 1, v1
	v_addc_co_u32_e32 v2, vcc, 0, v2, vcc
	ds_write_b64 v0, v[1:2] offset:872
.LBB6_12246:                            ;   in Loop: Header=BB6_6169 Depth=1
	s_or_b64 exec, exec, s[18:19]
	buffer_load_dword v1, off, s[0:3], s33 offset:80 ; 4-byte Folded Reload
	buffer_load_dword v2, off, s[0:3], s33 offset:84 ; 4-byte Folded Reload
	;; [unrolled: 1-line block ×4, first 2 shown]
	s_waitcnt vmcnt(0)
	v_mov_b32_e32 v3, v10
	v_mov_b32_e32 v4, v11
	buffer_store_dword v1, off, s[0:3], s33 offset:80 ; 4-byte Folded Spill
	s_nop 0
	buffer_store_dword v2, off, s[0:3], s33 offset:84 ; 4-byte Folded Spill
	buffer_store_dword v3, off, s[0:3], s33 offset:88 ; 4-byte Folded Spill
	;; [unrolled: 1-line block ×3, first 2 shown]
.LBB6_12247:                            ;   in Loop: Header=BB6_6169 Depth=1
	s_or_b64 exec, exec, s[62:63]
	s_and_saveexec_b64 s[18:19], s[10:11]
	s_cbranch_execz .LBB6_12266
; %bb.12248:                            ;   in Loop: Header=BB6_6169 Depth=1
	s_and_saveexec_b64 s[62:63], s[40:41]
	s_xor_b64 s[62:63], exec, s[62:63]
	s_cbranch_execz .LBB6_12263
; %bb.12249:                            ;   in Loop: Header=BB6_6169 Depth=1
	s_and_saveexec_b64 s[72:73], s[12:13]
	s_cbranch_execz .LBB6_12262
; %bb.12250:                            ;   in Loop: Header=BB6_6169 Depth=1
	s_mov_b64 s[76:77], exec
	v_mbcnt_lo_u32_b32 v1, s76, 0
	v_mbcnt_hi_u32_b32 v1, s77, v1
	v_cmp_eq_u32_e32 vcc, 0, v1
	s_waitcnt vmcnt(0) lgkmcnt(0)
	buffer_wbinvl1_vol
	s_and_saveexec_b64 s[74:75], vcc
	s_cbranch_execz .LBB6_12252
; %bb.12251:                            ;   in Loop: Header=BB6_6169 Depth=1
	s_bcnt1_i32_b64 s76, s[76:77]
	v_mov_b32_e32 v1, s76
	v_mov_b32_e32 v2, v51
	ds_add_u64 v0, v[1:2]
	s_trap 2
.LBB6_12252:                            ;   in Loop: Header=BB6_6169 Depth=1
	s_or_b64 exec, exec, s[74:75]
	s_trap 2
	ds_read_b64 v[1:2], v0
	s_waitcnt lgkmcnt(0)
	buffer_load_dword v3, off, s[0:3], s33 offset:96 ; 4-byte Folded Reload
	buffer_load_dword v4, off, s[0:3], s33 offset:100 ; 4-byte Folded Reload
	;; [unrolled: 1-line block ×3, first 2 shown]
	s_waitcnt vmcnt(0)
	v_add_co_u32_e32 v3, vcc, v3, v5
	v_addc_co_u32_e32 v4, vcc, 0, v4, vcc
	buffer_store_dword v3, off, s[0:3], s33 offset:96 ; 4-byte Folded Spill
	s_nop 0
	buffer_store_dword v4, off, s[0:3], s33 offset:100 ; 4-byte Folded Spill
	v_cmp_lt_u64_e32 vcc, v[1:2], v[3:4]
	s_and_saveexec_b64 s[74:75], vcc
	s_cbranch_execz .LBB6_12261
; %bb.12253:                            ;   in Loop: Header=BB6_6169 Depth=1
	s_mov_b32 s30, 0
	s_mov_b64 s[76:77], 0
                                        ; implicit-def: $sgpr78_sgpr79
                                        ; implicit-def: $sgpr88_sgpr89
	s_branch .LBB6_12255
.LBB6_12254:                            ;   in Loop: Header=BB6_12255 Depth=2
	s_or_b64 exec, exec, s[92:93]
	s_and_b64 s[90:91], exec, s[94:95]
	s_or_b64 s[76:77], s[90:91], s[76:77]
	s_andn2_b64 s[78:79], s[78:79], exec
	s_and_b64 s[90:91], s[88:89], exec
	s_or_b64 s[78:79], s[78:79], s[90:91]
	s_andn2_b64 exec, exec, s[76:77]
	s_cbranch_execz .LBB6_12259
.LBB6_12255:                            ;   Parent Loop BB6_6169 Depth=1
                                        ; =>  This Inner Loop Header: Depth=2
	s_add_i32 s30, s30, 1
	s_cmpk_lg_i32 s30, 0x2710
	s_cselect_b64 s[90:91], -1, 0
	s_and_b64 vcc, exec, s[90:91]
	s_cbranch_vccz .LBB6_12257
; %bb.12256:                            ;   in Loop: Header=BB6_12255 Depth=2
	s_mov_b64 s[94:95], -1
	s_or_b64 s[88:89], s[88:89], exec
	s_and_saveexec_b64 s[92:93], s[90:91]
	s_cbranch_execz .LBB6_12254
	s_branch .LBB6_12258
.LBB6_12257:                            ;   in Loop: Header=BB6_12255 Depth=2
	s_trap 2
	ds_read_b64 v[1:2], v0
	s_andn2_b64 s[90:91], s[90:91], exec
	s_mov_b32 s30, 0
	s_waitcnt vmcnt(0) lgkmcnt(0)
	flat_load_dword v1, v[1:2] glc
	s_waitcnt vmcnt(0) lgkmcnt(0)
	buffer_wbinvl1_vol
	v_cmp_eq_u32_e32 vcc, 0, v1
	s_and_b64 s[92:93], vcc, exec
	s_or_b64 s[90:91], s[90:91], s[92:93]
	s_mov_b64 s[94:95], -1
	s_or_b64 s[88:89], s[88:89], exec
	s_and_saveexec_b64 s[92:93], s[90:91]
	s_cbranch_execz .LBB6_12254
.LBB6_12258:                            ;   in Loop: Header=BB6_12255 Depth=2
	s_sleep 1
	s_trap 2
	ds_read_b64 v[1:2], v0
	s_waitcnt lgkmcnt(0)
	buffer_load_dword v3, off, s[0:3], s33 offset:96 ; 4-byte Folded Reload
	buffer_load_dword v4, off, s[0:3], s33 offset:100 ; 4-byte Folded Reload
	s_andn2_b64 s[88:89], s[88:89], exec
	s_waitcnt vmcnt(0)
	v_cmp_ge_u64_e32 vcc, v[1:2], v[3:4]
	s_orn2_b64 s[94:95], vcc, exec
	s_branch .LBB6_12254
.LBB6_12259:                            ;   in Loop: Header=BB6_6169 Depth=1
	s_or_b64 exec, exec, s[76:77]
	s_and_saveexec_b64 s[76:77], s[78:79]
	s_xor_b64 s[76:77], exec, s[76:77]
	s_cbranch_execz .LBB6_12261
; %bb.12260:                            ;   in Loop: Header=BB6_6169 Depth=1
	v_mov_b32_e32 v1, 1
	ds_write_b32 v0, v1
	s_trap 2
.LBB6_12261:                            ;   in Loop: Header=BB6_6169 Depth=1
	s_or_b64 exec, exec, s[74:75]
	;;#ASMSTART
	s_wakeup
	;;#ASMEND
.LBB6_12262:                            ;   in Loop: Header=BB6_6169 Depth=1
	s_or_b64 exec, exec, s[72:73]
.LBB6_12263:                            ;   in Loop: Header=BB6_6169 Depth=1
	s_andn2_saveexec_b64 s[62:63], s[62:63]
	s_cbranch_execz .LBB6_12265
; %bb.12264:                            ;   in Loop: Header=BB6_6169 Depth=1
	s_waitcnt vmcnt(0) lgkmcnt(0)
	buffer_wbinvl1_vol
	s_barrier
.LBB6_12265:                            ;   in Loop: Header=BB6_6169 Depth=1
	s_or_b64 exec, exec, s[62:63]
.LBB6_12266:                            ;   in Loop: Header=BB6_6169 Depth=1
	s_or_b64 exec, exec, s[18:19]
	s_trap 2
	ds_read_b32 v1, v0
	buffer_load_dword v2, off, s[0:3], s33 offset:316 ; 4-byte Folded Reload
	buffer_load_dword v3, off, s[0:3], s33 offset:320 ; 4-byte Folded Reload
	s_waitcnt lgkmcnt(0)
	v_readfirstlane_b32 s18, v1
	s_cmp_eq_u32 s18, 0
	s_cselect_b64 s[18:19], -1, 0
	s_waitcnt vmcnt(1)
	v_sub_u32_e32 v0, v2, v0
	buffer_load_dword v2, off, s[0:3], s33 offset:180 ; 4-byte Folded Reload
	s_waitcnt vmcnt(0)
	v_min_i32_e32 v0, v2, v0
	v_cmp_lt_i32_e32 vcc, 0, v0
	buffer_load_dword v0, off, s[0:3], s33 offset:76 ; 4-byte Folded Reload
	s_and_b64 s[18:19], vcc, s[18:19]
	s_waitcnt vmcnt(0)
	v_and_b32_e32 v0, 16, v0
	v_cmp_ne_u32_e32 vcc, 0, v0
	s_and_b64 s[62:63], vcc, s[18:19]
	s_and_saveexec_b64 s[18:19], s[62:63]
	s_cbranch_execz .LBB6_12268
; %bb.12267:                            ;   in Loop: Header=BB6_6169 Depth=1
	buffer_wbinvl1_vol
.LBB6_12268:                            ;   in Loop: Header=BB6_6169 Depth=1
	s_or_b64 exec, exec, s[18:19]
	buffer_load_dword v0, off, s[0:3], s33 offset:76 ; 4-byte Folded Reload
	s_waitcnt vmcnt(0)
	v_and_b32_e32 v0, 32, v0
	v_cmp_ne_u32_e32 vcc, 0, v0
	s_and_saveexec_b64 s[18:19], vcc
	s_cbranch_execnz .LBB6_12269
; %bb.16578:                            ;   in Loop: Header=BB6_6169 Depth=1
	s_getpc_b64 s[66:67]
.Lpost_getpc25:
	s_add_u32 s66, s66, (.LBB6_6167-.Lpost_getpc25)&4294967295
	s_addc_u32 s67, s67, (.LBB6_6167-.Lpost_getpc25)>>32
	s_setpc_b64 s[66:67]
.LBB6_12269:                            ;   in Loop: Header=BB6_6169 Depth=1
	buffer_load_dword v0, off, s[0:3], s33 offset:80 ; 4-byte Folded Reload
	buffer_load_dword v1, off, s[0:3], s33 offset:84 ; 4-byte Folded Reload
	;; [unrolled: 1-line block ×4, first 2 shown]
	s_waitcnt vmcnt(1)
	v_add_co_u32_e32 v2, vcc, 1, v2
	s_waitcnt vmcnt(0)
	v_addc_co_u32_e32 v3, vcc, 0, v3, vcc
	buffer_store_dword v0, off, s[0:3], s33 offset:80 ; 4-byte Folded Spill
	s_nop 0
	buffer_store_dword v1, off, s[0:3], s33 offset:84 ; 4-byte Folded Spill
	buffer_store_dword v2, off, s[0:3], s33 offset:88 ; 4-byte Folded Spill
	;; [unrolled: 1-line block ×3, first 2 shown]
	buffer_load_dword v0, off, s[0:3], s33 offset:68 ; 4-byte Folded Reload
	s_nop 0
	buffer_load_dword v1, off, s[0:3], s33 offset:72 ; 4-byte Folded Reload
	s_waitcnt vmcnt(0)
	flat_store_dwordx2 v[0:1], v[2:3]
; %bb.16546:                            ;   in Loop: Header=BB6_6169 Depth=1
	s_getpc_b64 s[66:67]
.Lpost_getpc9:
	s_add_u32 s66, s66, (.LBB6_6167-.Lpost_getpc9)&4294967295
	s_addc_u32 s67, s67, (.LBB6_6167-.Lpost_getpc9)>>32
	s_setpc_b64 s[66:67]
.LBB6_12270:
	s_or_b64 exec, exec, s[42:43]
	buffer_load_dword v6, off, s[0:3], s33 offset:80 ; 4-byte Folded Reload
	buffer_load_dword v7, off, s[0:3], s33 offset:84 ; 4-byte Folded Reload
	;; [unrolled: 1-line block ×4, first 2 shown]
.LBB6_12271:
	s_or_b64 exec, exec, s[28:29]
.LBB6_12272:
	s_or_b64 exec, exec, s[22:23]
                                        ; implicit-def: $vgpr0_vgpr1
                                        ; kill: killed $vgpr0_vgpr1
                                        ; implicit-def: $vgpr24_vgpr25
                                        ; implicit-def: $vgpr0_vgpr1
                                        ; kill: killed $vgpr0_vgpr1
                                        ; implicit-def: $vgpr0
                                        ; kill: killed $vgpr0
                                        ; implicit-def: $vgpr0_vgpr1
                                        ; kill: killed $vgpr0_vgpr1
                                        ; implicit-def: $vgpr0_vgpr1
                                        ; kill: killed $vgpr0_vgpr1
	;; [unrolled: 2-line block ×3, first 2 shown]
                                        ; implicit-def: $vgpr0
                                        ; implicit-def: $vgpr1
                                        ; kill: killed $vgpr0
                                        ; implicit-def: $vgpr0
	buffer_store_dword v1, off, s[0:3], s33 offset:492 ; 4-byte Folded Spill
	s_nop 0
	buffer_store_dword v2, off, s[0:3], s33 offset:496 ; 4-byte Folded Spill
.LBB6_12273:
	s_andn2_saveexec_b64 s[26:27], s[26:27]
	s_cbranch_execz .LBB6_16499
; %bb.12274:
	v_mov_b32_e32 v1, 0
	v_cmp_ne_u64_e32 vcc, 0, v[24:25]
	v_mov_b32_e32 v2, 0
	buffer_store_dword v1, off, s[0:3], s33 offset:96 ; 4-byte Folded Spill
	s_nop 0
	buffer_store_dword v2, off, s[0:3], s33 offset:100 ; 4-byte Folded Spill
	s_and_saveexec_b64 s[28:29], vcc
	s_cbranch_execz .LBB6_16498
; %bb.12275:
	s_waitcnt vmcnt(0)
	buffer_store_dword v6, off, s[0:3], s33 offset:80 ; 4-byte Folded Spill
	s_nop 0
	buffer_store_dword v7, off, s[0:3], s33 offset:84 ; 4-byte Folded Spill
	s_waitcnt lgkmcnt(0)
	buffer_store_dword v8, off, s[0:3], s33 offset:88 ; 4-byte Folded Spill
	buffer_store_dword v9, off, s[0:3], s33 offset:92 ; 4-byte Folded Spill
	buffer_load_dword v2, off, s[0:3], s33 offset:556 ; 4-byte Folded Reload
	buffer_load_dword v3, off, s[0:3], s33 offset:532 ; 4-byte Folded Reload
	s_trap 2
	buffer_load_dword v1, off, s[0:3], s33 offset:612 ; 4-byte Folded Reload
	s_ashr_i32 s6, s48, 31
	s_lshr_b32 s6, s6, 24
	s_add_i32 s48, s48, s6
	v_mov_b32_e32 v6, 0
	s_mov_b32 s60, -1
	s_ashr_i32 s38, s48, 8
	v_mov_b32_e32 v53, 0
	s_mov_b64 s[42:43], 0
	v_mov_b32_e32 v7, 0
	s_movk_i32 s39, 0x7f
	s_movk_i32 s48, 0x80
	s_mov_b64 s[46:47], 0x7f800000
	s_mov_b64 s[56:57], 0x43e00001
	s_movk_i32 s49, 0x7a
	s_mov_b64 s[58:59], 0xffffff
	s_mov_b32 s61, 0xffffff
	s_movk_i32 s50, 0x1000
	s_mov_b32 s51, 0x3ffffc00
	s_waitcnt vmcnt(2)
	v_lshrrev_b32_e32 v47, 6, v2
	s_waitcnt vmcnt(1)
	v_cmp_ge_u32_e64 s[6:7], v3, v2
	v_cmp_eq_u32_e32 vcc, 64, v2
	s_waitcnt vmcnt(0)
	v_cmp_ne_u32_sdwa s[40:41], v2, v1 src0_sel:DWORD src1_sel:WORD_0
	buffer_load_dword v1, off, s[0:3], s33 offset:608 ; 4-byte Folded Reload
	v_cmp_ne_u32_e64 s[10:11], 64, v2
	s_xor_b64 s[44:45], vcc, -1
	s_waitcnt vmcnt(0)
	v_and_b32_e32 v1, 63, v1
	v_cmp_eq_u32_e64 s[12:13], 0, v1
	v_and_b32_e32 v1, 63, v3
	v_cmp_eq_u32_e64 s[14:15], 0, v1
	v_cmp_lt_u32_e64 s[16:17], v1, v0
	buffer_store_dword v1, off, s[0:3], s33 offset:620 ; 4-byte Folded Spill
	v_lshlrev_b32_e32 v0, 4, v1
	v_lshlrev_b32_e32 v1, 13, v47
	buffer_store_dword v1, off, s[0:3], s33 offset:520 ; 4-byte Folded Spill
	v_lshlrev_b32_e32 v1, 10, v47
	buffer_store_dword v1, off, s[0:3], s33 offset:580 ; 4-byte Folded Spill
	v_lshlrev_b32_e32 v1, 11, v47
	buffer_store_dword v1, off, s[0:3], s33 offset:516 ; 4-byte Folded Spill
	v_and_b32_e32 v1, 0x3fc0, v2
	buffer_store_dword v1, off, s[0:3], s33 offset:544 ; 4-byte Folded Spill
	buffer_load_dword v1, off, s[0:3], s33 offset:592 ; 4-byte Folded Reload
	s_nop 0
	buffer_load_dword v2, off, s[0:3], s33 offset:596 ; 4-byte Folded Reload
	v_lshrrev_b32_e32 v3, 6, v3
	v_lshl_or_b32 v0, v3, 13, v0
	buffer_store_dword v0, off, s[0:3], s33 offset:484 ; 4-byte Folded Spill
	buffer_store_dword v3, off, s[0:3], s33 offset:616 ; 4-byte Folded Spill
	s_waitcnt vmcnt(2)
	v_cmp_ne_u64_e64 s[18:19], 0, v[1:2]
	v_mov_b32_e32 v0, 0
	v_mov_b32_e32 v1, 0
	buffer_store_dword v0, off, s[0:3], s33 offset:96 ; 4-byte Folded Spill
	s_nop 0
	buffer_store_dword v1, off, s[0:3], s33 offset:100 ; 4-byte Folded Spill
	buffer_load_dword v3, off, s[0:3], s33 offset:492 ; 4-byte Folded Reload
	buffer_load_dword v4, off, s[0:3], s33 offset:496 ; 4-byte Folded Reload
	s_nop 0
	buffer_store_dword v24, off, s[0:3], s33 offset:500 ; 4-byte Folded Spill
	s_nop 0
	buffer_store_dword v25, off, s[0:3], s33 offset:504 ; 4-byte Folded Spill
	buffer_store_dword v26, off, s[0:3], s33 offset:508 ; 4-byte Folded Spill
	;; [unrolled: 1-line block ×3, first 2 shown]
	s_branch .LBB6_12279
.LBB6_12276:                            ;   in Loop: Header=BB6_12279 Depth=1
	s_or_b64 exec, exec, s[62:63]
	buffer_load_dword v0, off, s[0:3], s33 offset:80 ; 4-byte Folded Reload
	buffer_load_dword v1, off, s[0:3], s33 offset:84 ; 4-byte Folded Reload
	;; [unrolled: 1-line block ×4, first 2 shown]
	s_waitcnt vmcnt(0)
	v_add_co_u32_e32 v2, vcc, 1, v2
	v_addc_co_u32_e32 v3, vcc, 0, v3, vcc
	buffer_store_dword v0, off, s[0:3], s33 offset:80 ; 4-byte Folded Spill
	s_nop 0
	buffer_store_dword v1, off, s[0:3], s33 offset:84 ; 4-byte Folded Spill
	buffer_store_dword v2, off, s[0:3], s33 offset:88 ; 4-byte Folded Spill
	;; [unrolled: 1-line block ×3, first 2 shown]
	buffer_load_dword v0, off, s[0:3], s33 offset:68 ; 4-byte Folded Reload
	s_nop 0
	buffer_load_dword v1, off, s[0:3], s33 offset:72 ; 4-byte Folded Reload
	s_waitcnt vmcnt(0)
	flat_store_dwordx2 v[0:1], v[2:3]
.LBB6_12277:                            ;   in Loop: Header=BB6_12279 Depth=1
	s_or_b64 exec, exec, s[20:21]
.LBB6_12278:                            ;   in Loop: Header=BB6_12279 Depth=1
	s_or_b64 exec, exec, s[22:23]
	buffer_load_dword v3, off, s[0:3], s33 offset:492 ; 4-byte Folded Reload
	buffer_load_dword v4, off, s[0:3], s33 offset:496 ; 4-byte Folded Reload
	;; [unrolled: 1-line block ×6, first 2 shown]
	s_waitcnt vmcnt(0)
	v_add_co_u32_e32 v6, vcc, v6, v3
	v_addc_co_u32_e32 v7, vcc, 0, v7, vcc
	v_cmp_ge_u64_e32 vcc, v[6:7], v[24:25]
	s_or_b64 s[42:43], vcc, s[42:43]
	s_andn2_b64 exec, exec, s[42:43]
	s_cbranch_execz .LBB6_16497
.LBB6_12279:                            ; =>This Loop Header: Depth=1
                                        ;     Child Loop BB6_12287 Depth 2
                                        ;     Child Loop BB6_12312 Depth 2
	;; [unrolled: 1-line block ×10, first 2 shown]
	v_sub_co_u32_e32 v0, vcc, v24, v6
	v_subb_co_u32_e32 v1, vcc, v25, v7, vcc
	s_waitcnt vmcnt(0)
	v_cmp_lt_u64_e32 vcc, v[3:4], v[0:1]
	v_cndmask_b32_e64 v15, v1, 0, vcc
	v_cndmask_b32_e32 v14, v0, v3, vcc
	v_cmp_eq_u64_e32 vcc, 0, v[14:15]
	v_add_u32_e32 v0, 15, v14
	v_and_b32_e32 v0, 0x7ffffff0, v0
	s_or_b64 s[62:63], s[6:7], vcc
	v_max_i32_e32 v15, s38, v0
	s_xor_b64 s[20:21], s[62:63], -1
	v_mov_b32_e32 v0, v53
	s_and_saveexec_b64 s[72:73], s[20:21]
	s_cbranch_execz .LBB6_16450
; %bb.12280:                            ;   in Loop: Header=BB6_12279 Depth=1
	s_and_saveexec_b64 s[20:21], s[4:5]
	s_cbranch_execz .LBB6_12282
; %bb.12281:                            ;   in Loop: Header=BB6_12279 Depth=1
	s_trap 2
	ds_read_b64 v[0:1], v0
	buffer_load_dword v2, off, s[0:3], s33 offset:548 ; 4-byte Folded Reload
	buffer_load_dword v3, off, s[0:3], s33 offset:552 ; 4-byte Folded Reload
	s_waitcnt vmcnt(0) lgkmcnt(0)
	v_add_co_u32_e32 v0, vcc, v0, v2
	s_waitcnt vmcnt(0)
	v_addc_co_u32_e32 v1, vcc, v1, v3, vcc
	v_add_co_u32_e32 v0, vcc, v0, v6
	v_addc_co_u32_e32 v1, vcc, v1, v7, vcc
	ds_write_b64 v0, v[0:1]
	v_mov_b32_e32 v0, v53
	v_mov_b32_e32 v1, v53
	ds_write_b64 v0, v[0:1]
.LBB6_12282:                            ;   in Loop: Header=BB6_12279 Depth=1
	s_or_b64 exec, exec, s[20:21]
	buffer_load_dword v0, off, s[0:3], s33 offset:76 ; 4-byte Folded Reload
	v_min_u32_e32 v15, v15, v14
	s_waitcnt vmcnt(0)
	v_and_b32_e32 v0, 8, v0
	v_cmp_ne_u32_e32 vcc, 0, v0
	s_and_saveexec_b64 s[22:23], vcc
	s_cbranch_execz .LBB6_12304
; %bb.12283:                            ;   in Loop: Header=BB6_12279 Depth=1
	buffer_load_dword v0, off, s[0:3], s33 offset:60 ; 4-byte Folded Reload
	buffer_load_dword v1, off, s[0:3], s33 offset:64 ; 4-byte Folded Reload
	;; [unrolled: 1-line block ×6, first 2 shown]
	s_waitcnt vmcnt(0)
	v_add_co_u32_e32 v0, vcc, 8, v0
	s_waitcnt vmcnt(4)
	v_addc_co_u32_e32 v1, vcc, 0, v1, vcc
	s_waitcnt vmcnt(1)
	v_add_co_u32_e32 v10, vcc, 1, v4
	s_waitcnt vmcnt(0)
	v_addc_co_u32_e32 v11, vcc, 0, v5, vcc
	v_cmp_lt_u64_e32 vcc, v[0:1], v[10:11]
	s_and_saveexec_b64 s[74:75], vcc
	s_cbranch_execz .LBB6_12295
; %bb.12284:                            ;   in Loop: Header=BB6_12279 Depth=1
	buffer_load_dword v0, off, s[0:3], s33 offset:76 ; 4-byte Folded Reload
	s_mov_b32 s52, 0
	s_mov_b64 s[76:77], 0
                                        ; implicit-def: $sgpr78_sgpr79
                                        ; implicit-def: $sgpr88_sgpr89
                                        ; implicit-def: $sgpr90_sgpr91
	s_waitcnt vmcnt(0)
	v_and_b32_e32 v0, 64, v0
	v_cmp_eq_u32_e32 vcc, 0, v0
	s_branch .LBB6_12287
.LBB6_12285:                            ;   in Loop: Header=BB6_12287 Depth=2
	s_or_b64 exec, exec, s[36:37]
	s_andn2_b64 s[20:21], s[90:91], exec
	s_and_b64 s[90:91], s[30:31], exec
	s_or_b64 s[90:91], s[20:21], s[90:91]
	s_andn2_b64 s[20:21], s[88:89], exec
	s_and_b64 s[88:89], s[94:95], exec
	s_or_b64 s[88:89], s[20:21], s[88:89]
.LBB6_12286:                            ;   in Loop: Header=BB6_12287 Depth=2
	s_or_b64 exec, exec, s[92:93]
	s_and_b64 s[20:21], exec, s[88:89]
	s_or_b64 s[76:77], s[20:21], s[76:77]
	s_andn2_b64 s[20:21], s[78:79], exec
	s_and_b64 s[78:79], s[90:91], exec
	s_or_b64 s[78:79], s[20:21], s[78:79]
	s_andn2_b64 exec, exec, s[76:77]
	s_cbranch_execz .LBB6_12292
.LBB6_12287:                            ;   Parent Loop BB6_12279 Depth=1
                                        ; =>  This Inner Loop Header: Depth=2
	s_sleep 1
	buffer_load_dword v0, off, s[0:3], s33 offset:68 ; 4-byte Folded Reload
	buffer_load_dword v1, off, s[0:3], s33 offset:72 ; 4-byte Folded Reload
	s_or_b64 s[90:91], s[90:91], exec
	s_or_b64 s[88:89], s[88:89], exec
	s_waitcnt vmcnt(0)
	flat_load_dwordx2 v[0:1], v[0:1] glc
	s_waitcnt vmcnt(0) lgkmcnt(0)
	buffer_store_dword v0, off, s[0:3], s33 offset:60 ; 4-byte Folded Spill
	s_nop 0
	buffer_store_dword v1, off, s[0:3], s33 offset:64 ; 4-byte Folded Spill
                                        ; implicit-def: $vgpr0
	s_and_saveexec_b64 s[92:93], vcc
	s_cbranch_execz .LBB6_12286
; %bb.12288:                            ;   in Loop: Header=BB6_12287 Depth=2
	s_cmpk_lt_i32 s52, 0x270f
	s_cselect_b64 s[34:35], -1, 0
	s_cmpk_gt_i32 s52, 0x270e
	s_mov_b64 s[94:95], -1
	s_cbranch_scc0 .LBB6_12290
; %bb.12289:                            ;   in Loop: Header=BB6_12287 Depth=2
	s_trap 2
	ds_read_b64 v[0:1], v0
	s_andn2_b64 s[34:35], s[34:35], exec
	s_mov_b32 s52, 0
	s_mov_b64 s[30:31], 0
	s_waitcnt vmcnt(0) lgkmcnt(0)
	flat_load_dword v0, v[0:1] glc
	s_waitcnt vmcnt(0) lgkmcnt(0)
	buffer_wbinvl1_vol
	v_cmp_eq_u32_e64 s[20:21], 0, v0
	s_and_b64 s[20:21], s[20:21], exec
	s_or_b64 s[34:35], s[34:35], s[20:21]
	s_and_saveexec_b64 s[36:37], s[34:35]
	s_cbranch_execz .LBB6_12285
	s_branch .LBB6_12291
.LBB6_12290:                            ;   in Loop: Header=BB6_12287 Depth=2
	s_add_i32 s52, s52, 1
	s_mov_b64 s[30:31], -1
                                        ; implicit-def: $vgpr0
	s_and_saveexec_b64 s[36:37], s[34:35]
	s_cbranch_execz .LBB6_12285
.LBB6_12291:                            ;   in Loop: Header=BB6_12287 Depth=2
	buffer_load_dword v1, off, s[0:3], s33 offset:60 ; 4-byte Folded Reload
	buffer_load_dword v2, off, s[0:3], s33 offset:64 ; 4-byte Folded Reload
	s_or_b64 s[30:31], s[30:31], exec
	s_waitcnt vmcnt(1)
	v_add_co_u32_e64 v1, s[20:21], 8, v1
	s_waitcnt vmcnt(0)
	v_addc_co_u32_e64 v2, s[20:21], 0, v2, s[20:21]
	v_cmp_ge_u64_e64 s[20:21], v[1:2], v[10:11]
	s_orn2_b64 s[94:95], s[20:21], exec
	s_branch .LBB6_12285
.LBB6_12292:                            ;   in Loop: Header=BB6_12279 Depth=1
	s_or_b64 exec, exec, s[76:77]
	s_xor_b64 s[20:21], s[78:79], -1
	s_and_saveexec_b64 s[76:77], s[20:21]
	s_xor_b64 s[20:21], exec, s[76:77]
	s_cbranch_execz .LBB6_12294
; %bb.12293:                            ;   in Loop: Header=BB6_12279 Depth=1
	ds_write_b32 v0, v0
	s_trap 2
	buffer_load_dword v0, off, s[0:3], s33 offset:76 ; 4-byte Folded Reload
	s_waitcnt vmcnt(0)
	v_or_b32_e32 v0, 64, v0
	buffer_store_dword v0, off, s[0:3], s33 offset:76 ; 4-byte Folded Spill
.LBB6_12294:                            ;   in Loop: Header=BB6_12279 Depth=1
	s_or_b64 exec, exec, s[20:21]
.LBB6_12295:                            ;   in Loop: Header=BB6_12279 Depth=1
	s_or_b64 exec, exec, s[74:75]
	;;#ASMSTART
	s_wakeup
	;;#ASMEND
	buffer_load_dword v0, off, s[0:3], s33 offset:76 ; 4-byte Folded Reload
	s_mov_b64 s[20:21], -1
                                        ; implicit-def: $vgpr8_vgpr9
	s_waitcnt vmcnt(0)
	v_and_b32_e32 v0, 0x100, v0
	v_cmp_ne_u32_e32 vcc, 0, v0
	buffer_load_dword v0, off, s[0:3], s33 offset:80 ; 4-byte Folded Reload
	buffer_load_dword v1, off, s[0:3], s33 offset:84 ; 4-byte Folded Reload
	;; [unrolled: 1-line block ×4, first 2 shown]
	s_waitcnt vmcnt(0)
	v_and_b32_e32 v0, 7, v2
	s_and_saveexec_b64 s[74:75], vcc
	s_cbranch_execz .LBB6_12299
; %bb.12296:                            ;   in Loop: Header=BB6_12279 Depth=1
	buffer_load_dword v1, off, s[0:3], s33 offset:80 ; 4-byte Folded Reload
	buffer_load_dword v2, off, s[0:3], s33 offset:84 ; 4-byte Folded Reload
	buffer_load_dword v3, off, s[0:3], s33 offset:88 ; 4-byte Folded Reload
	buffer_load_dword v4, off, s[0:3], s33 offset:92 ; 4-byte Folded Reload
	v_mov_b32_e32 v16, v53
                                        ; implicit-def: $vgpr8_vgpr9
	s_waitcnt vmcnt(0)
	v_mad_u64_u32 v[12:13], s[20:21], v0, 24, v[1:2]
	flat_load_dword v1, v[12:13]
	s_nop 0
	flat_store_dwordx2 v[12:13], v[15:16] offset:8
	s_waitcnt vmcnt(0) lgkmcnt(0)
	v_cmp_ne_u32_e32 vcc, 1, v1
	v_cmp_eq_u32_e64 s[20:21], 1, v1
	s_and_saveexec_b64 s[76:77], s[20:21]
	s_cbranch_execz .LBB6_12298
; %bb.12297:                            ;   in Loop: Header=BB6_12279 Depth=1
	flat_load_dword v8, v[12:13] offset:4 glc
	s_waitcnt vmcnt(0) lgkmcnt(0)
	v_ashrrev_i32_e32 v9, 31, v8
.LBB6_12298:                            ;   in Loop: Header=BB6_12279 Depth=1
	s_or_b64 exec, exec, s[76:77]
	s_orn2_b64 s[20:21], vcc, exec
.LBB6_12299:                            ;   in Loop: Header=BB6_12279 Depth=1
	s_or_b64 exec, exec, s[74:75]
	s_and_saveexec_b64 s[74:75], s[20:21]
	s_cbranch_execz .LBB6_12301
; %bb.12300:                            ;   in Loop: Header=BB6_12279 Depth=1
	buffer_load_dword v1, off, s[0:3], s33 offset:588 ; 4-byte Folded Reload
	s_waitcnt vmcnt(0)
	v_mad_i64_i32 v[8:9], s[20:21], v0, v1, 0
.LBB6_12301:                            ;   in Loop: Header=BB6_12279 Depth=1
	s_or_b64 exec, exec, s[74:75]
	buffer_load_dword v0, off, s[0:3], s33 offset:524 ; 4-byte Folded Reload
	buffer_load_dword v1, off, s[0:3], s33 offset:528 ; 4-byte Folded Reload
	s_waitcnt vmcnt(0)
	v_add_co_u32_e32 v0, vcc, v0, v8
	s_waitcnt vmcnt(0)
	v_addc_co_u32_e32 v1, vcc, v1, v9, vcc
	ds_write_b64 v0, v[0:1] offset:784
	buffer_load_dword v0, off, s[0:3], s33 offset:76 ; 4-byte Folded Reload
	s_waitcnt vmcnt(0)
	v_and_b32_e32 v0, 0x2000, v0
	v_cmp_ne_u32_e32 vcc, 0, v0
	s_and_saveexec_b64 s[20:21], vcc
	s_cbranch_execz .LBB6_12303
; %bb.12302:                            ;   in Loop: Header=BB6_12279 Depth=1
	ds_read_b64 v[0:1], v0 offset:872
	s_waitcnt lgkmcnt(0)
	v_add_co_u32_e32 v0, vcc, 1, v0
	v_addc_co_u32_e32 v1, vcc, 0, v1, vcc
	ds_write_b64 v0, v[0:1] offset:872
.LBB6_12303:                            ;   in Loop: Header=BB6_12279 Depth=1
	s_or_b64 exec, exec, s[20:21]
	buffer_load_dword v0, off, s[0:3], s33 offset:80 ; 4-byte Folded Reload
	buffer_load_dword v1, off, s[0:3], s33 offset:84 ; 4-byte Folded Reload
	;; [unrolled: 1-line block ×4, first 2 shown]
	s_waitcnt vmcnt(0)
	v_mov_b32_e32 v2, v10
	v_mov_b32_e32 v3, v11
	buffer_store_dword v0, off, s[0:3], s33 offset:80 ; 4-byte Folded Spill
	s_nop 0
	buffer_store_dword v1, off, s[0:3], s33 offset:84 ; 4-byte Folded Spill
	buffer_store_dword v2, off, s[0:3], s33 offset:88 ; 4-byte Folded Spill
	;; [unrolled: 1-line block ×3, first 2 shown]
.LBB6_12304:                            ;   in Loop: Header=BB6_12279 Depth=1
	s_or_b64 exec, exec, s[22:23]
	s_and_saveexec_b64 s[20:21], s[10:11]
	s_cbranch_execz .LBB6_12323
; %bb.12305:                            ;   in Loop: Header=BB6_12279 Depth=1
	s_and_saveexec_b64 s[22:23], s[40:41]
	s_xor_b64 s[22:23], exec, s[22:23]
	s_cbranch_execz .LBB6_12320
; %bb.12306:                            ;   in Loop: Header=BB6_12279 Depth=1
	s_and_saveexec_b64 s[74:75], s[12:13]
	s_cbranch_execz .LBB6_12319
; %bb.12307:                            ;   in Loop: Header=BB6_12279 Depth=1
	s_mov_b64 s[78:79], exec
	v_mbcnt_lo_u32_b32 v0, s78, 0
	v_mbcnt_hi_u32_b32 v0, s79, v0
	v_cmp_eq_u32_e32 vcc, 0, v0
	s_waitcnt vmcnt(0) lgkmcnt(0)
	buffer_wbinvl1_vol
	s_and_saveexec_b64 s[76:77], vcc
	s_cbranch_execz .LBB6_12309
; %bb.12308:                            ;   in Loop: Header=BB6_12279 Depth=1
	s_bcnt1_i32_b64 s78, s[78:79]
	v_mov_b32_e32 v0, s78
	v_mov_b32_e32 v1, v53
	ds_add_u64 v0, v[0:1]
	s_trap 2
.LBB6_12309:                            ;   in Loop: Header=BB6_12279 Depth=1
	s_or_b64 exec, exec, s[76:77]
	s_trap 2
	ds_read_b64 v[0:1], v0
	s_waitcnt lgkmcnt(0)
	buffer_load_dword v2, off, s[0:3], s33 offset:96 ; 4-byte Folded Reload
	buffer_load_dword v3, off, s[0:3], s33 offset:100 ; 4-byte Folded Reload
	s_waitcnt vmcnt(1)
	v_add_co_u32_e32 v2, vcc, v2, v47
	s_waitcnt vmcnt(0)
	v_addc_co_u32_e32 v3, vcc, 0, v3, vcc
	buffer_store_dword v2, off, s[0:3], s33 offset:96 ; 4-byte Folded Spill
	s_nop 0
	buffer_store_dword v3, off, s[0:3], s33 offset:100 ; 4-byte Folded Spill
	v_cmp_lt_u64_e32 vcc, v[0:1], v[2:3]
	s_and_saveexec_b64 s[76:77], vcc
	s_cbranch_execz .LBB6_12318
; %bb.12310:                            ;   in Loop: Header=BB6_12279 Depth=1
	s_mov_b32 s30, 0
	s_mov_b64 s[78:79], 0
                                        ; implicit-def: $sgpr88_sgpr89
                                        ; implicit-def: $sgpr90_sgpr91
	s_branch .LBB6_12312
.LBB6_12311:                            ;   in Loop: Header=BB6_12312 Depth=2
	s_or_b64 exec, exec, s[94:95]
	s_and_b64 s[92:93], exec, vcc
	s_or_b64 s[78:79], s[92:93], s[78:79]
	s_andn2_b64 s[88:89], s[88:89], exec
	s_and_b64 s[92:93], s[90:91], exec
	s_or_b64 s[88:89], s[88:89], s[92:93]
	s_andn2_b64 exec, exec, s[78:79]
	s_cbranch_execz .LBB6_12316
.LBB6_12312:                            ;   Parent Loop BB6_12279 Depth=1
                                        ; =>  This Inner Loop Header: Depth=2
	s_add_i32 s30, s30, 1
	s_cmpk_lg_i32 s30, 0x2710
	s_cselect_b64 s[92:93], -1, 0
	s_and_b64 vcc, exec, s[92:93]
	s_cbranch_vccz .LBB6_12314
; %bb.12313:                            ;   in Loop: Header=BB6_12312 Depth=2
	s_mov_b64 vcc, -1
	s_or_b64 s[90:91], s[90:91], exec
	s_and_saveexec_b64 s[94:95], s[92:93]
	s_cbranch_execz .LBB6_12311
	s_branch .LBB6_12315
.LBB6_12314:                            ;   in Loop: Header=BB6_12312 Depth=2
	s_trap 2
	ds_read_b64 v[0:1], v0
	s_andn2_b64 s[92:93], s[92:93], exec
	s_mov_b32 s30, 0
	s_waitcnt vmcnt(0) lgkmcnt(0)
	flat_load_dword v0, v[0:1] glc
	s_waitcnt vmcnt(0) lgkmcnt(0)
	buffer_wbinvl1_vol
	v_cmp_eq_u32_e32 vcc, 0, v0
	s_and_b64 s[94:95], vcc, exec
	s_or_b64 s[92:93], s[92:93], s[94:95]
	s_mov_b64 vcc, -1
	s_or_b64 s[90:91], s[90:91], exec
	s_and_saveexec_b64 s[94:95], s[92:93]
	s_cbranch_execz .LBB6_12311
.LBB6_12315:                            ;   in Loop: Header=BB6_12312 Depth=2
	s_sleep 1
	s_trap 2
	ds_read_b64 v[0:1], v0
	s_waitcnt lgkmcnt(0)
	buffer_load_dword v2, off, s[0:3], s33 offset:96 ; 4-byte Folded Reload
	buffer_load_dword v3, off, s[0:3], s33 offset:100 ; 4-byte Folded Reload
	s_andn2_b64 s[90:91], s[90:91], exec
	s_waitcnt vmcnt(0)
	v_cmp_ge_u64_e32 vcc, v[0:1], v[2:3]
	s_orn2_b64 vcc, vcc, exec
	s_branch .LBB6_12311
.LBB6_12316:                            ;   in Loop: Header=BB6_12279 Depth=1
	s_or_b64 exec, exec, s[78:79]
	s_and_saveexec_b64 s[78:79], s[88:89]
	s_xor_b64 s[78:79], exec, s[78:79]
	s_cbranch_execz .LBB6_12318
; %bb.12317:                            ;   in Loop: Header=BB6_12279 Depth=1
	v_mov_b32_e32 v0, 1
	ds_write_b32 v0, v0
	s_trap 2
.LBB6_12318:                            ;   in Loop: Header=BB6_12279 Depth=1
	s_or_b64 exec, exec, s[76:77]
	;;#ASMSTART
	s_wakeup
	;;#ASMEND
.LBB6_12319:                            ;   in Loop: Header=BB6_12279 Depth=1
	s_or_b64 exec, exec, s[74:75]
.LBB6_12320:                            ;   in Loop: Header=BB6_12279 Depth=1
	s_andn2_saveexec_b64 s[22:23], s[22:23]
	s_cbranch_execz .LBB6_12322
; %bb.12321:                            ;   in Loop: Header=BB6_12279 Depth=1
	s_waitcnt vmcnt(0) lgkmcnt(0)
	buffer_wbinvl1_vol
	s_barrier
.LBB6_12322:                            ;   in Loop: Header=BB6_12279 Depth=1
	s_or_b64 exec, exec, s[22:23]
.LBB6_12323:                            ;   in Loop: Header=BB6_12279 Depth=1
	s_or_b64 exec, exec, s[20:21]
	s_trap 2
	buffer_load_dword v1, off, s[0:3], s33 offset:76 ; 4-byte Folded Reload
	ds_read_b32 v0, v0
	s_waitcnt vmcnt(0)
	v_and_b32_e32 v1, 0x4000, v1
	v_cmp_ne_u32_e32 vcc, 0, v1
	s_and_b64 s[22:23], s[44:45], vcc
	s_and_saveexec_b64 s[20:21], s[22:23]
	s_cbranch_execz .LBB6_12342
; %bb.12324:                            ;   in Loop: Header=BB6_12279 Depth=1
	s_and_saveexec_b64 s[22:23], s[40:41]
	s_xor_b64 s[22:23], exec, s[22:23]
	s_cbranch_execz .LBB6_12339
; %bb.12325:                            ;   in Loop: Header=BB6_12279 Depth=1
	s_and_saveexec_b64 s[74:75], s[12:13]
	s_cbranch_execz .LBB6_12338
; %bb.12326:                            ;   in Loop: Header=BB6_12279 Depth=1
	s_mov_b64 s[78:79], exec
	v_mbcnt_lo_u32_b32 v1, s78, 0
	v_mbcnt_hi_u32_b32 v1, s79, v1
	v_cmp_eq_u32_e32 vcc, 0, v1
	s_waitcnt lgkmcnt(0)
	buffer_wbinvl1_vol
	s_and_saveexec_b64 s[76:77], vcc
	s_cbranch_execz .LBB6_12328
; %bb.12327:                            ;   in Loop: Header=BB6_12279 Depth=1
	s_bcnt1_i32_b64 s78, s[78:79]
	v_mov_b32_e32 v1, s78
	v_mov_b32_e32 v2, v53
	ds_add_u64 v0, v[1:2]
	s_trap 2
.LBB6_12328:                            ;   in Loop: Header=BB6_12279 Depth=1
	s_or_b64 exec, exec, s[76:77]
	s_trap 2
	ds_read_b64 v[1:2], v0
	s_waitcnt lgkmcnt(0)
	buffer_load_dword v3, off, s[0:3], s33 offset:96 ; 4-byte Folded Reload
	buffer_load_dword v4, off, s[0:3], s33 offset:100 ; 4-byte Folded Reload
	s_waitcnt vmcnt(1)
	v_add_co_u32_e32 v3, vcc, v3, v47
	s_waitcnt vmcnt(0)
	v_addc_co_u32_e32 v4, vcc, 0, v4, vcc
	buffer_store_dword v3, off, s[0:3], s33 offset:96 ; 4-byte Folded Spill
	s_nop 0
	buffer_store_dword v4, off, s[0:3], s33 offset:100 ; 4-byte Folded Spill
	v_cmp_lt_u64_e32 vcc, v[1:2], v[3:4]
	s_and_saveexec_b64 s[76:77], vcc
	s_cbranch_execz .LBB6_12337
; %bb.12329:                            ;   in Loop: Header=BB6_12279 Depth=1
	s_mov_b32 s30, 0
	s_mov_b64 s[78:79], 0
                                        ; implicit-def: $sgpr88_sgpr89
                                        ; implicit-def: $sgpr90_sgpr91
	s_branch .LBB6_12331
.LBB6_12330:                            ;   in Loop: Header=BB6_12331 Depth=2
	s_or_b64 exec, exec, s[94:95]
	s_and_b64 s[92:93], exec, vcc
	s_or_b64 s[78:79], s[92:93], s[78:79]
	s_andn2_b64 s[88:89], s[88:89], exec
	s_and_b64 s[92:93], s[90:91], exec
	s_or_b64 s[88:89], s[88:89], s[92:93]
	s_andn2_b64 exec, exec, s[78:79]
	s_cbranch_execz .LBB6_12335
.LBB6_12331:                            ;   Parent Loop BB6_12279 Depth=1
                                        ; =>  This Inner Loop Header: Depth=2
	s_add_i32 s30, s30, 1
	s_cmpk_lg_i32 s30, 0x2710
	s_cselect_b64 s[92:93], -1, 0
	s_and_b64 vcc, exec, s[92:93]
	s_cbranch_vccz .LBB6_12333
; %bb.12332:                            ;   in Loop: Header=BB6_12331 Depth=2
	s_mov_b64 vcc, -1
	s_or_b64 s[90:91], s[90:91], exec
	s_and_saveexec_b64 s[94:95], s[92:93]
	s_cbranch_execz .LBB6_12330
	s_branch .LBB6_12334
.LBB6_12333:                            ;   in Loop: Header=BB6_12331 Depth=2
	s_trap 2
	ds_read_b64 v[1:2], v0
	s_andn2_b64 s[92:93], s[92:93], exec
	s_mov_b32 s30, 0
	s_waitcnt vmcnt(0) lgkmcnt(0)
	flat_load_dword v1, v[1:2] glc
	s_waitcnt vmcnt(0) lgkmcnt(0)
	buffer_wbinvl1_vol
	v_cmp_eq_u32_e32 vcc, 0, v1
	s_and_b64 s[94:95], vcc, exec
	s_or_b64 s[92:93], s[92:93], s[94:95]
	s_mov_b64 vcc, -1
	s_or_b64 s[90:91], s[90:91], exec
	s_and_saveexec_b64 s[94:95], s[92:93]
	s_cbranch_execz .LBB6_12330
.LBB6_12334:                            ;   in Loop: Header=BB6_12331 Depth=2
	s_sleep 1
	s_trap 2
	ds_read_b64 v[1:2], v0
	s_waitcnt lgkmcnt(0)
	buffer_load_dword v3, off, s[0:3], s33 offset:96 ; 4-byte Folded Reload
	buffer_load_dword v4, off, s[0:3], s33 offset:100 ; 4-byte Folded Reload
	s_andn2_b64 s[90:91], s[90:91], exec
	s_waitcnt vmcnt(0)
	v_cmp_ge_u64_e32 vcc, v[1:2], v[3:4]
	s_orn2_b64 vcc, vcc, exec
	s_branch .LBB6_12330
.LBB6_12335:                            ;   in Loop: Header=BB6_12279 Depth=1
	s_or_b64 exec, exec, s[78:79]
	s_and_saveexec_b64 s[78:79], s[88:89]
	s_xor_b64 s[78:79], exec, s[78:79]
	s_cbranch_execz .LBB6_12337
; %bb.12336:                            ;   in Loop: Header=BB6_12279 Depth=1
	v_mov_b32_e32 v1, 1
	ds_write_b32 v0, v1
	s_trap 2
.LBB6_12337:                            ;   in Loop: Header=BB6_12279 Depth=1
	s_or_b64 exec, exec, s[76:77]
	;;#ASMSTART
	s_wakeup
	;;#ASMEND
.LBB6_12338:                            ;   in Loop: Header=BB6_12279 Depth=1
	s_or_b64 exec, exec, s[74:75]
.LBB6_12339:                            ;   in Loop: Header=BB6_12279 Depth=1
	s_andn2_saveexec_b64 s[22:23], s[22:23]
	s_cbranch_execz .LBB6_12341
; %bb.12340:                            ;   in Loop: Header=BB6_12279 Depth=1
	s_waitcnt vmcnt(0) lgkmcnt(0)
	buffer_wbinvl1_vol
	s_barrier
.LBB6_12341:                            ;   in Loop: Header=BB6_12279 Depth=1
	s_or_b64 exec, exec, s[22:23]
.LBB6_12342:                            ;   in Loop: Header=BB6_12279 Depth=1
	s_or_b64 exec, exec, s[20:21]
	s_trap 2
	s_waitcnt lgkmcnt(0)
	ds_read_b64 v[42:43], v0
	s_waitcnt lgkmcnt(0)
	v_cmp_eq_u64_e32 vcc, 0, v[42:43]
	s_cbranch_vccnz .LBB6_12350
; %bb.12343:                            ;   in Loop: Header=BB6_12279 Depth=1
	buffer_store_dword v15, off, s[0:3], s33 offset:536 ; 4-byte Folded Spill
	s_nop 0
	buffer_store_dword v16, off, s[0:3], s33 offset:540 ; 4-byte Folded Spill
	buffer_store_dword v14, off, s[0:3], s33 offset:568 ; 4-byte Folded Spill
	s_nop 0
	buffer_store_dword v15, off, s[0:3], s33 offset:572 ; 4-byte Folded Spill
	;; [unrolled: 3-line block ×3, first 2 shown]
	s_trap 2
	ds_read_b64 v[58:59], v0
	s_waitcnt lgkmcnt(0)
	v_cmp_eq_u64_e32 vcc, 0, v[58:59]
	s_cbranch_vccnz .LBB6_12351
; %bb.12344:                            ;   in Loop: Header=BB6_12279 Depth=1
	s_mov_b64 s[22:23], -1
	s_and_saveexec_b64 s[20:21], s[14:15]
	s_cbranch_execz .LBB6_12346
; %bb.12345:                            ;   in Loop: Header=BB6_12279 Depth=1
	ds_read_b32 v1, v0 offset:720
	s_waitcnt lgkmcnt(0)
	v_and_b32_e32 v1, 15, v1
	v_cmp_eq_u32_e32 vcc, 0, v1
	s_orn2_b64 s[22:23], vcc, exec
.LBB6_12346:                            ;   in Loop: Header=BB6_12279 Depth=1
	s_or_b64 exec, exec, s[20:21]
	s_and_saveexec_b64 s[20:21], s[16:17]
	s_cbranch_execz .LBB6_12348
; %bb.12347:                            ;   in Loop: Header=BB6_12279 Depth=1
	ds_read_b32 v1, v0 offset:784
	s_waitcnt lgkmcnt(0)
	v_and_b32_e32 v1, 15, v1
	v_cmp_eq_u32_e32 vcc, 0, v1
	s_and_b64 s[74:75], s[22:23], vcc
	s_andn2_b64 s[22:23], s[22:23], exec
	s_and_b64 s[74:75], s[74:75], exec
	s_or_b64 s[22:23], s[22:23], s[74:75]
.LBB6_12348:                            ;   in Loop: Header=BB6_12279 Depth=1
	s_or_b64 exec, exec, s[20:21]
	v_cmp_eq_u32_e32 vcc, 0, v0
	buffer_load_dword v0, off, s[0:3], s33 offset:536 ; 4-byte Folded Reload
	buffer_load_dword v1, off, s[0:3], s33 offset:540 ; 4-byte Folded Reload
	;; [unrolled: 1-line block ×3, first 2 shown]
	s_xor_b64 s[22:23], s[22:23], -1
	s_mov_b64 s[20:21], -1
	s_waitcnt vmcnt(1)
	v_cndmask_b32_e32 v1, 0, v0, vcc
	v_cndmask_b32_e64 v0, 0, 1, s[22:23]
	v_cmp_ne_u32_e32 vcc, 0, v0
	v_mov_b32_e32 v0, 0
	buffer_store_dword v1, off, s[0:3], s33 offset:584 ; 4-byte Folded Spill
	s_cbranch_vccz .LBB6_12352
; %bb.12349:                            ;   in Loop: Header=BB6_12279 Depth=1
	s_and_saveexec_b64 s[22:23], s[20:21]
	s_cbranch_execnz .LBB6_15547
	s_branch .LBB6_16423
.LBB6_12350:                            ;   in Loop: Header=BB6_12279 Depth=1
	s_mov_b64 s[20:21], 0
	s_and_saveexec_b64 s[22:23], s[10:11]
	s_cbranch_execnz .LBB6_16425
	s_branch .LBB6_16443
.LBB6_12351:                            ;   in Loop: Header=BB6_12279 Depth=1
	s_mov_b64 s[20:21], 0
	s_branch .LBB6_16424
.LBB6_12352:                            ;   in Loop: Header=BB6_12279 Depth=1
	buffer_load_dword v0, off, s[0:3], s33 offset:584 ; 4-byte Folded Reload
	buffer_load_dword v1, off, s[0:3], s33 offset:616 ; 4-byte Folded Reload
	s_waitcnt vmcnt(1)
	v_lshrrev_b32_e32 v0, 13, v0
	s_waitcnt vmcnt(0)
	v_sub_u32_e32 v3, v0, v1
	v_cmp_lt_i32_e32 vcc, 0, v3
	s_and_saveexec_b64 s[22:23], vcc
	s_cbranch_execz .LBB6_15180
; %bb.12353:                            ;   in Loop: Header=BB6_12279 Depth=1
	s_trap 2
	ds_read_b64 v[0:1], v0
	v_mov_b32_e32 v50, v58
	v_mov_b32_e32 v8, v42
	;; [unrolled: 1-line block ×4, first 2 shown]
	s_waitcnt lgkmcnt(0)
	v_readfirstlane_b32 s20, v0
	s_and_b32 s21, s20, 7
	s_flbit_i32_b32 s21, s21
	s_min_u32 s21, s21, 32
	s_and_b32 s74, s20, 0x7f
	s_bfe_u32 s75, s20, 0x40003
	s_sub_i32 s76, s21, 28
	s_sub_i32 s21, 29, s21
	s_cmp_lt_u32 s74, 8
	s_cselect_b32 s76, s76, 0
	s_cselect_b32 s21, s21, s75
	v_lshlrev_b64 v[0:1], s76, v[0:1]
	s_lshl_b32 s75, s20, 24
	s_lshl_b32 s21, s21, 23
	s_and_b32 s75, s75, 0x80000000
	s_add_i32 s21, s21, 0x3c000000
	v_lshlrev_b32_e32 v0, 20, v0
	s_or_b32 s21, s75, s21
	v_and_b32_e32 v0, 0x700000, v0
	s_cmpk_lg_i32 s74, 0x7f
	v_or_b32_e32 v0, s21, v0
	s_cselect_b64 vcc, -1, 0
	v_mov_b32_e32 v1, 0x7f800001
	v_cndmask_b32_e32 v0, v1, v0, vcc
	s_mov_b64 s[74:75], 0
	s_and_b32 s92, s20, 0xff
	buffer_store_dword v0, off, s[0:3], s33 offset:576 ; 4-byte Folded Spill
	s_branch .LBB6_12355
.LBB6_12354:                            ;   in Loop: Header=BB6_12355 Depth=2
	s_or_b64 exec, exec, s[20:21]
	v_lshl_or_b32 v10, v20, 8, v35
	v_lshl_or_b32 v1, v1, 8, v2
	v_lshlrev_b32_e32 v2, 16, v18
	v_lshlrev_b32_e32 v11, 24, v21
	;; [unrolled: 1-line block ×4, first 2 shown]
	v_or3_b32 v11, v10, v2, v11
	v_or3_b32 v10, v1, v12, v13
	v_lshl_or_b32 v1, v29, 8, v27
	v_lshlrev_b32_e32 v2, 16, v62
	v_lshlrev_b32_e32 v12, 24, v60
	v_or3_b32 v12, v1, v2, v12
	v_lshl_or_b32 v1, v28, 8, v26
	v_lshlrev_b32_e32 v2, 24, v48
	v_lshlrev_b32_e32 v13, 16, v17
	v_or3_b32 v13, v1, v13, v2
	buffer_load_dword v1, off, s[0:3], s33 offset:468 ; 4-byte Folded Reload
	buffer_load_dword v2, off, s[0:3], s33 offset:472 ; 4-byte Folded Reload
	v_lshl_or_b32 v0, v0, 8, v37
	s_waitcnt vmcnt(0)
	v_lshl_or_b32 v1, v2, 8, v1
	buffer_load_dword v2, off, s[0:3], s33 offset:452 ; 4-byte Folded Reload
	buffer_load_dword v14, off, s[0:3], s33 offset:456 ; 4-byte Folded Reload
	;; [unrolled: 1-line block ×5, first 2 shown]
	s_waitcnt vmcnt(3)
	v_lshl_or_b32 v2, v14, 8, v2
	buffer_load_dword v14, off, s[0:3], s33 offset:476 ; 4-byte Folded Reload
	s_waitcnt vmcnt(3)
	v_lshlrev_b32_e32 v16, 16, v16
	s_waitcnt vmcnt(2)
	v_lshlrev_b32_e32 v15, 24, v15
	;; [unrolled: 2-line block ×4, first 2 shown]
	v_or3_b32 v15, v1, v14, v15
	v_or3_b32 v14, v2, v16, v17
	v_lshl_or_b32 v1, v24, 8, v22
	v_lshlrev_b32_e32 v2, 16, v25
	v_lshlrev_b32_e32 v16, 24, v39
	v_or3_b32 v16, v1, v2, v16
	v_lshl_or_b32 v1, v55, 8, v54
	v_lshlrev_b32_e32 v2, 24, v44
	v_lshlrev_b32_e32 v17, 16, v56
	v_or3_b32 v17, v1, v17, v2
	buffer_load_dword v1, off, s[0:3], s33 offset:404 ; 4-byte Folded Reload
	buffer_load_dword v2, off, s[0:3], s33 offset:408 ; 4-byte Folded Reload
	s_waitcnt vmcnt(0)
	v_lshl_or_b32 v1, v2, 8, v1
	buffer_load_dword v2, off, s[0:3], s33 offset:376 ; 4-byte Folded Reload
	buffer_load_dword v18, off, s[0:3], s33 offset:384 ; 4-byte Folded Reload
	buffer_load_dword v20, off, s[0:3], s33 offset:392 ; 4-byte Folded Reload
	buffer_load_dword v19, off, s[0:3], s33 offset:416 ; 4-byte Folded Reload
	buffer_load_dword v21, off, s[0:3], s33 offset:400 ; 4-byte Folded Reload
	s_waitcnt vmcnt(3)
	v_lshl_or_b32 v2, v18, 8, v2
	buffer_load_dword v18, off, s[0:3], s33 offset:412 ; 4-byte Folded Reload
	s_waitcnt vmcnt(3)
	v_lshlrev_b32_e32 v20, 16, v20
	s_waitcnt vmcnt(2)
	v_lshlrev_b32_e32 v19, 24, v19
	s_waitcnt vmcnt(1)
	v_lshlrev_b32_e32 v21, 24, v21
	s_waitcnt vmcnt(0)
	v_lshlrev_b32_e32 v18, 16, v18
	v_or3_b32 v19, v1, v18, v19
	v_or3_b32 v18, v2, v20, v21
	buffer_load_dword v1, off, s[0:3], s33 offset:420 ; 4-byte Folded Reload
	buffer_load_dword v2, off, s[0:3], s33 offset:424 ; 4-byte Folded Reload
	buffer_load_dword v20, off, s[0:3], s33 offset:432 ; 4-byte Folded Reload
	s_waitcnt vmcnt(1)
	v_lshl_or_b32 v1, v2, 8, v1
	buffer_load_dword v2, off, s[0:3], s33 offset:428 ; 4-byte Folded Reload
	s_waitcnt vmcnt(1)
	v_lshlrev_b32_e32 v20, 24, v20
	s_waitcnt vmcnt(0)
	v_lshlrev_b32_e32 v2, 16, v2
	v_or3_b32 v20, v1, v2, v20
	buffer_load_dword v1, off, s[0:3], s33 offset:436 ; 4-byte Folded Reload
	buffer_load_dword v2, off, s[0:3], s33 offset:440 ; 4-byte Folded Reload
	buffer_load_dword v21, off, s[0:3], s33 offset:444 ; 4-byte Folded Reload
	s_waitcnt vmcnt(1)
	v_lshl_or_b32 v1, v2, 8, v1
	buffer_load_dword v2, off, s[0:3], s33 offset:448 ; 4-byte Folded Reload
	s_waitcnt vmcnt(1)
	v_lshlrev_b32_e32 v21, 16, v21
	s_waitcnt vmcnt(0)
	v_lshlrev_b32_e32 v2, 24, v2
	v_or3_b32 v21, v1, v21, v2
	buffer_load_dword v1, off, s[0:3], s33 offset:308 ; 4-byte Folded Reload
	buffer_load_dword v2, off, s[0:3], s33 offset:312 ; 4-byte Folded Reload
	s_waitcnt vmcnt(0)
	v_lshl_or_b32 v1, v2, 8, v1
	buffer_load_dword v2, off, s[0:3], s33 offset:292 ; 4-byte Folded Reload
	buffer_load_dword v22, off, s[0:3], s33 offset:296 ; 4-byte Folded Reload
	buffer_load_dword v24, off, s[0:3], s33 offset:300 ; 4-byte Folded Reload
	buffer_load_dword v23, off, s[0:3], s33 offset:324 ; 4-byte Folded Reload
	buffer_load_dword v25, off, s[0:3], s33 offset:304 ; 4-byte Folded Reload
	s_waitcnt vmcnt(3)
	v_lshl_or_b32 v2, v22, 8, v2
	buffer_load_dword v22, off, s[0:3], s33 offset:316 ; 4-byte Folded Reload
	s_waitcnt vmcnt(3)
	v_lshlrev_b32_e32 v24, 16, v24
	s_waitcnt vmcnt(2)
	v_lshlrev_b32_e32 v23, 24, v23
	s_waitcnt vmcnt(1)
	v_lshlrev_b32_e32 v25, 24, v25
	s_waitcnt vmcnt(0)
	v_lshlrev_b32_e32 v22, 16, v22
	v_or3_b32 v23, v1, v22, v23
	v_or3_b32 v22, v2, v24, v25
	buffer_load_dword v1, off, s[0:3], s33 offset:332 ; 4-byte Folded Reload
	buffer_load_dword v2, off, s[0:3], s33 offset:336 ; 4-byte Folded Reload
	buffer_load_dword v24, off, s[0:3], s33 offset:344 ; 4-byte Folded Reload
	s_waitcnt vmcnt(1)
	v_lshl_or_b32 v1, v2, 8, v1
	buffer_load_dword v2, off, s[0:3], s33 offset:340 ; 4-byte Folded Reload
	s_waitcnt vmcnt(1)
	v_lshlrev_b32_e32 v24, 24, v24
	s_waitcnt vmcnt(0)
	v_lshlrev_b32_e32 v2, 16, v2
	v_or3_b32 v24, v1, v2, v24
	buffer_load_dword v1, off, s[0:3], s33 offset:348 ; 4-byte Folded Reload
	buffer_load_dword v2, off, s[0:3], s33 offset:352 ; 4-byte Folded Reload
	buffer_load_dword v25, off, s[0:3], s33 offset:360 ; 4-byte Folded Reload
	s_waitcnt vmcnt(1)
	v_lshl_or_b32 v1, v2, 8, v1
	buffer_load_dword v2, off, s[0:3], s33 offset:368 ; 4-byte Folded Reload
	s_waitcnt vmcnt(1)
	v_lshlrev_b32_e32 v25, 16, v25
	s_waitcnt vmcnt(0)
	;; [unrolled: 44-line block ×3, first 2 shown]
	v_lshlrev_b32_e32 v2, 24, v2
	v_or3_b32 v29, v1, v29, v2
	buffer_load_dword v1, off, s[0:3], s33 offset:180 ; 4-byte Folded Reload
	buffer_load_dword v2, off, s[0:3], s33 offset:184 ; 4-byte Folded Reload
	s_waitcnt vmcnt(0)
	v_lshl_or_b32 v1, v2, 8, v1
	buffer_load_dword v2, off, s[0:3], s33 offset:160 ; 4-byte Folded Reload
	buffer_load_dword v31, off, s[0:3], s33 offset:164 ; 4-byte Folded Reload
	;; [unrolled: 1-line block ×5, first 2 shown]
	s_waitcnt vmcnt(3)
	v_lshl_or_b32 v2, v31, 8, v2
	buffer_load_dword v31, off, s[0:3], s33 offset:188 ; 4-byte Folded Reload
	s_waitcnt vmcnt(3)
	v_lshlrev_b32_e32 v35, 16, v35
	s_waitcnt vmcnt(2)
	v_lshlrev_b32_e32 v34, 24, v34
	;; [unrolled: 2-line block ×3, first 2 shown]
	v_or3_b32 v54, v2, v35, v39
	s_waitcnt vmcnt(0)
	v_lshlrev_b32_e32 v31, 16, v31
	v_or3_b32 v55, v1, v31, v34
	buffer_load_dword v1, off, s[0:3], s33 offset:196 ; 4-byte Folded Reload
	buffer_load_dword v2, off, s[0:3], s33 offset:200 ; 4-byte Folded Reload
	;; [unrolled: 1-line block ×3, first 2 shown]
	s_waitcnt vmcnt(1)
	v_lshl_or_b32 v1, v2, 8, v1
	buffer_load_dword v2, off, s[0:3], s33 offset:204 ; 4-byte Folded Reload
	s_waitcnt vmcnt(1)
	v_lshlrev_b32_e32 v31, 24, v31
	s_waitcnt vmcnt(0)
	v_lshlrev_b32_e32 v2, 16, v2
	v_or3_b32 v56, v1, v2, v31
	buffer_load_dword v1, off, s[0:3], s33 offset:212 ; 4-byte Folded Reload
	buffer_load_dword v2, off, s[0:3], s33 offset:216 ; 4-byte Folded Reload
	;; [unrolled: 1-line block ×3, first 2 shown]
	s_waitcnt vmcnt(1)
	v_lshl_or_b32 v1, v2, 8, v1
	buffer_load_dword v2, off, s[0:3], s33 offset:224 ; 4-byte Folded Reload
	s_waitcnt vmcnt(1)
	v_lshlrev_b32_e32 v31, 16, v31
	s_waitcnt vmcnt(0)
	v_lshlrev_b32_e32 v2, 24, v2
	v_or3_b32 v57, v1, v31, v2
	buffer_load_dword v1, off, s[0:3], s33 offset:112 ; 4-byte Folded Reload
	buffer_load_dword v2, off, s[0:3], s33 offset:116 ; 4-byte Folded Reload
	;; [unrolled: 1-line block ×6, first 2 shown]
	s_waitcnt vmcnt(4)
	v_lshl_or_b32 v1, v2, 8, v1
	v_lshl_or_b32 v2, v46, 8, v45
	s_waitcnt vmcnt(3)
	v_lshlrev_b32_e32 v31, 16, v31
	s_waitcnt vmcnt(2)
	v_lshlrev_b32_e32 v34, 24, v34
	;; [unrolled: 2-line block ×4, first 2 shown]
	v_or3_b32 v45, v1, v31, v34
	v_or3_b32 v44, v2, v35, v39
	buffer_load_dword v1, off, s[0:3], s33 offset:128 ; 4-byte Folded Reload
	buffer_load_dword v2, off, s[0:3], s33 offset:132 ; 4-byte Folded Reload
	;; [unrolled: 1-line block ×3, first 2 shown]
	s_waitcnt vmcnt(1)
	v_lshl_or_b32 v1, v2, 8, v1
	buffer_load_dword v2, off, s[0:3], s33 offset:136 ; 4-byte Folded Reload
	s_waitcnt vmcnt(1)
	v_lshlrev_b32_e32 v31, 24, v31
	s_waitcnt vmcnt(0)
	v_lshlrev_b32_e32 v2, 16, v2
	v_or3_b32 v46, v1, v2, v31
	buffer_load_dword v1, off, s[0:3], s33 offset:156 ; 4-byte Folded Reload
	buffer_load_dword v2, off, s[0:3], s33 offset:152 ; 4-byte Folded Reload
	;; [unrolled: 1-line block ×4, first 2 shown]
	s_waitcnt vmcnt(3)
	v_lshlrev_b32_e32 v1, 24, v1
	s_waitcnt vmcnt(2)
	v_lshlrev_b32_e32 v2, 16, v2
	s_waitcnt vmcnt(0)
	v_lshl_or_b32 v31, v34, 8, v31
	v_or3_b32 v47, v31, v2, v1
	buffer_load_dword v1, off, s[0:3], s33 offset:484 ; 4-byte Folded Reload
	v_lshlrev_b32_e32 v2, 24, v3
	v_lshlrev_b32_e32 v3, 24, v36
	s_waitcnt vmcnt(0)
	v_add_co_u32_e32 v34, vcc, v1, v50
	v_lshlrev_b32_e32 v1, 16, v30
	v_or3_b32 v1, v0, v1, v2
	v_lshl_or_b32 v0, v4, 8, v49
	v_lshlrev_b32_e32 v2, 16, v5
	v_or3_b32 v0, v0, v2, v3
	v_lshl_or_b32 v2, v40, 8, v6
	v_lshlrev_b32_e32 v3, 16, v7
	v_lshlrev_b32_e32 v4, 24, v32
	v_addc_co_u32_e32 v35, vcc, 0, v51, vcc
	v_or3_b32 v2, v2, v3, v4
	v_lshlrev_b32_e32 v3, 24, v52
	v_lshlrev_b32_e32 v4, 16, v38
	v_lshl_or_b32 v5, v33, 8, v61
	v_or3_b32 v3, v5, v4, v3
	v_add_co_u32_e32 v4, vcc, s50, v34
	v_addc_co_u32_e32 v5, vcc, 0, v35, vcc
	global_store_dwordx4 v[34:35], v[44:47], off glc slc
	global_store_dwordx4 v[34:35], v[54:57], off offset:1024 glc slc
	global_store_dwordx4 v[34:35], v[26:29], off offset:2048 glc slc
	;; [unrolled: 1-line block ×3, first 2 shown]
	global_store_dwordx4 v[4:5], v[18:21], off glc slc
	global_store_dwordx4 v[4:5], v[14:17], off offset:1024 glc slc
	global_store_dwordx4 v[4:5], v[10:13], off offset:2048 glc slc
	;; [unrolled: 1-line block ×3, first 2 shown]
	buffer_load_dword v3, off, s[0:3], s33 offset:488 ; 4-byte Folded Reload
	v_mov_b32_e32 v47, v41
	buffer_load_dword v0, off, s[0:3], s33 offset:520 ; 4-byte Folded Reload
	s_waitcnt vmcnt(1)
	v_sub_u32_e32 v3, v3, v47
	s_waitcnt vmcnt(0)
	v_add_co_u32_e32 v8, vcc, v8, v0
	v_addc_co_u32_e32 v9, vcc, 0, v9, vcc
	v_cmp_gt_i32_e32 vcc, 1, v3
	s_or_b64 s[74:75], vcc, s[74:75]
	v_add_co_u32_e32 v50, vcc, v50, v0
	v_addc_co_u32_e32 v51, vcc, 0, v51, vcc
	s_andn2_b64 exec, exec, s[74:75]
	s_cbranch_execz .LBB6_15179
.LBB6_12355:                            ;   Parent Loop BB6_12279 Depth=1
                                        ; =>  This Inner Loop Header: Depth=2
	s_cmpk_lt_i32 s92, 0x80
	s_cbranch_scc1 .LBB6_12359
; %bb.12356:                            ;   in Loop: Header=BB6_12355 Depth=2
	s_and_b32 s20, 0xffff, s92
	s_cmpk_eq_i32 s20, 0x80
	s_mov_b64 s[20:21], -1
	s_cbranch_scc0 .LBB6_12358
; %bb.12357:                            ;   in Loop: Header=BB6_12355 Depth=2
	s_mov_b64 s[20:21], 0
.LBB6_12358:                            ;   in Loop: Header=BB6_12355 Depth=2
	s_brev_b32 s78, 1
	s_branch .LBB6_12361
.LBB6_12359:                            ;   in Loop: Header=BB6_12355 Depth=2
	s_mov_b64 s[20:21], 0
	s_brev_b32 s78, 1
	s_cbranch_execz .LBB6_12361
; %bb.12360:                            ;   in Loop: Header=BB6_12355 Depth=2
	s_and_b32 s20, 0xffff, s92
	s_cmp_lg_u32 s20, 0
	s_mov_b32 s78, 0
	s_cselect_b64 s[20:21], -1, 0
.LBB6_12361:                            ;   in Loop: Header=BB6_12355 Depth=2
	s_andn2_b64 vcc, exec, s[20:21]
	v_mov_b32_e32 v19, s78
	buffer_store_dword v3, off, s[0:3], s33 offset:488 ; 4-byte Folded Spill
	s_cbranch_vccnz .LBB6_12363
; %bb.12362:                            ;   in Loop: Header=BB6_12355 Depth=2
	buffer_load_dword v19, off, s[0:3], s33 offset:576 ; 4-byte Folded Reload
.LBB6_12363:                            ;   in Loop: Header=BB6_12355 Depth=2
	buffer_load_dword v0, off, s[0:3], s33 offset:484 ; 4-byte Folded Reload
	s_waitcnt vmcnt(0)
	v_add_co_u32_e32 v14, vcc, v0, v8
	v_addc_co_u32_e32 v15, vcc, 0, v9, vcc
	global_load_dwordx4 v[10:13], v[14:15], off glc slc
	v_mov_b32_e32 v0, 0
	s_waitcnt vmcnt(0)
	v_cmp_ne_u16_sdwa s[76:77], v10, v53 src0_sel:BYTE_0 src1_sel:DWORD
	s_and_saveexec_b64 s[20:21], s[76:77]
	s_cbranch_execz .LBB6_12369
; %bb.12364:                            ;   in Loop: Header=BB6_12355 Depth=2
	v_cmp_ne_u16_sdwa s[78:79], v10, s48 src0_sel:BYTE_0 src1_sel:DWORD
	v_bfrev_b32_e32 v0, 1
	s_and_saveexec_b64 s[76:77], s[78:79]
	s_cbranch_execz .LBB6_12368
; %bb.12365:                            ;   in Loop: Header=BB6_12355 Depth=2
	v_and_b32_e32 v1, 0x7f, v10
	v_cmp_ne_u32_e32 vcc, s39, v1
	v_mov_b32_e32 v0, 0x7f800001
	s_and_saveexec_b64 s[78:79], vcc
	s_cbranch_execz .LBB6_12367
; %bb.12366:                            ;   in Loop: Header=BB6_12355 Depth=2
	v_and_b32_e32 v0, 7, v10
	v_ffbh_u32_e32 v0, v0
	v_min_u32_e32 v0, 32, v0
	v_lshrrev_b32_e32 v2, 3, v1
	v_cmp_gt_u32_e32 vcc, 8, v1
	v_subrev_u32_e32 v1, 28, v0
	v_sub_u32_e32 v0, 29, v0
	v_cndmask_b32_e32 v2, v2, v0, vcc
	v_cndmask_b32_e32 v0, 0, v1, vcc
	v_lshlrev_b64 v[0:1], v0, v[10:11]
	v_lshlrev_b32_e32 v1, 24, v10
	v_lshlrev_b32_e32 v0, 20, v0
	v_bfrev_b32_e32 v3, 60
	v_and_b32_e32 v0, 0x700000, v0
	v_and_b32_e32 v1, 0x80000000, v1
	v_lshl_add_u32 v2, v2, 23, v3
	v_or3_b32 v0, v1, v2, v0
.LBB6_12367:                            ;   in Loop: Header=BB6_12355 Depth=2
	s_or_b64 exec, exec, s[78:79]
.LBB6_12368:                            ;   in Loop: Header=BB6_12355 Depth=2
	s_or_b64 exec, exec, s[76:77]
.LBB6_12369:                            ;   in Loop: Header=BB6_12355 Depth=2
	s_or_b64 exec, exec, s[20:21]
	v_mul_f32_e32 v1, v19, v0
	v_and_b32_e32 v52, 0x7f800000, v1
	v_cmp_ne_u64_e32 vcc, s[46:47], v[52:53]
                                        ; implicit-def: $vgpr45
	s_and_saveexec_b64 s[20:21], vcc
	s_xor_b64 s[76:77], exec, s[20:21]
	s_cbranch_execz .LBB6_12383
; %bb.12370:                            ;   in Loop: Header=BB6_12355 Depth=2
	v_and_b32_e32 v52, 0x7fffffff, v1
	v_cmp_gt_u64_e32 vcc, s[56:57], v[52:53]
	v_and_b32_sdwa v0, v1, s48 dst_sel:DWORD dst_unused:UNUSED_PAD src0_sel:BYTE_3 src1_sel:DWORD
                                        ; implicit-def: $vgpr45
	s_and_saveexec_b64 s[20:21], vcc
	s_xor_b64 s[78:79], exec, s[20:21]
	s_cbranch_execz .LBB6_12380
; %bb.12371:                            ;   in Loop: Header=BB6_12355 Depth=2
	v_mov_b32_e32 v45, 0
	v_cmp_ne_u32_e32 vcc, 0, v1
	s_and_saveexec_b64 s[88:89], vcc
	s_cbranch_execz .LBB6_12379
; %bb.12372:                            ;   in Loop: Header=BB6_12355 Depth=2
	v_and_b32_e32 v3, 0x7fffff, v1
	v_bfe_u32 v1, v1, 23, 8
	v_cmp_gt_u32_e64 s[20:21], s49, v1
	v_sub_u32_e32 v2, 0x79, v1
	v_cmp_eq_u32_e32 vcc, 0, v1
	v_cndmask_b32_e64 v2, 0, v2, s[20:21]
	v_mov_b32_e32 v5, 0x78
	v_or_b32_e32 v4, 0x800000, v3
	v_cndmask_b32_e32 v2, v2, v5, vcc
	v_cndmask_b32_e32 v52, v4, v3, vcc
	v_add_u32_e32 v3, 20, v2
	v_lshlrev_b64 v[3:4], v3, -1
	v_add_u32_e32 v5, 19, v2
	v_lshlrev_b64 v[5:6], v5, 1
	v_lshrrev_b64 v[16:17], v2, v[52:53]
	v_bfi_b32 v4, v4, 0, 0
	v_bfi_b32 v3, v3, 0, v52
	v_cmp_eq_u64_e64 s[20:21], v[3:4], v[5:6]
	v_mov_b32_e32 v18, v17
	v_mov_b32_e32 v17, v16
	s_and_saveexec_b64 s[90:91], s[20:21]
; %bb.12373:                            ;   in Loop: Header=BB6_12355 Depth=2
	v_bfe_u32 v3, v16, 20, 1
	v_add_co_u32_e64 v3, s[20:21], v16, v3
	v_add_co_u32_e64 v17, s[20:21], -1, v3
; %bb.12374:                            ;   in Loop: Header=BB6_12355 Depth=2
	s_or_b64 exec, exec, s[90:91]
	v_add_u32_e32 v1, 0xffffff81, v1
	v_mov_b32_e32 v3, 0xffffff82
	v_cndmask_b32_e32 v1, v1, v3, vcc
	v_lshrrev_b32_e32 v3, 23, v16
	v_add3_u32 v3, v2, v1, v3
	v_add_u32_e32 v2, 6, v3
	v_and_b32_e32 v1, 0xfffff, v17
	v_add_u32_e32 v52, v1, v16
	v_cmp_ne_u32_e32 vcc, 0, v2
                                        ; implicit-def: $vgpr16_vgpr17
                                        ; implicit-def: $vgpr1
	s_and_saveexec_b64 s[20:21], vcc
	s_xor_b64 s[20:21], exec, s[20:21]
; %bb.12375:                            ;   in Loop: Header=BB6_12355 Depth=2
	v_cmp_lt_u64_e32 vcc, s[58:59], v[52:53]
	v_add_u32_e32 v1, 7, v3
	v_cndmask_b32_e32 v1, v2, v1, vcc
	v_cndmask_b32_e64 v2, 0, 1, vcc
	v_lshrrev_b64 v[16:17], v2, v[52:53]
; %bb.12376:                            ;   in Loop: Header=BB6_12355 Depth=2
	s_andn2_saveexec_b64 s[20:21], s[20:21]
; %bb.12377:                            ;   in Loop: Header=BB6_12355 Depth=2
	v_mov_b32_e32 v16, v52
	v_bfe_u32 v1, v52, 23, 1
	v_mov_b32_e32 v17, v53
; %bb.12378:                            ;   in Loop: Header=BB6_12355 Depth=2
	s_or_b64 exec, exec, s[20:21]
	v_lshrrev_b64 v[2:3], 20, v[16:17]
	v_cmp_gt_i32_e32 vcc, 16, v1
	v_cndmask_b32_e32 v3, 0, v3, vcc
	v_cndmask_b32_e32 v2, 7, v2, vcc
	v_cmp_eq_u32_e32 vcc, 0, v1
	v_min_i32_e32 v1, 15, v1
	v_cmp_eq_u64_e64 s[20:21], 0, v[2:3]
	v_lshlrev_b32_e32 v1, 3, v1
	v_and_b32_e32 v1, 0xf8, v1
	v_and_or_b32 v1, v2, 7, v1
	s_and_b64 s[20:21], vcc, s[20:21]
	v_cndmask_b32_e64 v1, v1, 0, s[20:21]
	v_or_b32_e32 v45, v1, v0
.LBB6_12379:                            ;   in Loop: Header=BB6_12355 Depth=2
	s_or_b64 exec, exec, s[88:89]
                                        ; implicit-def: $vgpr0
.LBB6_12380:                            ;   in Loop: Header=BB6_12355 Depth=2
	s_andn2_saveexec_b64 s[20:21], s[78:79]
; %bb.12381:                            ;   in Loop: Header=BB6_12355 Depth=2
	v_or_b32_e32 v45, 0x7e, v0
; %bb.12382:                            ;   in Loop: Header=BB6_12355 Depth=2
	s_or_b64 exec, exec, s[20:21]
                                        ; implicit-def: $vgpr1
.LBB6_12383:                            ;   in Loop: Header=BB6_12355 Depth=2
	s_andn2_saveexec_b64 s[20:21], s[76:77]
; %bb.12384:                            ;   in Loop: Header=BB6_12355 Depth=2
	v_or_b32_sdwa v45, v1, s39 dst_sel:DWORD dst_unused:UNUSED_PAD src0_sel:BYTE_3 src1_sel:DWORD
; %bb.12385:                            ;   in Loop: Header=BB6_12355 Depth=2
	s_or_b64 exec, exec, s[20:21]
	v_lshrrev_b16_e32 v16, 8, v10
	v_cmp_ne_u16_e32 vcc, 0, v16
	v_mov_b32_e32 v0, 0
	s_and_saveexec_b64 s[20:21], vcc
	s_cbranch_execz .LBB6_12391
; %bb.12386:                            ;   in Loop: Header=BB6_12355 Depth=2
	v_cmp_ne_u16_e32 vcc, s48, v16
	v_bfrev_b32_e32 v0, 1
	s_and_saveexec_b64 s[76:77], vcc
	s_cbranch_execz .LBB6_12390
; %bb.12387:                            ;   in Loop: Header=BB6_12355 Depth=2
	v_and_b32_e32 v1, 0x7f, v16
	v_cmp_ne_u32_e32 vcc, s39, v1
	v_mov_b32_e32 v0, 0x7f800001
	s_and_saveexec_b64 s[78:79], vcc
	s_cbranch_execz .LBB6_12389
; %bb.12388:                            ;   in Loop: Header=BB6_12355 Depth=2
	v_and_b32_e32 v2, 7, v16
	v_ffbh_u32_e32 v0, v2
	v_min_u32_e32 v4, 32, v0
	v_subrev_u32_e32 v0, 28, v4
	v_lshrrev_b32_e32 v3, 3, v1
	v_cmp_gt_u32_e32 vcc, 8, v1
	v_lshlrev_b64 v[0:1], v0, v[16:17]
	v_sub_u32_e32 v1, 29, v4
	v_and_b32_e32 v0, 7, v0
	v_cndmask_b32_e32 v1, v3, v1, vcc
	v_cndmask_b32_e32 v0, v2, v0, vcc
	v_lshlrev_b32_e32 v2, 16, v10
	v_bfrev_b32_e32 v3, 60
	v_lshlrev_b32_e32 v0, 20, v0
	v_and_b32_e32 v2, 0x80000000, v2
	v_lshl_add_u32 v1, v1, 23, v3
	v_or3_b32 v0, v2, v1, v0
.LBB6_12389:                            ;   in Loop: Header=BB6_12355 Depth=2
	s_or_b64 exec, exec, s[78:79]
.LBB6_12390:                            ;   in Loop: Header=BB6_12355 Depth=2
	s_or_b64 exec, exec, s[76:77]
.LBB6_12391:                            ;   in Loop: Header=BB6_12355 Depth=2
	s_or_b64 exec, exec, s[20:21]
	v_mul_f32_e32 v1, v19, v0
	v_and_b32_e32 v52, 0x7f800000, v1
	v_cmp_ne_u64_e32 vcc, s[46:47], v[52:53]
                                        ; implicit-def: $vgpr46
	s_and_saveexec_b64 s[20:21], vcc
	s_xor_b64 s[76:77], exec, s[20:21]
	s_cbranch_execz .LBB6_12405
; %bb.12392:                            ;   in Loop: Header=BB6_12355 Depth=2
	v_and_b32_e32 v52, 0x7fffffff, v1
	v_cmp_gt_u64_e32 vcc, s[56:57], v[52:53]
	v_and_b32_sdwa v0, v1, s48 dst_sel:DWORD dst_unused:UNUSED_PAD src0_sel:BYTE_3 src1_sel:DWORD
                                        ; implicit-def: $vgpr46
	s_and_saveexec_b64 s[20:21], vcc
	s_xor_b64 s[78:79], exec, s[20:21]
	s_cbranch_execz .LBB6_12402
; %bb.12393:                            ;   in Loop: Header=BB6_12355 Depth=2
	v_mov_b32_e32 v46, 0
	v_cmp_ne_u32_e32 vcc, 0, v1
	s_and_saveexec_b64 s[88:89], vcc
	s_cbranch_execz .LBB6_12401
; %bb.12394:                            ;   in Loop: Header=BB6_12355 Depth=2
	v_and_b32_e32 v3, 0x7fffff, v1
	v_bfe_u32 v1, v1, 23, 8
	v_cmp_gt_u32_e64 s[20:21], s49, v1
	v_sub_u32_e32 v2, 0x79, v1
	v_cmp_eq_u32_e32 vcc, 0, v1
	v_cndmask_b32_e64 v2, 0, v2, s[20:21]
	v_mov_b32_e32 v5, 0x78
	v_or_b32_e32 v4, 0x800000, v3
	v_cndmask_b32_e32 v2, v2, v5, vcc
	v_cndmask_b32_e32 v52, v4, v3, vcc
	v_add_u32_e32 v3, 20, v2
	v_lshlrev_b64 v[3:4], v3, -1
	v_add_u32_e32 v5, 19, v2
	v_lshlrev_b64 v[5:6], v5, 1
	v_lshrrev_b64 v[16:17], v2, v[52:53]
	v_bfi_b32 v4, v4, 0, 0
	v_bfi_b32 v3, v3, 0, v52
	v_cmp_eq_u64_e64 s[20:21], v[3:4], v[5:6]
	v_mov_b32_e32 v18, v17
	v_mov_b32_e32 v17, v16
	s_and_saveexec_b64 s[90:91], s[20:21]
; %bb.12395:                            ;   in Loop: Header=BB6_12355 Depth=2
	v_bfe_u32 v3, v16, 20, 1
	v_add_co_u32_e64 v3, s[20:21], v16, v3
	v_add_co_u32_e64 v17, s[20:21], -1, v3
; %bb.12396:                            ;   in Loop: Header=BB6_12355 Depth=2
	s_or_b64 exec, exec, s[90:91]
	v_add_u32_e32 v1, 0xffffff81, v1
	v_mov_b32_e32 v3, 0xffffff82
	v_cndmask_b32_e32 v1, v1, v3, vcc
	v_lshrrev_b32_e32 v3, 23, v16
	v_add3_u32 v3, v2, v1, v3
	v_add_u32_e32 v2, 6, v3
	v_and_b32_e32 v1, 0xfffff, v17
	v_add_u32_e32 v52, v1, v16
	v_cmp_ne_u32_e32 vcc, 0, v2
                                        ; implicit-def: $vgpr16_vgpr17
                                        ; implicit-def: $vgpr1
	s_and_saveexec_b64 s[20:21], vcc
	s_xor_b64 s[20:21], exec, s[20:21]
; %bb.12397:                            ;   in Loop: Header=BB6_12355 Depth=2
	v_cmp_lt_u64_e32 vcc, s[58:59], v[52:53]
	v_add_u32_e32 v1, 7, v3
	v_cndmask_b32_e32 v1, v2, v1, vcc
	v_cndmask_b32_e64 v2, 0, 1, vcc
	v_lshrrev_b64 v[16:17], v2, v[52:53]
; %bb.12398:                            ;   in Loop: Header=BB6_12355 Depth=2
	s_andn2_saveexec_b64 s[20:21], s[20:21]
; %bb.12399:                            ;   in Loop: Header=BB6_12355 Depth=2
	v_mov_b32_e32 v16, v52
	v_bfe_u32 v1, v52, 23, 1
	v_mov_b32_e32 v17, v53
; %bb.12400:                            ;   in Loop: Header=BB6_12355 Depth=2
	s_or_b64 exec, exec, s[20:21]
	v_lshrrev_b64 v[2:3], 20, v[16:17]
	v_cmp_gt_i32_e32 vcc, 16, v1
	v_cndmask_b32_e32 v3, 0, v3, vcc
	v_cndmask_b32_e32 v2, 7, v2, vcc
	v_cmp_eq_u32_e32 vcc, 0, v1
	v_min_i32_e32 v1, 15, v1
	v_cmp_eq_u64_e64 s[20:21], 0, v[2:3]
	v_lshlrev_b32_e32 v1, 3, v1
	v_and_b32_e32 v1, 0xf8, v1
	v_and_or_b32 v1, v2, 7, v1
	s_and_b64 s[20:21], vcc, s[20:21]
	v_cndmask_b32_e64 v1, v1, 0, s[20:21]
	v_or_b32_e32 v46, v1, v0
.LBB6_12401:                            ;   in Loop: Header=BB6_12355 Depth=2
	s_or_b64 exec, exec, s[88:89]
                                        ; implicit-def: $vgpr0
.LBB6_12402:                            ;   in Loop: Header=BB6_12355 Depth=2
	s_andn2_saveexec_b64 s[20:21], s[78:79]
; %bb.12403:                            ;   in Loop: Header=BB6_12355 Depth=2
	v_or_b32_e32 v46, 0x7e, v0
; %bb.12404:                            ;   in Loop: Header=BB6_12355 Depth=2
	s_or_b64 exec, exec, s[20:21]
                                        ; implicit-def: $vgpr1
.LBB6_12405:                            ;   in Loop: Header=BB6_12355 Depth=2
	s_andn2_saveexec_b64 s[20:21], s[76:77]
; %bb.12406:                            ;   in Loop: Header=BB6_12355 Depth=2
	v_or_b32_sdwa v46, v1, s39 dst_sel:DWORD dst_unused:UNUSED_PAD src0_sel:BYTE_3 src1_sel:DWORD
; %bb.12407:                            ;   in Loop: Header=BB6_12355 Depth=2
	s_or_b64 exec, exec, s[20:21]
	v_lshrrev_b32_e32 v16, 16, v10
	v_cmp_ne_u16_sdwa s[76:77], v16, v53 src0_sel:BYTE_0 src1_sel:DWORD
	v_mov_b32_e32 v0, 0
	s_and_saveexec_b64 s[20:21], s[76:77]
	s_cbranch_execz .LBB6_12413
; %bb.12408:                            ;   in Loop: Header=BB6_12355 Depth=2
	v_cmp_ne_u16_sdwa s[78:79], v16, s48 src0_sel:BYTE_0 src1_sel:DWORD
	v_bfrev_b32_e32 v0, 1
	s_and_saveexec_b64 s[76:77], s[78:79]
	s_cbranch_execz .LBB6_12412
; %bb.12409:                            ;   in Loop: Header=BB6_12355 Depth=2
	v_bfe_u32 v1, v10, 16, 7
	v_cmp_ne_u32_e32 vcc, s39, v1
	v_mov_b32_e32 v0, 0x7f800001
	s_and_saveexec_b64 s[78:79], vcc
	s_cbranch_execz .LBB6_12411
; %bb.12410:                            ;   in Loop: Header=BB6_12355 Depth=2
	v_and_b32_e32 v2, 7, v16
	v_ffbh_u32_e32 v0, v2
	v_min_u32_e32 v4, 32, v0
	v_subrev_u32_e32 v0, 28, v4
	v_lshrrev_b32_e32 v3, 3, v1
	v_cmp_gt_u32_e32 vcc, 8, v1
	v_lshlrev_b64 v[0:1], v0, v[16:17]
	v_sub_u32_e32 v1, 29, v4
	v_and_b32_e32 v0, 7, v0
	v_cndmask_b32_e32 v1, v3, v1, vcc
	v_cndmask_b32_e32 v0, v2, v0, vcc
	v_lshlrev_b32_e32 v2, 24, v16
	v_bfrev_b32_e32 v3, 60
	v_lshlrev_b32_e32 v0, 20, v0
	v_and_b32_e32 v2, 0x80000000, v2
	v_lshl_add_u32 v1, v1, 23, v3
	v_or3_b32 v0, v2, v1, v0
.LBB6_12411:                            ;   in Loop: Header=BB6_12355 Depth=2
	s_or_b64 exec, exec, s[78:79]
.LBB6_12412:                            ;   in Loop: Header=BB6_12355 Depth=2
	s_or_b64 exec, exec, s[76:77]
.LBB6_12413:                            ;   in Loop: Header=BB6_12355 Depth=2
	s_or_b64 exec, exec, s[20:21]
	v_mul_f32_e32 v1, v19, v0
	v_and_b32_e32 v52, 0x7f800000, v1
	v_cmp_ne_u64_e32 vcc, s[46:47], v[52:53]
                                        ; implicit-def: $vgpr0
                                        ; kill: killed $vgpr0
	s_and_saveexec_b64 s[20:21], vcc
	s_xor_b64 s[76:77], exec, s[20:21]
	s_cbranch_execz .LBB6_12427
; %bb.12414:                            ;   in Loop: Header=BB6_12355 Depth=2
	v_and_b32_e32 v52, 0x7fffffff, v1
	v_cmp_gt_u64_e32 vcc, s[56:57], v[52:53]
	v_and_b32_sdwa v0, v1, s48 dst_sel:DWORD dst_unused:UNUSED_PAD src0_sel:BYTE_3 src1_sel:DWORD
                                        ; implicit-def: $vgpr2
                                        ; kill: killed $vgpr2
	s_and_saveexec_b64 s[20:21], vcc
	s_xor_b64 s[78:79], exec, s[20:21]
	s_cbranch_execz .LBB6_12424
; %bb.12415:                            ;   in Loop: Header=BB6_12355 Depth=2
	v_mov_b32_e32 v2, 0
	v_cmp_ne_u32_e32 vcc, 0, v1
	buffer_store_dword v2, off, s[0:3], s33 offset:104 ; 4-byte Folded Spill
	s_and_saveexec_b64 s[88:89], vcc
	s_cbranch_execz .LBB6_12423
; %bb.12416:                            ;   in Loop: Header=BB6_12355 Depth=2
	v_and_b32_e32 v3, 0x7fffff, v1
	v_bfe_u32 v1, v1, 23, 8
	v_cmp_gt_u32_e64 s[20:21], s49, v1
	v_sub_u32_e32 v2, 0x79, v1
	v_cmp_eq_u32_e32 vcc, 0, v1
	v_cndmask_b32_e64 v2, 0, v2, s[20:21]
	v_mov_b32_e32 v5, 0x78
	v_or_b32_e32 v4, 0x800000, v3
	v_cndmask_b32_e32 v2, v2, v5, vcc
	v_cndmask_b32_e32 v52, v4, v3, vcc
	v_add_u32_e32 v3, 20, v2
	v_lshlrev_b64 v[3:4], v3, -1
	v_add_u32_e32 v5, 19, v2
	v_lshlrev_b64 v[5:6], v5, 1
	v_lshrrev_b64 v[16:17], v2, v[52:53]
	v_bfi_b32 v4, v4, 0, 0
	v_bfi_b32 v3, v3, 0, v52
	v_cmp_eq_u64_e64 s[20:21], v[3:4], v[5:6]
	v_mov_b32_e32 v18, v17
	v_mov_b32_e32 v17, v16
	s_and_saveexec_b64 s[90:91], s[20:21]
; %bb.12417:                            ;   in Loop: Header=BB6_12355 Depth=2
	v_bfe_u32 v3, v16, 20, 1
	v_add_co_u32_e64 v3, s[20:21], v16, v3
	v_add_co_u32_e64 v17, s[20:21], -1, v3
; %bb.12418:                            ;   in Loop: Header=BB6_12355 Depth=2
	s_or_b64 exec, exec, s[90:91]
	v_add_u32_e32 v1, 0xffffff81, v1
	v_mov_b32_e32 v3, 0xffffff82
	v_cndmask_b32_e32 v1, v1, v3, vcc
	v_lshrrev_b32_e32 v3, 23, v16
	v_add3_u32 v3, v2, v1, v3
	v_add_u32_e32 v2, 6, v3
	v_and_b32_e32 v1, 0xfffff, v17
	v_add_u32_e32 v52, v1, v16
	v_cmp_ne_u32_e32 vcc, 0, v2
                                        ; implicit-def: $vgpr16_vgpr17
                                        ; implicit-def: $vgpr1
	s_and_saveexec_b64 s[20:21], vcc
	s_xor_b64 s[20:21], exec, s[20:21]
; %bb.12419:                            ;   in Loop: Header=BB6_12355 Depth=2
	v_cmp_lt_u64_e32 vcc, s[58:59], v[52:53]
	v_add_u32_e32 v1, 7, v3
	v_cndmask_b32_e32 v1, v2, v1, vcc
	v_cndmask_b32_e64 v2, 0, 1, vcc
	v_lshrrev_b64 v[16:17], v2, v[52:53]
; %bb.12420:                            ;   in Loop: Header=BB6_12355 Depth=2
	s_andn2_saveexec_b64 s[20:21], s[20:21]
; %bb.12421:                            ;   in Loop: Header=BB6_12355 Depth=2
	v_mov_b32_e32 v16, v52
	v_bfe_u32 v1, v52, 23, 1
	v_mov_b32_e32 v17, v53
; %bb.12422:                            ;   in Loop: Header=BB6_12355 Depth=2
	s_or_b64 exec, exec, s[20:21]
	v_lshrrev_b64 v[2:3], 20, v[16:17]
	v_cmp_gt_i32_e32 vcc, 16, v1
	v_cndmask_b32_e32 v3, 0, v3, vcc
	v_cndmask_b32_e32 v2, 7, v2, vcc
	v_cmp_eq_u32_e32 vcc, 0, v1
	v_min_i32_e32 v1, 15, v1
	v_cmp_eq_u64_e64 s[20:21], 0, v[2:3]
	v_lshlrev_b32_e32 v1, 3, v1
	v_and_b32_e32 v1, 0xf8, v1
	v_and_or_b32 v1, v2, 7, v1
	s_and_b64 s[20:21], vcc, s[20:21]
	v_cndmask_b32_e64 v1, v1, 0, s[20:21]
	v_or_b32_e32 v0, v1, v0
	buffer_store_dword v0, off, s[0:3], s33 offset:104 ; 4-byte Folded Spill
.LBB6_12423:                            ;   in Loop: Header=BB6_12355 Depth=2
	s_or_b64 exec, exec, s[88:89]
                                        ; implicit-def: $vgpr0
.LBB6_12424:                            ;   in Loop: Header=BB6_12355 Depth=2
	s_andn2_saveexec_b64 s[20:21], s[78:79]
	s_cbranch_execz .LBB6_12426
; %bb.12425:                            ;   in Loop: Header=BB6_12355 Depth=2
	v_or_b32_e32 v0, 0x7e, v0
	buffer_store_dword v0, off, s[0:3], s33 offset:104 ; 4-byte Folded Spill
.LBB6_12426:                            ;   in Loop: Header=BB6_12355 Depth=2
	s_or_b64 exec, exec, s[20:21]
                                        ; implicit-def: $vgpr1
.LBB6_12427:                            ;   in Loop: Header=BB6_12355 Depth=2
	s_andn2_saveexec_b64 s[20:21], s[76:77]
	s_cbranch_execz .LBB6_12429
; %bb.12428:                            ;   in Loop: Header=BB6_12355 Depth=2
	v_or_b32_sdwa v0, v1, s39 dst_sel:DWORD dst_unused:UNUSED_PAD src0_sel:BYTE_3 src1_sel:DWORD
	buffer_store_dword v0, off, s[0:3], s33 offset:104 ; 4-byte Folded Spill
.LBB6_12429:                            ;   in Loop: Header=BB6_12355 Depth=2
	s_or_b64 exec, exec, s[20:21]
	v_cmp_lt_u32_e32 vcc, s61, v10
	v_mov_b32_e32 v0, 0
	s_and_saveexec_b64 s[20:21], vcc
	s_cbranch_execz .LBB6_12435
; %bb.12430:                            ;   in Loop: Header=BB6_12355 Depth=2
	v_lshrrev_b32_e32 v16, 24, v10
	v_cmp_ne_u32_e32 vcc, s48, v16
	v_bfrev_b32_e32 v0, 1
	s_and_saveexec_b64 s[76:77], vcc
	s_cbranch_execz .LBB6_12434
; %bb.12431:                            ;   in Loop: Header=BB6_12355 Depth=2
	v_bfe_u32 v1, v10, 24, 7
	v_cmp_ne_u32_e32 vcc, s39, v1
	v_mov_b32_e32 v0, 0x7f800001
	s_and_saveexec_b64 s[78:79], vcc
	s_cbranch_execz .LBB6_12433
; %bb.12432:                            ;   in Loop: Header=BB6_12355 Depth=2
	v_and_b32_e32 v2, 7, v16
	v_ffbh_u32_e32 v0, v2
	v_min_u32_e32 v4, 32, v0
	v_subrev_u32_e32 v0, 28, v4
	v_lshrrev_b32_e32 v3, 3, v1
	v_cmp_gt_u32_e32 vcc, 8, v1
	v_lshlrev_b64 v[0:1], v0, v[16:17]
	v_sub_u32_e32 v1, 29, v4
	v_and_b32_e32 v0, 7, v0
	v_cndmask_b32_e32 v1, v3, v1, vcc
	v_cndmask_b32_e32 v0, v2, v0, vcc
	v_lshlrev_b32_e32 v2, 24, v16
	v_bfrev_b32_e32 v3, 60
	v_lshlrev_b32_e32 v0, 20, v0
	v_and_b32_e32 v2, 0x80000000, v2
	v_lshl_add_u32 v1, v1, 23, v3
	v_or3_b32 v0, v2, v1, v0
.LBB6_12433:                            ;   in Loop: Header=BB6_12355 Depth=2
	s_or_b64 exec, exec, s[78:79]
.LBB6_12434:                            ;   in Loop: Header=BB6_12355 Depth=2
	s_or_b64 exec, exec, s[76:77]
.LBB6_12435:                            ;   in Loop: Header=BB6_12355 Depth=2
	s_or_b64 exec, exec, s[20:21]
	v_mul_f32_e32 v1, v19, v0
	v_and_b32_e32 v52, 0x7f800000, v1
	v_cmp_ne_u64_e32 vcc, s[46:47], v[52:53]
                                        ; implicit-def: $vgpr0
                                        ; kill: killed $vgpr0
	s_and_saveexec_b64 s[20:21], vcc
	s_xor_b64 s[76:77], exec, s[20:21]
	s_cbranch_execz .LBB6_12449
; %bb.12436:                            ;   in Loop: Header=BB6_12355 Depth=2
	v_and_b32_e32 v52, 0x7fffffff, v1
	v_cmp_gt_u64_e32 vcc, s[56:57], v[52:53]
	v_and_b32_sdwa v0, v1, s48 dst_sel:DWORD dst_unused:UNUSED_PAD src0_sel:BYTE_3 src1_sel:DWORD
                                        ; implicit-def: $vgpr2
                                        ; kill: killed $vgpr2
	s_and_saveexec_b64 s[20:21], vcc
	s_xor_b64 s[78:79], exec, s[20:21]
	s_cbranch_execz .LBB6_12446
; %bb.12437:                            ;   in Loop: Header=BB6_12355 Depth=2
	v_mov_b32_e32 v2, 0
	v_cmp_ne_u32_e32 vcc, 0, v1
	buffer_store_dword v2, off, s[0:3], s33 offset:108 ; 4-byte Folded Spill
	s_and_saveexec_b64 s[88:89], vcc
	s_cbranch_execz .LBB6_12445
; %bb.12438:                            ;   in Loop: Header=BB6_12355 Depth=2
	v_and_b32_e32 v3, 0x7fffff, v1
	v_bfe_u32 v1, v1, 23, 8
	v_cmp_gt_u32_e64 s[20:21], s49, v1
	v_sub_u32_e32 v2, 0x79, v1
	v_cmp_eq_u32_e32 vcc, 0, v1
	v_cndmask_b32_e64 v2, 0, v2, s[20:21]
	v_mov_b32_e32 v5, 0x78
	v_or_b32_e32 v4, 0x800000, v3
	v_cndmask_b32_e32 v2, v2, v5, vcc
	v_cndmask_b32_e32 v52, v4, v3, vcc
	v_add_u32_e32 v3, 20, v2
	v_lshlrev_b64 v[3:4], v3, -1
	v_add_u32_e32 v5, 19, v2
	v_lshlrev_b64 v[5:6], v5, 1
	v_lshrrev_b64 v[16:17], v2, v[52:53]
	v_bfi_b32 v4, v4, 0, 0
	v_bfi_b32 v3, v3, 0, v52
	v_cmp_eq_u64_e64 s[20:21], v[3:4], v[5:6]
	v_mov_b32_e32 v18, v17
	v_mov_b32_e32 v17, v16
	s_and_saveexec_b64 s[90:91], s[20:21]
; %bb.12439:                            ;   in Loop: Header=BB6_12355 Depth=2
	v_bfe_u32 v3, v16, 20, 1
	v_add_co_u32_e64 v3, s[20:21], v16, v3
	v_add_co_u32_e64 v17, s[20:21], -1, v3
; %bb.12440:                            ;   in Loop: Header=BB6_12355 Depth=2
	s_or_b64 exec, exec, s[90:91]
	v_add_u32_e32 v1, 0xffffff81, v1
	v_mov_b32_e32 v3, 0xffffff82
	v_cndmask_b32_e32 v1, v1, v3, vcc
	v_lshrrev_b32_e32 v3, 23, v16
	v_add3_u32 v3, v2, v1, v3
	v_add_u32_e32 v2, 6, v3
	v_and_b32_e32 v1, 0xfffff, v17
	v_add_u32_e32 v52, v1, v16
	v_cmp_ne_u32_e32 vcc, 0, v2
                                        ; implicit-def: $vgpr16_vgpr17
                                        ; implicit-def: $vgpr1
	s_and_saveexec_b64 s[20:21], vcc
	s_xor_b64 s[20:21], exec, s[20:21]
; %bb.12441:                            ;   in Loop: Header=BB6_12355 Depth=2
	v_cmp_lt_u64_e32 vcc, s[58:59], v[52:53]
	v_add_u32_e32 v1, 7, v3
	v_cndmask_b32_e32 v1, v2, v1, vcc
	v_cndmask_b32_e64 v2, 0, 1, vcc
	v_lshrrev_b64 v[16:17], v2, v[52:53]
; %bb.12442:                            ;   in Loop: Header=BB6_12355 Depth=2
	s_andn2_saveexec_b64 s[20:21], s[20:21]
; %bb.12443:                            ;   in Loop: Header=BB6_12355 Depth=2
	v_mov_b32_e32 v16, v52
	v_bfe_u32 v1, v52, 23, 1
	v_mov_b32_e32 v17, v53
; %bb.12444:                            ;   in Loop: Header=BB6_12355 Depth=2
	s_or_b64 exec, exec, s[20:21]
	v_lshrrev_b64 v[2:3], 20, v[16:17]
	v_cmp_gt_i32_e32 vcc, 16, v1
	v_cndmask_b32_e32 v3, 0, v3, vcc
	v_cndmask_b32_e32 v2, 7, v2, vcc
	v_cmp_eq_u32_e32 vcc, 0, v1
	v_min_i32_e32 v1, 15, v1
	v_cmp_eq_u64_e64 s[20:21], 0, v[2:3]
	v_lshlrev_b32_e32 v1, 3, v1
	v_and_b32_e32 v1, 0xf8, v1
	v_and_or_b32 v1, v2, 7, v1
	s_and_b64 s[20:21], vcc, s[20:21]
	v_cndmask_b32_e64 v1, v1, 0, s[20:21]
	v_or_b32_e32 v0, v1, v0
	buffer_store_dword v0, off, s[0:3], s33 offset:108 ; 4-byte Folded Spill
.LBB6_12445:                            ;   in Loop: Header=BB6_12355 Depth=2
	s_or_b64 exec, exec, s[88:89]
                                        ; implicit-def: $vgpr0
.LBB6_12446:                            ;   in Loop: Header=BB6_12355 Depth=2
	s_andn2_saveexec_b64 s[20:21], s[78:79]
	s_cbranch_execz .LBB6_12448
; %bb.12447:                            ;   in Loop: Header=BB6_12355 Depth=2
	v_or_b32_e32 v0, 0x7e, v0
	buffer_store_dword v0, off, s[0:3], s33 offset:108 ; 4-byte Folded Spill
.LBB6_12448:                            ;   in Loop: Header=BB6_12355 Depth=2
	s_or_b64 exec, exec, s[20:21]
                                        ; implicit-def: $vgpr1
.LBB6_12449:                            ;   in Loop: Header=BB6_12355 Depth=2
	s_andn2_saveexec_b64 s[20:21], s[76:77]
	s_cbranch_execz .LBB6_12451
; %bb.12450:                            ;   in Loop: Header=BB6_12355 Depth=2
	v_or_b32_sdwa v0, v1, s39 dst_sel:DWORD dst_unused:UNUSED_PAD src0_sel:BYTE_3 src1_sel:DWORD
	buffer_store_dword v0, off, s[0:3], s33 offset:108 ; 4-byte Folded Spill
.LBB6_12451:                            ;   in Loop: Header=BB6_12355 Depth=2
	s_or_b64 exec, exec, s[20:21]
	v_mov_b32_e32 v52, v11
	v_cmp_ne_u16_sdwa s[76:77], v11, v53 src0_sel:BYTE_0 src1_sel:DWORD
	v_mov_b32_e32 v0, 0
	s_and_saveexec_b64 s[20:21], s[76:77]
	s_cbranch_execz .LBB6_12457
; %bb.12452:                            ;   in Loop: Header=BB6_12355 Depth=2
	v_cmp_ne_u16_sdwa s[78:79], v11, s48 src0_sel:BYTE_0 src1_sel:DWORD
	v_bfrev_b32_e32 v0, 1
	s_and_saveexec_b64 s[76:77], s[78:79]
	s_cbranch_execz .LBB6_12456
; %bb.12453:                            ;   in Loop: Header=BB6_12355 Depth=2
	v_and_b32_e32 v1, 0x7f, v11
	v_cmp_ne_u32_e32 vcc, s39, v1
	v_mov_b32_e32 v0, 0x7f800001
	s_and_saveexec_b64 s[78:79], vcc
	s_cbranch_execz .LBB6_12455
; %bb.12454:                            ;   in Loop: Header=BB6_12355 Depth=2
	v_and_b32_e32 v0, 7, v11
	v_ffbh_u32_e32 v0, v0
	v_min_u32_e32 v0, 32, v0
	v_lshrrev_b32_e32 v2, 3, v1
	v_cmp_gt_u32_e32 vcc, 8, v1
	v_subrev_u32_e32 v1, 28, v0
	v_sub_u32_e32 v0, 29, v0
	v_cndmask_b32_e32 v2, v2, v0, vcc
	v_cndmask_b32_e32 v0, 0, v1, vcc
	v_lshlrev_b64 v[0:1], v0, v[52:53]
	v_lshlrev_b32_e32 v1, 24, v52
	v_lshlrev_b32_e32 v0, 20, v0
	v_bfrev_b32_e32 v3, 60
	v_and_b32_e32 v0, 0x700000, v0
	v_and_b32_e32 v1, 0x80000000, v1
	v_lshl_add_u32 v2, v2, 23, v3
	v_or3_b32 v0, v1, v2, v0
.LBB6_12455:                            ;   in Loop: Header=BB6_12355 Depth=2
	s_or_b64 exec, exec, s[78:79]
.LBB6_12456:                            ;   in Loop: Header=BB6_12355 Depth=2
	s_or_b64 exec, exec, s[76:77]
.LBB6_12457:                            ;   in Loop: Header=BB6_12355 Depth=2
	s_or_b64 exec, exec, s[20:21]
	v_mul_f32_e32 v1, v19, v0
	v_and_b32_e32 v2, 0x7f800000, v1
	v_mov_b32_e32 v3, v53
	v_cmp_ne_u64_e32 vcc, s[46:47], v[2:3]
                                        ; implicit-def: $vgpr0
                                        ; kill: killed $vgpr0
	s_and_saveexec_b64 s[20:21], vcc
	s_xor_b64 s[76:77], exec, s[20:21]
	s_cbranch_execz .LBB6_12471
; %bb.12458:                            ;   in Loop: Header=BB6_12355 Depth=2
	v_and_b32_e32 v2, 0x7fffffff, v1
	v_mov_b32_e32 v3, v53
	v_cmp_gt_u64_e32 vcc, s[56:57], v[2:3]
	v_and_b32_sdwa v0, v1, s48 dst_sel:DWORD dst_unused:UNUSED_PAD src0_sel:BYTE_3 src1_sel:DWORD
                                        ; implicit-def: $vgpr2
                                        ; kill: killed $vgpr2
	s_and_saveexec_b64 s[20:21], vcc
	s_xor_b64 s[78:79], exec, s[20:21]
	s_cbranch_execz .LBB6_12468
; %bb.12459:                            ;   in Loop: Header=BB6_12355 Depth=2
	v_mov_b32_e32 v2, 0
	v_cmp_ne_u32_e32 vcc, 0, v1
	buffer_store_dword v2, off, s[0:3], s33 offset:112 ; 4-byte Folded Spill
	s_and_saveexec_b64 s[88:89], vcc
	s_cbranch_execz .LBB6_12467
; %bb.12460:                            ;   in Loop: Header=BB6_12355 Depth=2
	v_and_b32_e32 v3, 0x7fffff, v1
	v_bfe_u32 v1, v1, 23, 8
	v_cmp_gt_u32_e64 s[20:21], s49, v1
	v_sub_u32_e32 v2, 0x79, v1
	v_cmp_eq_u32_e32 vcc, 0, v1
	v_cndmask_b32_e64 v2, 0, v2, s[20:21]
	v_mov_b32_e32 v5, 0x78
	v_cndmask_b32_e32 v2, v2, v5, vcc
	v_add_u32_e32 v5, 20, v2
	v_or_b32_e32 v4, 0x800000, v3
	v_lshlrev_b64 v[5:6], v5, -1
	v_add_u32_e32 v7, 19, v2
	v_cndmask_b32_e32 v3, v4, v3, vcc
	v_lshlrev_b64 v[16:17], v7, 1
	v_mov_b32_e32 v4, v53
	v_bfi_b32 v6, v6, 0, 0
	v_bfi_b32 v5, v5, 0, v3
	v_cmp_eq_u64_e64 s[20:21], v[5:6], v[16:17]
	v_lshrrev_b64 v[16:17], v2, v[3:4]
	v_mov_b32_e32 v18, v17
	v_mov_b32_e32 v17, v16
	s_and_saveexec_b64 s[90:91], s[20:21]
; %bb.12461:                            ;   in Loop: Header=BB6_12355 Depth=2
	v_bfe_u32 v3, v16, 20, 1
	v_add_co_u32_e64 v3, s[20:21], v16, v3
	v_add_co_u32_e64 v17, s[20:21], -1, v3
; %bb.12462:                            ;   in Loop: Header=BB6_12355 Depth=2
	s_or_b64 exec, exec, s[90:91]
	v_add_u32_e32 v1, 0xffffff81, v1
	v_mov_b32_e32 v3, 0xffffff82
	v_cndmask_b32_e32 v1, v1, v3, vcc
	v_lshrrev_b32_e32 v3, 23, v16
	v_add3_u32 v3, v2, v1, v3
	v_add_u32_e32 v2, 6, v3
	v_and_b32_e32 v1, 0xfffff, v17
	v_add_u32_e32 v16, v1, v16
	v_mov_b32_e32 v17, v53
	v_cmp_ne_u32_e32 vcc, 0, v2
                                        ; implicit-def: $vgpr1
	s_and_saveexec_b64 s[20:21], vcc
	s_xor_b64 s[20:21], exec, s[20:21]
; %bb.12463:                            ;   in Loop: Header=BB6_12355 Depth=2
	v_cmp_lt_u64_e32 vcc, s[58:59], v[16:17]
	v_add_u32_e32 v1, 7, v3
	v_cndmask_b32_e32 v1, v2, v1, vcc
	v_cndmask_b32_e64 v2, 0, 1, vcc
	v_lshrrev_b64 v[16:17], v2, v[16:17]
; %bb.12464:                            ;   in Loop: Header=BB6_12355 Depth=2
	s_andn2_saveexec_b64 s[20:21], s[20:21]
; %bb.12465:                            ;   in Loop: Header=BB6_12355 Depth=2
	v_bfe_u32 v1, v16, 23, 1
; %bb.12466:                            ;   in Loop: Header=BB6_12355 Depth=2
	s_or_b64 exec, exec, s[20:21]
	v_lshrrev_b64 v[2:3], 20, v[16:17]
	v_cmp_gt_i32_e32 vcc, 16, v1
	v_cndmask_b32_e32 v3, 0, v3, vcc
	v_cndmask_b32_e32 v2, 7, v2, vcc
	v_cmp_eq_u32_e32 vcc, 0, v1
	v_min_i32_e32 v1, 15, v1
	v_cmp_eq_u64_e64 s[20:21], 0, v[2:3]
	v_lshlrev_b32_e32 v1, 3, v1
	v_and_b32_e32 v1, 0xf8, v1
	v_and_or_b32 v1, v2, 7, v1
	s_and_b64 s[20:21], vcc, s[20:21]
	v_cndmask_b32_e64 v1, v1, 0, s[20:21]
	v_or_b32_e32 v0, v1, v0
	buffer_store_dword v0, off, s[0:3], s33 offset:112 ; 4-byte Folded Spill
.LBB6_12467:                            ;   in Loop: Header=BB6_12355 Depth=2
	s_or_b64 exec, exec, s[88:89]
                                        ; implicit-def: $vgpr0
.LBB6_12468:                            ;   in Loop: Header=BB6_12355 Depth=2
	s_andn2_saveexec_b64 s[20:21], s[78:79]
	s_cbranch_execz .LBB6_12470
; %bb.12469:                            ;   in Loop: Header=BB6_12355 Depth=2
	v_or_b32_e32 v0, 0x7e, v0
	buffer_store_dword v0, off, s[0:3], s33 offset:112 ; 4-byte Folded Spill
.LBB6_12470:                            ;   in Loop: Header=BB6_12355 Depth=2
	s_or_b64 exec, exec, s[20:21]
                                        ; implicit-def: $vgpr1
.LBB6_12471:                            ;   in Loop: Header=BB6_12355 Depth=2
	s_andn2_saveexec_b64 s[20:21], s[76:77]
	s_cbranch_execz .LBB6_12473
; %bb.12472:                            ;   in Loop: Header=BB6_12355 Depth=2
	v_or_b32_sdwa v0, v1, s39 dst_sel:DWORD dst_unused:UNUSED_PAD src0_sel:BYTE_3 src1_sel:DWORD
	buffer_store_dword v0, off, s[0:3], s33 offset:112 ; 4-byte Folded Spill
.LBB6_12473:                            ;   in Loop: Header=BB6_12355 Depth=2
	s_or_b64 exec, exec, s[20:21]
	v_lshrrev_b16_e32 v16, 8, v52
	v_cmp_ne_u16_e32 vcc, 0, v16
	v_mov_b32_e32 v0, 0
	s_and_saveexec_b64 s[20:21], vcc
	s_cbranch_execz .LBB6_12479
; %bb.12474:                            ;   in Loop: Header=BB6_12355 Depth=2
	v_cmp_ne_u16_e32 vcc, s48, v16
	v_bfrev_b32_e32 v0, 1
	s_and_saveexec_b64 s[76:77], vcc
	s_cbranch_execz .LBB6_12478
; %bb.12475:                            ;   in Loop: Header=BB6_12355 Depth=2
	v_and_b32_e32 v1, 0x7f, v16
	v_cmp_ne_u32_e32 vcc, s39, v1
	v_mov_b32_e32 v0, 0x7f800001
	s_and_saveexec_b64 s[78:79], vcc
	s_cbranch_execz .LBB6_12477
; %bb.12476:                            ;   in Loop: Header=BB6_12355 Depth=2
	v_and_b32_e32 v2, 7, v16
	v_ffbh_u32_e32 v0, v2
	v_min_u32_e32 v4, 32, v0
	v_subrev_u32_e32 v0, 28, v4
	v_lshrrev_b32_e32 v3, 3, v1
	v_cmp_gt_u32_e32 vcc, 8, v1
	v_lshlrev_b64 v[0:1], v0, v[16:17]
	v_sub_u32_e32 v1, 29, v4
	v_and_b32_e32 v0, 7, v0
	v_cndmask_b32_e32 v1, v3, v1, vcc
	v_cndmask_b32_e32 v0, v2, v0, vcc
	v_lshlrev_b32_e32 v2, 16, v52
	v_bfrev_b32_e32 v3, 60
	v_lshlrev_b32_e32 v0, 20, v0
	v_and_b32_e32 v2, 0x80000000, v2
	v_lshl_add_u32 v1, v1, 23, v3
	v_or3_b32 v0, v2, v1, v0
.LBB6_12477:                            ;   in Loop: Header=BB6_12355 Depth=2
	s_or_b64 exec, exec, s[78:79]
.LBB6_12478:                            ;   in Loop: Header=BB6_12355 Depth=2
	s_or_b64 exec, exec, s[76:77]
.LBB6_12479:                            ;   in Loop: Header=BB6_12355 Depth=2
	s_or_b64 exec, exec, s[20:21]
	v_mul_f32_e32 v1, v19, v0
	v_and_b32_e32 v52, 0x7f800000, v1
	v_cmp_ne_u64_e32 vcc, s[46:47], v[52:53]
                                        ; implicit-def: $vgpr0
                                        ; kill: killed $vgpr0
	s_and_saveexec_b64 s[20:21], vcc
	s_xor_b64 s[76:77], exec, s[20:21]
	s_cbranch_execz .LBB6_12493
; %bb.12480:                            ;   in Loop: Header=BB6_12355 Depth=2
	v_and_b32_e32 v52, 0x7fffffff, v1
	v_cmp_gt_u64_e32 vcc, s[56:57], v[52:53]
	v_and_b32_sdwa v0, v1, s48 dst_sel:DWORD dst_unused:UNUSED_PAD src0_sel:BYTE_3 src1_sel:DWORD
                                        ; implicit-def: $vgpr2
                                        ; kill: killed $vgpr2
	s_and_saveexec_b64 s[20:21], vcc
	s_xor_b64 s[78:79], exec, s[20:21]
	s_cbranch_execz .LBB6_12490
; %bb.12481:                            ;   in Loop: Header=BB6_12355 Depth=2
	v_mov_b32_e32 v2, 0
	v_cmp_ne_u32_e32 vcc, 0, v1
	buffer_store_dword v2, off, s[0:3], s33 offset:116 ; 4-byte Folded Spill
	s_and_saveexec_b64 s[88:89], vcc
	s_cbranch_execz .LBB6_12489
; %bb.12482:                            ;   in Loop: Header=BB6_12355 Depth=2
	v_and_b32_e32 v3, 0x7fffff, v1
	v_bfe_u32 v1, v1, 23, 8
	v_cmp_gt_u32_e64 s[20:21], s49, v1
	v_sub_u32_e32 v2, 0x79, v1
	v_cmp_eq_u32_e32 vcc, 0, v1
	v_cndmask_b32_e64 v2, 0, v2, s[20:21]
	v_mov_b32_e32 v5, 0x78
	v_or_b32_e32 v4, 0x800000, v3
	v_cndmask_b32_e32 v2, v2, v5, vcc
	v_cndmask_b32_e32 v52, v4, v3, vcc
	v_add_u32_e32 v3, 20, v2
	v_lshlrev_b64 v[3:4], v3, -1
	v_add_u32_e32 v5, 19, v2
	v_lshlrev_b64 v[5:6], v5, 1
	v_lshrrev_b64 v[16:17], v2, v[52:53]
	v_bfi_b32 v4, v4, 0, 0
	v_bfi_b32 v3, v3, 0, v52
	v_cmp_eq_u64_e64 s[20:21], v[3:4], v[5:6]
	v_mov_b32_e32 v18, v17
	v_mov_b32_e32 v17, v16
	s_and_saveexec_b64 s[90:91], s[20:21]
; %bb.12483:                            ;   in Loop: Header=BB6_12355 Depth=2
	v_bfe_u32 v3, v16, 20, 1
	v_add_co_u32_e64 v3, s[20:21], v16, v3
	v_add_co_u32_e64 v17, s[20:21], -1, v3
; %bb.12484:                            ;   in Loop: Header=BB6_12355 Depth=2
	s_or_b64 exec, exec, s[90:91]
	v_add_u32_e32 v1, 0xffffff81, v1
	v_mov_b32_e32 v3, 0xffffff82
	v_cndmask_b32_e32 v1, v1, v3, vcc
	v_lshrrev_b32_e32 v3, 23, v16
	v_add3_u32 v3, v2, v1, v3
	v_add_u32_e32 v2, 6, v3
	v_and_b32_e32 v1, 0xfffff, v17
	v_add_u32_e32 v52, v1, v16
	v_cmp_ne_u32_e32 vcc, 0, v2
                                        ; implicit-def: $vgpr16_vgpr17
                                        ; implicit-def: $vgpr1
	s_and_saveexec_b64 s[20:21], vcc
	s_xor_b64 s[20:21], exec, s[20:21]
; %bb.12485:                            ;   in Loop: Header=BB6_12355 Depth=2
	v_cmp_lt_u64_e32 vcc, s[58:59], v[52:53]
	v_add_u32_e32 v1, 7, v3
	v_cndmask_b32_e32 v1, v2, v1, vcc
	v_cndmask_b32_e64 v2, 0, 1, vcc
	v_lshrrev_b64 v[16:17], v2, v[52:53]
; %bb.12486:                            ;   in Loop: Header=BB6_12355 Depth=2
	s_andn2_saveexec_b64 s[20:21], s[20:21]
; %bb.12487:                            ;   in Loop: Header=BB6_12355 Depth=2
	v_mov_b32_e32 v16, v52
	v_bfe_u32 v1, v52, 23, 1
	v_mov_b32_e32 v17, v53
; %bb.12488:                            ;   in Loop: Header=BB6_12355 Depth=2
	s_or_b64 exec, exec, s[20:21]
	v_lshrrev_b64 v[2:3], 20, v[16:17]
	v_cmp_gt_i32_e32 vcc, 16, v1
	v_cndmask_b32_e32 v3, 0, v3, vcc
	v_cndmask_b32_e32 v2, 7, v2, vcc
	v_cmp_eq_u32_e32 vcc, 0, v1
	v_min_i32_e32 v1, 15, v1
	v_cmp_eq_u64_e64 s[20:21], 0, v[2:3]
	v_lshlrev_b32_e32 v1, 3, v1
	v_and_b32_e32 v1, 0xf8, v1
	v_and_or_b32 v1, v2, 7, v1
	s_and_b64 s[20:21], vcc, s[20:21]
	v_cndmask_b32_e64 v1, v1, 0, s[20:21]
	v_or_b32_e32 v0, v1, v0
	buffer_store_dword v0, off, s[0:3], s33 offset:116 ; 4-byte Folded Spill
.LBB6_12489:                            ;   in Loop: Header=BB6_12355 Depth=2
	s_or_b64 exec, exec, s[88:89]
                                        ; implicit-def: $vgpr0
.LBB6_12490:                            ;   in Loop: Header=BB6_12355 Depth=2
	s_andn2_saveexec_b64 s[20:21], s[78:79]
	s_cbranch_execz .LBB6_12492
; %bb.12491:                            ;   in Loop: Header=BB6_12355 Depth=2
	v_or_b32_e32 v0, 0x7e, v0
	buffer_store_dword v0, off, s[0:3], s33 offset:116 ; 4-byte Folded Spill
.LBB6_12492:                            ;   in Loop: Header=BB6_12355 Depth=2
	s_or_b64 exec, exec, s[20:21]
                                        ; implicit-def: $vgpr1
.LBB6_12493:                            ;   in Loop: Header=BB6_12355 Depth=2
	s_andn2_saveexec_b64 s[20:21], s[76:77]
	s_cbranch_execz .LBB6_12495
; %bb.12494:                            ;   in Loop: Header=BB6_12355 Depth=2
	v_or_b32_sdwa v0, v1, s39 dst_sel:DWORD dst_unused:UNUSED_PAD src0_sel:BYTE_3 src1_sel:DWORD
	buffer_store_dword v0, off, s[0:3], s33 offset:116 ; 4-byte Folded Spill
.LBB6_12495:                            ;   in Loop: Header=BB6_12355 Depth=2
	s_or_b64 exec, exec, s[20:21]
	v_lshrrev_b32_e32 v16, 16, v11
	v_cmp_ne_u16_sdwa s[76:77], v16, v53 src0_sel:BYTE_0 src1_sel:DWORD
	v_mov_b32_e32 v0, 0
	s_and_saveexec_b64 s[20:21], s[76:77]
	s_cbranch_execz .LBB6_12501
; %bb.12496:                            ;   in Loop: Header=BB6_12355 Depth=2
	v_cmp_ne_u16_sdwa s[78:79], v16, s48 src0_sel:BYTE_0 src1_sel:DWORD
	v_bfrev_b32_e32 v0, 1
	s_and_saveexec_b64 s[76:77], s[78:79]
	s_cbranch_execz .LBB6_12500
; %bb.12497:                            ;   in Loop: Header=BB6_12355 Depth=2
	v_bfe_u32 v1, v11, 16, 7
	v_cmp_ne_u32_e32 vcc, s39, v1
	v_mov_b32_e32 v0, 0x7f800001
	s_and_saveexec_b64 s[78:79], vcc
	s_cbranch_execz .LBB6_12499
; %bb.12498:                            ;   in Loop: Header=BB6_12355 Depth=2
	v_and_b32_e32 v2, 7, v16
	v_ffbh_u32_e32 v0, v2
	v_min_u32_e32 v4, 32, v0
	v_subrev_u32_e32 v0, 28, v4
	v_lshrrev_b32_e32 v3, 3, v1
	v_cmp_gt_u32_e32 vcc, 8, v1
	v_lshlrev_b64 v[0:1], v0, v[16:17]
	v_sub_u32_e32 v1, 29, v4
	v_and_b32_e32 v0, 7, v0
	v_cndmask_b32_e32 v1, v3, v1, vcc
	v_cndmask_b32_e32 v0, v2, v0, vcc
	v_lshlrev_b32_e32 v2, 24, v16
	v_bfrev_b32_e32 v3, 60
	v_lshlrev_b32_e32 v0, 20, v0
	v_and_b32_e32 v2, 0x80000000, v2
	v_lshl_add_u32 v1, v1, 23, v3
	v_or3_b32 v0, v2, v1, v0
.LBB6_12499:                            ;   in Loop: Header=BB6_12355 Depth=2
	s_or_b64 exec, exec, s[78:79]
.LBB6_12500:                            ;   in Loop: Header=BB6_12355 Depth=2
	s_or_b64 exec, exec, s[76:77]
.LBB6_12501:                            ;   in Loop: Header=BB6_12355 Depth=2
	s_or_b64 exec, exec, s[20:21]
	v_mul_f32_e32 v1, v19, v0
	v_and_b32_e32 v52, 0x7f800000, v1
	v_cmp_ne_u64_e32 vcc, s[46:47], v[52:53]
                                        ; implicit-def: $vgpr0
                                        ; kill: killed $vgpr0
	s_and_saveexec_b64 s[20:21], vcc
	s_xor_b64 s[76:77], exec, s[20:21]
	s_cbranch_execz .LBB6_12515
; %bb.12502:                            ;   in Loop: Header=BB6_12355 Depth=2
	v_and_b32_e32 v52, 0x7fffffff, v1
	v_cmp_gt_u64_e32 vcc, s[56:57], v[52:53]
	v_and_b32_sdwa v0, v1, s48 dst_sel:DWORD dst_unused:UNUSED_PAD src0_sel:BYTE_3 src1_sel:DWORD
                                        ; implicit-def: $vgpr2
                                        ; kill: killed $vgpr2
	s_and_saveexec_b64 s[20:21], vcc
	s_xor_b64 s[78:79], exec, s[20:21]
	s_cbranch_execz .LBB6_12512
; %bb.12503:                            ;   in Loop: Header=BB6_12355 Depth=2
	v_mov_b32_e32 v2, 0
	v_cmp_ne_u32_e32 vcc, 0, v1
	buffer_store_dword v2, off, s[0:3], s33 offset:120 ; 4-byte Folded Spill
	s_and_saveexec_b64 s[88:89], vcc
	s_cbranch_execz .LBB6_12511
; %bb.12504:                            ;   in Loop: Header=BB6_12355 Depth=2
	v_and_b32_e32 v3, 0x7fffff, v1
	v_bfe_u32 v1, v1, 23, 8
	v_cmp_gt_u32_e64 s[20:21], s49, v1
	v_sub_u32_e32 v2, 0x79, v1
	v_cmp_eq_u32_e32 vcc, 0, v1
	v_cndmask_b32_e64 v2, 0, v2, s[20:21]
	v_mov_b32_e32 v5, 0x78
	v_or_b32_e32 v4, 0x800000, v3
	v_cndmask_b32_e32 v2, v2, v5, vcc
	v_cndmask_b32_e32 v52, v4, v3, vcc
	v_add_u32_e32 v3, 20, v2
	v_lshlrev_b64 v[3:4], v3, -1
	v_add_u32_e32 v5, 19, v2
	v_lshlrev_b64 v[5:6], v5, 1
	v_lshrrev_b64 v[16:17], v2, v[52:53]
	v_bfi_b32 v4, v4, 0, 0
	v_bfi_b32 v3, v3, 0, v52
	v_cmp_eq_u64_e64 s[20:21], v[3:4], v[5:6]
	v_mov_b32_e32 v18, v17
	v_mov_b32_e32 v17, v16
	s_and_saveexec_b64 s[90:91], s[20:21]
; %bb.12505:                            ;   in Loop: Header=BB6_12355 Depth=2
	v_bfe_u32 v3, v16, 20, 1
	v_add_co_u32_e64 v3, s[20:21], v16, v3
	v_add_co_u32_e64 v17, s[20:21], -1, v3
; %bb.12506:                            ;   in Loop: Header=BB6_12355 Depth=2
	s_or_b64 exec, exec, s[90:91]
	v_add_u32_e32 v1, 0xffffff81, v1
	v_mov_b32_e32 v3, 0xffffff82
	v_cndmask_b32_e32 v1, v1, v3, vcc
	v_lshrrev_b32_e32 v3, 23, v16
	v_add3_u32 v3, v2, v1, v3
	v_add_u32_e32 v2, 6, v3
	v_and_b32_e32 v1, 0xfffff, v17
	v_add_u32_e32 v52, v1, v16
	v_cmp_ne_u32_e32 vcc, 0, v2
                                        ; implicit-def: $vgpr16_vgpr17
                                        ; implicit-def: $vgpr1
	s_and_saveexec_b64 s[20:21], vcc
	s_xor_b64 s[20:21], exec, s[20:21]
; %bb.12507:                            ;   in Loop: Header=BB6_12355 Depth=2
	v_cmp_lt_u64_e32 vcc, s[58:59], v[52:53]
	v_add_u32_e32 v1, 7, v3
	v_cndmask_b32_e32 v1, v2, v1, vcc
	v_cndmask_b32_e64 v2, 0, 1, vcc
	v_lshrrev_b64 v[16:17], v2, v[52:53]
; %bb.12508:                            ;   in Loop: Header=BB6_12355 Depth=2
	s_andn2_saveexec_b64 s[20:21], s[20:21]
; %bb.12509:                            ;   in Loop: Header=BB6_12355 Depth=2
	v_mov_b32_e32 v16, v52
	v_bfe_u32 v1, v52, 23, 1
	v_mov_b32_e32 v17, v53
; %bb.12510:                            ;   in Loop: Header=BB6_12355 Depth=2
	s_or_b64 exec, exec, s[20:21]
	v_lshrrev_b64 v[2:3], 20, v[16:17]
	v_cmp_gt_i32_e32 vcc, 16, v1
	v_cndmask_b32_e32 v3, 0, v3, vcc
	v_cndmask_b32_e32 v2, 7, v2, vcc
	v_cmp_eq_u32_e32 vcc, 0, v1
	v_min_i32_e32 v1, 15, v1
	v_cmp_eq_u64_e64 s[20:21], 0, v[2:3]
	v_lshlrev_b32_e32 v1, 3, v1
	v_and_b32_e32 v1, 0xf8, v1
	v_and_or_b32 v1, v2, 7, v1
	s_and_b64 s[20:21], vcc, s[20:21]
	v_cndmask_b32_e64 v1, v1, 0, s[20:21]
	v_or_b32_e32 v0, v1, v0
	buffer_store_dword v0, off, s[0:3], s33 offset:120 ; 4-byte Folded Spill
.LBB6_12511:                            ;   in Loop: Header=BB6_12355 Depth=2
	s_or_b64 exec, exec, s[88:89]
                                        ; implicit-def: $vgpr0
.LBB6_12512:                            ;   in Loop: Header=BB6_12355 Depth=2
	s_andn2_saveexec_b64 s[20:21], s[78:79]
	s_cbranch_execz .LBB6_12514
; %bb.12513:                            ;   in Loop: Header=BB6_12355 Depth=2
	v_or_b32_e32 v0, 0x7e, v0
	buffer_store_dword v0, off, s[0:3], s33 offset:120 ; 4-byte Folded Spill
.LBB6_12514:                            ;   in Loop: Header=BB6_12355 Depth=2
	s_or_b64 exec, exec, s[20:21]
                                        ; implicit-def: $vgpr1
.LBB6_12515:                            ;   in Loop: Header=BB6_12355 Depth=2
	s_andn2_saveexec_b64 s[20:21], s[76:77]
	s_cbranch_execz .LBB6_12517
; %bb.12516:                            ;   in Loop: Header=BB6_12355 Depth=2
	v_or_b32_sdwa v0, v1, s39 dst_sel:DWORD dst_unused:UNUSED_PAD src0_sel:BYTE_3 src1_sel:DWORD
	buffer_store_dword v0, off, s[0:3], s33 offset:120 ; 4-byte Folded Spill
.LBB6_12517:                            ;   in Loop: Header=BB6_12355 Depth=2
	s_or_b64 exec, exec, s[20:21]
	v_cmp_lt_u64_e32 vcc, s[60:61], v[10:11]
	v_mov_b32_e32 v0, 0
	s_and_saveexec_b64 s[20:21], vcc
	s_cbranch_execz .LBB6_12523
; %bb.12518:                            ;   in Loop: Header=BB6_12355 Depth=2
	v_lshrrev_b32_e32 v10, 24, v11
	v_cmp_ne_u32_e32 vcc, s48, v10
	v_bfrev_b32_e32 v0, 1
	s_and_saveexec_b64 s[76:77], vcc
	s_cbranch_execz .LBB6_12522
; %bb.12519:                            ;   in Loop: Header=BB6_12355 Depth=2
	v_bfe_u32 v1, v11, 24, 7
	v_cmp_ne_u32_e32 vcc, s39, v1
	v_mov_b32_e32 v0, 0x7f800001
	s_and_saveexec_b64 s[78:79], vcc
	s_cbranch_execz .LBB6_12521
; %bb.12520:                            ;   in Loop: Header=BB6_12355 Depth=2
	v_and_b32_e32 v2, 7, v10
	v_ffbh_u32_e32 v0, v2
	v_min_u32_e32 v4, 32, v0
	v_subrev_u32_e32 v0, 28, v4
	v_lshrrev_b32_e32 v3, 3, v1
	v_cmp_gt_u32_e32 vcc, 8, v1
	v_lshlrev_b64 v[0:1], v0, v[10:11]
	v_sub_u32_e32 v1, 29, v4
	v_and_b32_e32 v0, 7, v0
	v_cndmask_b32_e32 v1, v3, v1, vcc
	v_cndmask_b32_e32 v0, v2, v0, vcc
	v_lshlrev_b32_e32 v2, 24, v10
	v_bfrev_b32_e32 v3, 60
	v_lshlrev_b32_e32 v0, 20, v0
	v_and_b32_e32 v2, 0x80000000, v2
	v_lshl_add_u32 v1, v1, 23, v3
	v_or3_b32 v0, v2, v1, v0
.LBB6_12521:                            ;   in Loop: Header=BB6_12355 Depth=2
	s_or_b64 exec, exec, s[78:79]
.LBB6_12522:                            ;   in Loop: Header=BB6_12355 Depth=2
	s_or_b64 exec, exec, s[76:77]
.LBB6_12523:                            ;   in Loop: Header=BB6_12355 Depth=2
	s_or_b64 exec, exec, s[20:21]
	v_mul_f32_e32 v1, v19, v0
	v_and_b32_e32 v52, 0x7f800000, v1
	v_cmp_ne_u64_e32 vcc, s[46:47], v[52:53]
                                        ; implicit-def: $vgpr0
                                        ; kill: killed $vgpr0
	s_and_saveexec_b64 s[20:21], vcc
	s_xor_b64 s[76:77], exec, s[20:21]
	s_cbranch_execz .LBB6_12537
; %bb.12524:                            ;   in Loop: Header=BB6_12355 Depth=2
	v_and_b32_e32 v52, 0x7fffffff, v1
	v_cmp_gt_u64_e32 vcc, s[56:57], v[52:53]
	v_and_b32_sdwa v0, v1, s48 dst_sel:DWORD dst_unused:UNUSED_PAD src0_sel:BYTE_3 src1_sel:DWORD
                                        ; implicit-def: $vgpr2
                                        ; kill: killed $vgpr2
	s_and_saveexec_b64 s[20:21], vcc
	s_xor_b64 s[78:79], exec, s[20:21]
	s_cbranch_execz .LBB6_12534
; %bb.12525:                            ;   in Loop: Header=BB6_12355 Depth=2
	v_mov_b32_e32 v2, 0
	v_cmp_ne_u32_e32 vcc, 0, v1
	buffer_store_dword v2, off, s[0:3], s33 offset:124 ; 4-byte Folded Spill
	s_and_saveexec_b64 s[88:89], vcc
	s_cbranch_execz .LBB6_12533
; %bb.12526:                            ;   in Loop: Header=BB6_12355 Depth=2
	v_and_b32_e32 v3, 0x7fffff, v1
	v_bfe_u32 v1, v1, 23, 8
	v_cmp_gt_u32_e64 s[20:21], s49, v1
	v_sub_u32_e32 v2, 0x79, v1
	v_cmp_eq_u32_e32 vcc, 0, v1
	v_cndmask_b32_e64 v2, 0, v2, s[20:21]
	v_mov_b32_e32 v5, 0x78
	v_or_b32_e32 v4, 0x800000, v3
	v_cndmask_b32_e32 v2, v2, v5, vcc
	v_cndmask_b32_e32 v52, v4, v3, vcc
	v_add_u32_e32 v3, 20, v2
	v_lshlrev_b64 v[3:4], v3, -1
	v_add_u32_e32 v5, 19, v2
	v_lshlrev_b64 v[5:6], v5, 1
	v_lshrrev_b64 v[10:11], v2, v[52:53]
	v_bfi_b32 v4, v4, 0, 0
	v_bfi_b32 v3, v3, 0, v52
	v_cmp_eq_u64_e64 s[20:21], v[3:4], v[5:6]
	v_mov_b32_e32 v17, v11
	v_mov_b32_e32 v16, v10
	s_and_saveexec_b64 s[90:91], s[20:21]
; %bb.12527:                            ;   in Loop: Header=BB6_12355 Depth=2
	v_bfe_u32 v3, v10, 20, 1
	v_add_co_u32_e64 v3, s[20:21], v10, v3
	v_add_co_u32_e64 v16, s[20:21], -1, v3
; %bb.12528:                            ;   in Loop: Header=BB6_12355 Depth=2
	s_or_b64 exec, exec, s[90:91]
	v_add_u32_e32 v1, 0xffffff81, v1
	v_mov_b32_e32 v3, 0xffffff82
	v_cndmask_b32_e32 v1, v1, v3, vcc
	v_lshrrev_b32_e32 v3, 23, v10
	v_add3_u32 v3, v2, v1, v3
	v_add_u32_e32 v2, 6, v3
	v_and_b32_e32 v1, 0xfffff, v16
	v_add_u32_e32 v52, v1, v10
	v_cmp_ne_u32_e32 vcc, 0, v2
                                        ; implicit-def: $vgpr10_vgpr11
                                        ; implicit-def: $vgpr1
	s_and_saveexec_b64 s[20:21], vcc
	s_xor_b64 s[20:21], exec, s[20:21]
; %bb.12529:                            ;   in Loop: Header=BB6_12355 Depth=2
	v_cmp_lt_u64_e32 vcc, s[58:59], v[52:53]
	v_add_u32_e32 v1, 7, v3
	v_cndmask_b32_e32 v1, v2, v1, vcc
	v_cndmask_b32_e64 v2, 0, 1, vcc
	v_lshrrev_b64 v[10:11], v2, v[52:53]
; %bb.12530:                            ;   in Loop: Header=BB6_12355 Depth=2
	s_andn2_saveexec_b64 s[20:21], s[20:21]
; %bb.12531:                            ;   in Loop: Header=BB6_12355 Depth=2
	v_mov_b32_e32 v10, v52
	v_bfe_u32 v1, v52, 23, 1
	v_mov_b32_e32 v11, v53
; %bb.12532:                            ;   in Loop: Header=BB6_12355 Depth=2
	s_or_b64 exec, exec, s[20:21]
	v_lshrrev_b64 v[2:3], 20, v[10:11]
	v_cmp_gt_i32_e32 vcc, 16, v1
	v_cndmask_b32_e32 v3, 0, v3, vcc
	v_cndmask_b32_e32 v2, 7, v2, vcc
	v_cmp_eq_u32_e32 vcc, 0, v1
	v_min_i32_e32 v1, 15, v1
	v_cmp_eq_u64_e64 s[20:21], 0, v[2:3]
	v_lshlrev_b32_e32 v1, 3, v1
	v_and_b32_e32 v1, 0xf8, v1
	v_and_or_b32 v1, v2, 7, v1
	s_and_b64 s[20:21], vcc, s[20:21]
	v_cndmask_b32_e64 v1, v1, 0, s[20:21]
	v_or_b32_e32 v0, v1, v0
	buffer_store_dword v0, off, s[0:3], s33 offset:124 ; 4-byte Folded Spill
.LBB6_12533:                            ;   in Loop: Header=BB6_12355 Depth=2
	s_or_b64 exec, exec, s[88:89]
                                        ; implicit-def: $vgpr0
.LBB6_12534:                            ;   in Loop: Header=BB6_12355 Depth=2
	s_andn2_saveexec_b64 s[20:21], s[78:79]
	s_cbranch_execz .LBB6_12536
; %bb.12535:                            ;   in Loop: Header=BB6_12355 Depth=2
	v_or_b32_e32 v0, 0x7e, v0
	buffer_store_dword v0, off, s[0:3], s33 offset:124 ; 4-byte Folded Spill
.LBB6_12536:                            ;   in Loop: Header=BB6_12355 Depth=2
	s_or_b64 exec, exec, s[20:21]
                                        ; implicit-def: $vgpr1
.LBB6_12537:                            ;   in Loop: Header=BB6_12355 Depth=2
	s_andn2_saveexec_b64 s[20:21], s[76:77]
	s_cbranch_execz .LBB6_12539
; %bb.12538:                            ;   in Loop: Header=BB6_12355 Depth=2
	v_or_b32_sdwa v0, v1, s39 dst_sel:DWORD dst_unused:UNUSED_PAD src0_sel:BYTE_3 src1_sel:DWORD
	buffer_store_dword v0, off, s[0:3], s33 offset:124 ; 4-byte Folded Spill
.LBB6_12539:                            ;   in Loop: Header=BB6_12355 Depth=2
	s_or_b64 exec, exec, s[20:21]
	v_cmp_ne_u16_sdwa s[76:77], v12, v53 src0_sel:BYTE_0 src1_sel:DWORD
	v_mov_b32_e32 v0, 0
	s_and_saveexec_b64 s[20:21], s[76:77]
	s_cbranch_execz .LBB6_12545
; %bb.12540:                            ;   in Loop: Header=BB6_12355 Depth=2
	v_cmp_ne_u16_sdwa s[78:79], v12, s48 src0_sel:BYTE_0 src1_sel:DWORD
	v_bfrev_b32_e32 v0, 1
	s_and_saveexec_b64 s[76:77], s[78:79]
	s_cbranch_execz .LBB6_12544
; %bb.12541:                            ;   in Loop: Header=BB6_12355 Depth=2
	v_and_b32_e32 v1, 0x7f, v12
	v_cmp_ne_u32_e32 vcc, s39, v1
	v_mov_b32_e32 v0, 0x7f800001
	s_and_saveexec_b64 s[78:79], vcc
	s_cbranch_execz .LBB6_12543
; %bb.12542:                            ;   in Loop: Header=BB6_12355 Depth=2
	v_and_b32_e32 v0, 7, v12
	v_ffbh_u32_e32 v0, v0
	v_min_u32_e32 v0, 32, v0
	v_lshrrev_b32_e32 v2, 3, v1
	v_cmp_gt_u32_e32 vcc, 8, v1
	v_subrev_u32_e32 v1, 28, v0
	v_sub_u32_e32 v0, 29, v0
	v_cndmask_b32_e32 v2, v2, v0, vcc
	v_cndmask_b32_e32 v0, 0, v1, vcc
	v_lshlrev_b64 v[0:1], v0, v[12:13]
	v_lshlrev_b32_e32 v1, 24, v12
	v_lshlrev_b32_e32 v0, 20, v0
	v_bfrev_b32_e32 v3, 60
	v_and_b32_e32 v0, 0x700000, v0
	v_and_b32_e32 v1, 0x80000000, v1
	v_lshl_add_u32 v2, v2, 23, v3
	v_or3_b32 v0, v1, v2, v0
.LBB6_12543:                            ;   in Loop: Header=BB6_12355 Depth=2
	s_or_b64 exec, exec, s[78:79]
.LBB6_12544:                            ;   in Loop: Header=BB6_12355 Depth=2
	s_or_b64 exec, exec, s[76:77]
.LBB6_12545:                            ;   in Loop: Header=BB6_12355 Depth=2
	s_or_b64 exec, exec, s[20:21]
	v_mul_f32_e32 v1, v19, v0
	v_and_b32_e32 v52, 0x7f800000, v1
	v_cmp_ne_u64_e32 vcc, s[46:47], v[52:53]
                                        ; implicit-def: $vgpr0
                                        ; kill: killed $vgpr0
	s_and_saveexec_b64 s[20:21], vcc
	s_xor_b64 s[76:77], exec, s[20:21]
	s_cbranch_execz .LBB6_12559
; %bb.12546:                            ;   in Loop: Header=BB6_12355 Depth=2
	v_and_b32_e32 v52, 0x7fffffff, v1
	v_cmp_gt_u64_e32 vcc, s[56:57], v[52:53]
	v_and_b32_sdwa v0, v1, s48 dst_sel:DWORD dst_unused:UNUSED_PAD src0_sel:BYTE_3 src1_sel:DWORD
                                        ; implicit-def: $vgpr2
                                        ; kill: killed $vgpr2
	s_and_saveexec_b64 s[20:21], vcc
	s_xor_b64 s[78:79], exec, s[20:21]
	s_cbranch_execz .LBB6_12556
; %bb.12547:                            ;   in Loop: Header=BB6_12355 Depth=2
	v_mov_b32_e32 v2, 0
	v_cmp_ne_u32_e32 vcc, 0, v1
	buffer_store_dword v2, off, s[0:3], s33 offset:128 ; 4-byte Folded Spill
	s_and_saveexec_b64 s[88:89], vcc
	s_cbranch_execz .LBB6_12555
; %bb.12548:                            ;   in Loop: Header=BB6_12355 Depth=2
	v_and_b32_e32 v3, 0x7fffff, v1
	v_bfe_u32 v1, v1, 23, 8
	v_cmp_gt_u32_e64 s[20:21], s49, v1
	v_sub_u32_e32 v2, 0x79, v1
	v_cmp_eq_u32_e32 vcc, 0, v1
	v_cndmask_b32_e64 v2, 0, v2, s[20:21]
	v_mov_b32_e32 v5, 0x78
	v_or_b32_e32 v4, 0x800000, v3
	v_cndmask_b32_e32 v2, v2, v5, vcc
	v_cndmask_b32_e32 v52, v4, v3, vcc
	v_add_u32_e32 v3, 20, v2
	v_lshlrev_b64 v[3:4], v3, -1
	v_add_u32_e32 v5, 19, v2
	v_lshlrev_b64 v[5:6], v5, 1
	v_lshrrev_b64 v[10:11], v2, v[52:53]
	v_bfi_b32 v4, v4, 0, 0
	v_bfi_b32 v3, v3, 0, v52
	v_cmp_eq_u64_e64 s[20:21], v[3:4], v[5:6]
	v_mov_b32_e32 v17, v11
	v_mov_b32_e32 v16, v10
	s_and_saveexec_b64 s[90:91], s[20:21]
; %bb.12549:                            ;   in Loop: Header=BB6_12355 Depth=2
	v_bfe_u32 v3, v10, 20, 1
	v_add_co_u32_e64 v3, s[20:21], v10, v3
	v_add_co_u32_e64 v16, s[20:21], -1, v3
; %bb.12550:                            ;   in Loop: Header=BB6_12355 Depth=2
	s_or_b64 exec, exec, s[90:91]
	v_add_u32_e32 v1, 0xffffff81, v1
	v_mov_b32_e32 v3, 0xffffff82
	v_cndmask_b32_e32 v1, v1, v3, vcc
	v_lshrrev_b32_e32 v3, 23, v10
	v_add3_u32 v3, v2, v1, v3
	v_add_u32_e32 v2, 6, v3
	v_and_b32_e32 v1, 0xfffff, v16
	v_add_u32_e32 v52, v1, v10
	v_cmp_ne_u32_e32 vcc, 0, v2
                                        ; implicit-def: $vgpr10_vgpr11
                                        ; implicit-def: $vgpr1
	s_and_saveexec_b64 s[20:21], vcc
	s_xor_b64 s[20:21], exec, s[20:21]
; %bb.12551:                            ;   in Loop: Header=BB6_12355 Depth=2
	v_cmp_lt_u64_e32 vcc, s[58:59], v[52:53]
	v_add_u32_e32 v1, 7, v3
	v_cndmask_b32_e32 v1, v2, v1, vcc
	v_cndmask_b32_e64 v2, 0, 1, vcc
	v_lshrrev_b64 v[10:11], v2, v[52:53]
; %bb.12552:                            ;   in Loop: Header=BB6_12355 Depth=2
	s_andn2_saveexec_b64 s[20:21], s[20:21]
; %bb.12553:                            ;   in Loop: Header=BB6_12355 Depth=2
	v_mov_b32_e32 v10, v52
	v_bfe_u32 v1, v52, 23, 1
	v_mov_b32_e32 v11, v53
; %bb.12554:                            ;   in Loop: Header=BB6_12355 Depth=2
	s_or_b64 exec, exec, s[20:21]
	v_lshrrev_b64 v[2:3], 20, v[10:11]
	v_cmp_gt_i32_e32 vcc, 16, v1
	v_cndmask_b32_e32 v3, 0, v3, vcc
	v_cndmask_b32_e32 v2, 7, v2, vcc
	v_cmp_eq_u32_e32 vcc, 0, v1
	v_min_i32_e32 v1, 15, v1
	v_cmp_eq_u64_e64 s[20:21], 0, v[2:3]
	v_lshlrev_b32_e32 v1, 3, v1
	v_and_b32_e32 v1, 0xf8, v1
	v_and_or_b32 v1, v2, 7, v1
	s_and_b64 s[20:21], vcc, s[20:21]
	v_cndmask_b32_e64 v1, v1, 0, s[20:21]
	v_or_b32_e32 v0, v1, v0
	buffer_store_dword v0, off, s[0:3], s33 offset:128 ; 4-byte Folded Spill
.LBB6_12555:                            ;   in Loop: Header=BB6_12355 Depth=2
	s_or_b64 exec, exec, s[88:89]
                                        ; implicit-def: $vgpr0
.LBB6_12556:                            ;   in Loop: Header=BB6_12355 Depth=2
	s_andn2_saveexec_b64 s[20:21], s[78:79]
	s_cbranch_execz .LBB6_12558
; %bb.12557:                            ;   in Loop: Header=BB6_12355 Depth=2
	v_or_b32_e32 v0, 0x7e, v0
	buffer_store_dword v0, off, s[0:3], s33 offset:128 ; 4-byte Folded Spill
.LBB6_12558:                            ;   in Loop: Header=BB6_12355 Depth=2
	s_or_b64 exec, exec, s[20:21]
                                        ; implicit-def: $vgpr1
.LBB6_12559:                            ;   in Loop: Header=BB6_12355 Depth=2
	s_andn2_saveexec_b64 s[20:21], s[76:77]
	s_cbranch_execz .LBB6_12561
; %bb.12560:                            ;   in Loop: Header=BB6_12355 Depth=2
	v_or_b32_sdwa v0, v1, s39 dst_sel:DWORD dst_unused:UNUSED_PAD src0_sel:BYTE_3 src1_sel:DWORD
	buffer_store_dword v0, off, s[0:3], s33 offset:128 ; 4-byte Folded Spill
.LBB6_12561:                            ;   in Loop: Header=BB6_12355 Depth=2
	s_or_b64 exec, exec, s[20:21]
	v_lshrrev_b16_e32 v10, 8, v12
	v_cmp_ne_u16_e32 vcc, 0, v10
	v_mov_b32_e32 v0, 0
	s_and_saveexec_b64 s[20:21], vcc
	s_cbranch_execz .LBB6_12567
; %bb.12562:                            ;   in Loop: Header=BB6_12355 Depth=2
	v_cmp_ne_u16_e32 vcc, s48, v10
	v_bfrev_b32_e32 v0, 1
	s_and_saveexec_b64 s[76:77], vcc
	s_cbranch_execz .LBB6_12566
; %bb.12563:                            ;   in Loop: Header=BB6_12355 Depth=2
	v_and_b32_e32 v1, 0x7f, v10
	v_cmp_ne_u32_e32 vcc, s39, v1
	v_mov_b32_e32 v0, 0x7f800001
	s_and_saveexec_b64 s[78:79], vcc
	s_cbranch_execz .LBB6_12565
; %bb.12564:                            ;   in Loop: Header=BB6_12355 Depth=2
	v_and_b32_e32 v2, 7, v10
	v_ffbh_u32_e32 v0, v2
	v_min_u32_e32 v4, 32, v0
	v_subrev_u32_e32 v0, 28, v4
	v_lshrrev_b32_e32 v3, 3, v1
	v_cmp_gt_u32_e32 vcc, 8, v1
	v_lshlrev_b64 v[0:1], v0, v[10:11]
	v_sub_u32_e32 v1, 29, v4
	v_and_b32_e32 v0, 7, v0
	v_cndmask_b32_e32 v1, v3, v1, vcc
	v_cndmask_b32_e32 v0, v2, v0, vcc
	v_lshlrev_b32_e32 v2, 16, v12
	v_bfrev_b32_e32 v3, 60
	v_lshlrev_b32_e32 v0, 20, v0
	v_and_b32_e32 v2, 0x80000000, v2
	v_lshl_add_u32 v1, v1, 23, v3
	v_or3_b32 v0, v2, v1, v0
.LBB6_12565:                            ;   in Loop: Header=BB6_12355 Depth=2
	s_or_b64 exec, exec, s[78:79]
.LBB6_12566:                            ;   in Loop: Header=BB6_12355 Depth=2
	s_or_b64 exec, exec, s[76:77]
.LBB6_12567:                            ;   in Loop: Header=BB6_12355 Depth=2
	s_or_b64 exec, exec, s[20:21]
	v_mul_f32_e32 v1, v19, v0
	v_and_b32_e32 v52, 0x7f800000, v1
	v_cmp_ne_u64_e32 vcc, s[46:47], v[52:53]
                                        ; implicit-def: $vgpr0
                                        ; kill: killed $vgpr0
	s_and_saveexec_b64 s[20:21], vcc
	s_xor_b64 s[76:77], exec, s[20:21]
	s_cbranch_execz .LBB6_12581
; %bb.12568:                            ;   in Loop: Header=BB6_12355 Depth=2
	v_and_b32_e32 v52, 0x7fffffff, v1
	v_cmp_gt_u64_e32 vcc, s[56:57], v[52:53]
	v_and_b32_sdwa v0, v1, s48 dst_sel:DWORD dst_unused:UNUSED_PAD src0_sel:BYTE_3 src1_sel:DWORD
                                        ; implicit-def: $vgpr2
                                        ; kill: killed $vgpr2
	s_and_saveexec_b64 s[20:21], vcc
	s_xor_b64 s[78:79], exec, s[20:21]
	s_cbranch_execz .LBB6_12578
; %bb.12569:                            ;   in Loop: Header=BB6_12355 Depth=2
	v_mov_b32_e32 v2, 0
	v_cmp_ne_u32_e32 vcc, 0, v1
	buffer_store_dword v2, off, s[0:3], s33 offset:132 ; 4-byte Folded Spill
	s_and_saveexec_b64 s[88:89], vcc
	s_cbranch_execz .LBB6_12577
; %bb.12570:                            ;   in Loop: Header=BB6_12355 Depth=2
	v_and_b32_e32 v3, 0x7fffff, v1
	v_bfe_u32 v1, v1, 23, 8
	v_cmp_gt_u32_e64 s[20:21], s49, v1
	v_sub_u32_e32 v2, 0x79, v1
	v_cmp_eq_u32_e32 vcc, 0, v1
	v_cndmask_b32_e64 v2, 0, v2, s[20:21]
	v_mov_b32_e32 v5, 0x78
	v_or_b32_e32 v4, 0x800000, v3
	v_cndmask_b32_e32 v2, v2, v5, vcc
	v_cndmask_b32_e32 v52, v4, v3, vcc
	v_add_u32_e32 v3, 20, v2
	v_lshlrev_b64 v[3:4], v3, -1
	v_add_u32_e32 v5, 19, v2
	v_lshlrev_b64 v[5:6], v5, 1
	v_lshrrev_b64 v[10:11], v2, v[52:53]
	v_bfi_b32 v4, v4, 0, 0
	v_bfi_b32 v3, v3, 0, v52
	v_cmp_eq_u64_e64 s[20:21], v[3:4], v[5:6]
	v_mov_b32_e32 v17, v11
	v_mov_b32_e32 v16, v10
	s_and_saveexec_b64 s[90:91], s[20:21]
; %bb.12571:                            ;   in Loop: Header=BB6_12355 Depth=2
	v_bfe_u32 v3, v10, 20, 1
	v_add_co_u32_e64 v3, s[20:21], v10, v3
	v_add_co_u32_e64 v16, s[20:21], -1, v3
; %bb.12572:                            ;   in Loop: Header=BB6_12355 Depth=2
	s_or_b64 exec, exec, s[90:91]
	v_add_u32_e32 v1, 0xffffff81, v1
	v_mov_b32_e32 v3, 0xffffff82
	v_cndmask_b32_e32 v1, v1, v3, vcc
	v_lshrrev_b32_e32 v3, 23, v10
	v_add3_u32 v3, v2, v1, v3
	v_add_u32_e32 v2, 6, v3
	v_and_b32_e32 v1, 0xfffff, v16
	v_add_u32_e32 v52, v1, v10
	v_cmp_ne_u32_e32 vcc, 0, v2
                                        ; implicit-def: $vgpr10_vgpr11
                                        ; implicit-def: $vgpr1
	s_and_saveexec_b64 s[20:21], vcc
	s_xor_b64 s[20:21], exec, s[20:21]
; %bb.12573:                            ;   in Loop: Header=BB6_12355 Depth=2
	v_cmp_lt_u64_e32 vcc, s[58:59], v[52:53]
	v_add_u32_e32 v1, 7, v3
	v_cndmask_b32_e32 v1, v2, v1, vcc
	v_cndmask_b32_e64 v2, 0, 1, vcc
	v_lshrrev_b64 v[10:11], v2, v[52:53]
; %bb.12574:                            ;   in Loop: Header=BB6_12355 Depth=2
	s_andn2_saveexec_b64 s[20:21], s[20:21]
; %bb.12575:                            ;   in Loop: Header=BB6_12355 Depth=2
	v_mov_b32_e32 v10, v52
	v_bfe_u32 v1, v52, 23, 1
	v_mov_b32_e32 v11, v53
; %bb.12576:                            ;   in Loop: Header=BB6_12355 Depth=2
	s_or_b64 exec, exec, s[20:21]
	v_lshrrev_b64 v[2:3], 20, v[10:11]
	v_cmp_gt_i32_e32 vcc, 16, v1
	v_cndmask_b32_e32 v3, 0, v3, vcc
	v_cndmask_b32_e32 v2, 7, v2, vcc
	v_cmp_eq_u32_e32 vcc, 0, v1
	v_min_i32_e32 v1, 15, v1
	v_cmp_eq_u64_e64 s[20:21], 0, v[2:3]
	v_lshlrev_b32_e32 v1, 3, v1
	v_and_b32_e32 v1, 0xf8, v1
	v_and_or_b32 v1, v2, 7, v1
	s_and_b64 s[20:21], vcc, s[20:21]
	v_cndmask_b32_e64 v1, v1, 0, s[20:21]
	v_or_b32_e32 v0, v1, v0
	buffer_store_dword v0, off, s[0:3], s33 offset:132 ; 4-byte Folded Spill
.LBB6_12577:                            ;   in Loop: Header=BB6_12355 Depth=2
	s_or_b64 exec, exec, s[88:89]
                                        ; implicit-def: $vgpr0
.LBB6_12578:                            ;   in Loop: Header=BB6_12355 Depth=2
	s_andn2_saveexec_b64 s[20:21], s[78:79]
	s_cbranch_execz .LBB6_12580
; %bb.12579:                            ;   in Loop: Header=BB6_12355 Depth=2
	v_or_b32_e32 v0, 0x7e, v0
	buffer_store_dword v0, off, s[0:3], s33 offset:132 ; 4-byte Folded Spill
.LBB6_12580:                            ;   in Loop: Header=BB6_12355 Depth=2
	s_or_b64 exec, exec, s[20:21]
                                        ; implicit-def: $vgpr1
.LBB6_12581:                            ;   in Loop: Header=BB6_12355 Depth=2
	s_andn2_saveexec_b64 s[20:21], s[76:77]
	s_cbranch_execz .LBB6_12583
; %bb.12582:                            ;   in Loop: Header=BB6_12355 Depth=2
	v_or_b32_sdwa v0, v1, s39 dst_sel:DWORD dst_unused:UNUSED_PAD src0_sel:BYTE_3 src1_sel:DWORD
	buffer_store_dword v0, off, s[0:3], s33 offset:132 ; 4-byte Folded Spill
.LBB6_12583:                            ;   in Loop: Header=BB6_12355 Depth=2
	s_or_b64 exec, exec, s[20:21]
	v_lshrrev_b32_e32 v10, 16, v12
	v_cmp_ne_u16_sdwa s[76:77], v10, v53 src0_sel:BYTE_0 src1_sel:DWORD
	v_mov_b32_e32 v0, 0
	s_and_saveexec_b64 s[20:21], s[76:77]
	s_cbranch_execz .LBB6_12589
; %bb.12584:                            ;   in Loop: Header=BB6_12355 Depth=2
	v_cmp_ne_u16_sdwa s[78:79], v10, s48 src0_sel:BYTE_0 src1_sel:DWORD
	v_bfrev_b32_e32 v0, 1
	s_and_saveexec_b64 s[76:77], s[78:79]
	s_cbranch_execz .LBB6_12588
; %bb.12585:                            ;   in Loop: Header=BB6_12355 Depth=2
	v_bfe_u32 v1, v12, 16, 7
	v_cmp_ne_u32_e32 vcc, s39, v1
	v_mov_b32_e32 v0, 0x7f800001
	s_and_saveexec_b64 s[78:79], vcc
	s_cbranch_execz .LBB6_12587
; %bb.12586:                            ;   in Loop: Header=BB6_12355 Depth=2
	v_and_b32_e32 v2, 7, v10
	v_ffbh_u32_e32 v0, v2
	v_min_u32_e32 v4, 32, v0
	v_subrev_u32_e32 v0, 28, v4
	v_lshrrev_b32_e32 v3, 3, v1
	v_cmp_gt_u32_e32 vcc, 8, v1
	v_lshlrev_b64 v[0:1], v0, v[10:11]
	v_sub_u32_e32 v1, 29, v4
	v_and_b32_e32 v0, 7, v0
	v_cndmask_b32_e32 v1, v3, v1, vcc
	v_cndmask_b32_e32 v0, v2, v0, vcc
	v_lshlrev_b32_e32 v2, 24, v10
	v_bfrev_b32_e32 v3, 60
	v_lshlrev_b32_e32 v0, 20, v0
	v_and_b32_e32 v2, 0x80000000, v2
	v_lshl_add_u32 v1, v1, 23, v3
	v_or3_b32 v0, v2, v1, v0
.LBB6_12587:                            ;   in Loop: Header=BB6_12355 Depth=2
	s_or_b64 exec, exec, s[78:79]
.LBB6_12588:                            ;   in Loop: Header=BB6_12355 Depth=2
	s_or_b64 exec, exec, s[76:77]
.LBB6_12589:                            ;   in Loop: Header=BB6_12355 Depth=2
	s_or_b64 exec, exec, s[20:21]
	v_mul_f32_e32 v1, v19, v0
	v_and_b32_e32 v52, 0x7f800000, v1
	v_cmp_ne_u64_e32 vcc, s[46:47], v[52:53]
                                        ; implicit-def: $vgpr0
                                        ; kill: killed $vgpr0
	s_and_saveexec_b64 s[20:21], vcc
	s_xor_b64 s[76:77], exec, s[20:21]
	s_cbranch_execz .LBB6_12603
; %bb.12590:                            ;   in Loop: Header=BB6_12355 Depth=2
	v_and_b32_e32 v52, 0x7fffffff, v1
	v_cmp_gt_u64_e32 vcc, s[56:57], v[52:53]
	v_and_b32_sdwa v0, v1, s48 dst_sel:DWORD dst_unused:UNUSED_PAD src0_sel:BYTE_3 src1_sel:DWORD
                                        ; implicit-def: $vgpr2
                                        ; kill: killed $vgpr2
	s_and_saveexec_b64 s[20:21], vcc
	s_xor_b64 s[78:79], exec, s[20:21]
	s_cbranch_execz .LBB6_12600
; %bb.12591:                            ;   in Loop: Header=BB6_12355 Depth=2
	v_mov_b32_e32 v2, 0
	v_cmp_ne_u32_e32 vcc, 0, v1
	buffer_store_dword v2, off, s[0:3], s33 offset:136 ; 4-byte Folded Spill
	s_and_saveexec_b64 s[88:89], vcc
	s_cbranch_execz .LBB6_12599
; %bb.12592:                            ;   in Loop: Header=BB6_12355 Depth=2
	v_and_b32_e32 v3, 0x7fffff, v1
	v_bfe_u32 v1, v1, 23, 8
	v_cmp_gt_u32_e64 s[20:21], s49, v1
	v_sub_u32_e32 v2, 0x79, v1
	v_cmp_eq_u32_e32 vcc, 0, v1
	v_cndmask_b32_e64 v2, 0, v2, s[20:21]
	v_mov_b32_e32 v5, 0x78
	v_or_b32_e32 v4, 0x800000, v3
	v_cndmask_b32_e32 v2, v2, v5, vcc
	v_cndmask_b32_e32 v52, v4, v3, vcc
	v_add_u32_e32 v3, 20, v2
	v_lshlrev_b64 v[3:4], v3, -1
	v_add_u32_e32 v5, 19, v2
	v_lshlrev_b64 v[5:6], v5, 1
	v_lshrrev_b64 v[10:11], v2, v[52:53]
	v_bfi_b32 v4, v4, 0, 0
	v_bfi_b32 v3, v3, 0, v52
	v_cmp_eq_u64_e64 s[20:21], v[3:4], v[5:6]
	v_mov_b32_e32 v17, v11
	v_mov_b32_e32 v16, v10
	s_and_saveexec_b64 s[90:91], s[20:21]
; %bb.12593:                            ;   in Loop: Header=BB6_12355 Depth=2
	v_bfe_u32 v3, v10, 20, 1
	v_add_co_u32_e64 v3, s[20:21], v10, v3
	v_add_co_u32_e64 v16, s[20:21], -1, v3
; %bb.12594:                            ;   in Loop: Header=BB6_12355 Depth=2
	s_or_b64 exec, exec, s[90:91]
	v_add_u32_e32 v1, 0xffffff81, v1
	v_mov_b32_e32 v3, 0xffffff82
	v_cndmask_b32_e32 v1, v1, v3, vcc
	v_lshrrev_b32_e32 v3, 23, v10
	v_add3_u32 v3, v2, v1, v3
	v_add_u32_e32 v2, 6, v3
	v_and_b32_e32 v1, 0xfffff, v16
	v_add_u32_e32 v52, v1, v10
	v_cmp_ne_u32_e32 vcc, 0, v2
                                        ; implicit-def: $vgpr10_vgpr11
                                        ; implicit-def: $vgpr1
	s_and_saveexec_b64 s[20:21], vcc
	s_xor_b64 s[20:21], exec, s[20:21]
; %bb.12595:                            ;   in Loop: Header=BB6_12355 Depth=2
	v_cmp_lt_u64_e32 vcc, s[58:59], v[52:53]
	v_add_u32_e32 v1, 7, v3
	v_cndmask_b32_e32 v1, v2, v1, vcc
	v_cndmask_b32_e64 v2, 0, 1, vcc
	v_lshrrev_b64 v[10:11], v2, v[52:53]
; %bb.12596:                            ;   in Loop: Header=BB6_12355 Depth=2
	s_andn2_saveexec_b64 s[20:21], s[20:21]
; %bb.12597:                            ;   in Loop: Header=BB6_12355 Depth=2
	v_mov_b32_e32 v10, v52
	v_bfe_u32 v1, v52, 23, 1
	v_mov_b32_e32 v11, v53
; %bb.12598:                            ;   in Loop: Header=BB6_12355 Depth=2
	s_or_b64 exec, exec, s[20:21]
	v_lshrrev_b64 v[2:3], 20, v[10:11]
	v_cmp_gt_i32_e32 vcc, 16, v1
	v_cndmask_b32_e32 v3, 0, v3, vcc
	v_cndmask_b32_e32 v2, 7, v2, vcc
	v_cmp_eq_u32_e32 vcc, 0, v1
	v_min_i32_e32 v1, 15, v1
	v_cmp_eq_u64_e64 s[20:21], 0, v[2:3]
	v_lshlrev_b32_e32 v1, 3, v1
	v_and_b32_e32 v1, 0xf8, v1
	v_and_or_b32 v1, v2, 7, v1
	s_and_b64 s[20:21], vcc, s[20:21]
	v_cndmask_b32_e64 v1, v1, 0, s[20:21]
	v_or_b32_e32 v0, v1, v0
	buffer_store_dword v0, off, s[0:3], s33 offset:136 ; 4-byte Folded Spill
.LBB6_12599:                            ;   in Loop: Header=BB6_12355 Depth=2
	s_or_b64 exec, exec, s[88:89]
                                        ; implicit-def: $vgpr0
.LBB6_12600:                            ;   in Loop: Header=BB6_12355 Depth=2
	s_andn2_saveexec_b64 s[20:21], s[78:79]
	s_cbranch_execz .LBB6_12602
; %bb.12601:                            ;   in Loop: Header=BB6_12355 Depth=2
	v_or_b32_e32 v0, 0x7e, v0
	buffer_store_dword v0, off, s[0:3], s33 offset:136 ; 4-byte Folded Spill
.LBB6_12602:                            ;   in Loop: Header=BB6_12355 Depth=2
	s_or_b64 exec, exec, s[20:21]
                                        ; implicit-def: $vgpr1
.LBB6_12603:                            ;   in Loop: Header=BB6_12355 Depth=2
	s_andn2_saveexec_b64 s[20:21], s[76:77]
	s_cbranch_execz .LBB6_12605
; %bb.12604:                            ;   in Loop: Header=BB6_12355 Depth=2
	v_or_b32_sdwa v0, v1, s39 dst_sel:DWORD dst_unused:UNUSED_PAD src0_sel:BYTE_3 src1_sel:DWORD
	buffer_store_dword v0, off, s[0:3], s33 offset:136 ; 4-byte Folded Spill
.LBB6_12605:                            ;   in Loop: Header=BB6_12355 Depth=2
	s_or_b64 exec, exec, s[20:21]
	v_cmp_lt_u32_e32 vcc, s61, v12
	v_mov_b32_e32 v0, 0
	s_and_saveexec_b64 s[20:21], vcc
	s_cbranch_execz .LBB6_12611
; %bb.12606:                            ;   in Loop: Header=BB6_12355 Depth=2
	v_lshrrev_b32_e32 v10, 24, v12
	v_cmp_ne_u32_e32 vcc, s48, v10
	v_bfrev_b32_e32 v0, 1
	s_and_saveexec_b64 s[76:77], vcc
	s_cbranch_execz .LBB6_12610
; %bb.12607:                            ;   in Loop: Header=BB6_12355 Depth=2
	v_bfe_u32 v1, v12, 24, 7
	v_cmp_ne_u32_e32 vcc, s39, v1
	v_mov_b32_e32 v0, 0x7f800001
	s_and_saveexec_b64 s[78:79], vcc
	s_cbranch_execz .LBB6_12609
; %bb.12608:                            ;   in Loop: Header=BB6_12355 Depth=2
	v_and_b32_e32 v2, 7, v10
	v_ffbh_u32_e32 v0, v2
	v_min_u32_e32 v4, 32, v0
	v_subrev_u32_e32 v0, 28, v4
	v_lshrrev_b32_e32 v3, 3, v1
	v_cmp_gt_u32_e32 vcc, 8, v1
	v_lshlrev_b64 v[0:1], v0, v[10:11]
	v_sub_u32_e32 v1, 29, v4
	v_and_b32_e32 v0, 7, v0
	v_cndmask_b32_e32 v1, v3, v1, vcc
	v_cndmask_b32_e32 v0, v2, v0, vcc
	v_lshlrev_b32_e32 v2, 24, v10
	v_bfrev_b32_e32 v3, 60
	v_lshlrev_b32_e32 v0, 20, v0
	v_and_b32_e32 v2, 0x80000000, v2
	v_lshl_add_u32 v1, v1, 23, v3
	v_or3_b32 v0, v2, v1, v0
.LBB6_12609:                            ;   in Loop: Header=BB6_12355 Depth=2
	s_or_b64 exec, exec, s[78:79]
.LBB6_12610:                            ;   in Loop: Header=BB6_12355 Depth=2
	s_or_b64 exec, exec, s[76:77]
.LBB6_12611:                            ;   in Loop: Header=BB6_12355 Depth=2
	s_or_b64 exec, exec, s[20:21]
	v_mul_f32_e32 v1, v19, v0
	v_and_b32_e32 v52, 0x7f800000, v1
	v_cmp_ne_u64_e32 vcc, s[46:47], v[52:53]
                                        ; implicit-def: $vgpr0
                                        ; kill: killed $vgpr0
	s_and_saveexec_b64 s[20:21], vcc
	s_xor_b64 s[76:77], exec, s[20:21]
	s_cbranch_execz .LBB6_12625
; %bb.12612:                            ;   in Loop: Header=BB6_12355 Depth=2
	v_and_b32_e32 v52, 0x7fffffff, v1
	v_cmp_gt_u64_e32 vcc, s[56:57], v[52:53]
	v_and_b32_sdwa v0, v1, s48 dst_sel:DWORD dst_unused:UNUSED_PAD src0_sel:BYTE_3 src1_sel:DWORD
                                        ; implicit-def: $vgpr2
                                        ; kill: killed $vgpr2
	s_and_saveexec_b64 s[20:21], vcc
	s_xor_b64 s[78:79], exec, s[20:21]
	s_cbranch_execz .LBB6_12622
; %bb.12613:                            ;   in Loop: Header=BB6_12355 Depth=2
	v_mov_b32_e32 v2, 0
	v_cmp_ne_u32_e32 vcc, 0, v1
	buffer_store_dword v2, off, s[0:3], s33 offset:140 ; 4-byte Folded Spill
	s_and_saveexec_b64 s[88:89], vcc
	s_cbranch_execz .LBB6_12621
; %bb.12614:                            ;   in Loop: Header=BB6_12355 Depth=2
	v_and_b32_e32 v3, 0x7fffff, v1
	v_bfe_u32 v1, v1, 23, 8
	v_cmp_gt_u32_e64 s[20:21], s49, v1
	v_sub_u32_e32 v2, 0x79, v1
	v_cmp_eq_u32_e32 vcc, 0, v1
	v_cndmask_b32_e64 v2, 0, v2, s[20:21]
	v_mov_b32_e32 v5, 0x78
	v_or_b32_e32 v4, 0x800000, v3
	v_cndmask_b32_e32 v2, v2, v5, vcc
	v_cndmask_b32_e32 v52, v4, v3, vcc
	v_add_u32_e32 v3, 20, v2
	v_lshlrev_b64 v[3:4], v3, -1
	v_add_u32_e32 v5, 19, v2
	v_lshlrev_b64 v[5:6], v5, 1
	v_lshrrev_b64 v[10:11], v2, v[52:53]
	v_bfi_b32 v4, v4, 0, 0
	v_bfi_b32 v3, v3, 0, v52
	v_cmp_eq_u64_e64 s[20:21], v[3:4], v[5:6]
	v_mov_b32_e32 v17, v11
	v_mov_b32_e32 v16, v10
	s_and_saveexec_b64 s[90:91], s[20:21]
; %bb.12615:                            ;   in Loop: Header=BB6_12355 Depth=2
	v_bfe_u32 v3, v10, 20, 1
	v_add_co_u32_e64 v3, s[20:21], v10, v3
	v_add_co_u32_e64 v16, s[20:21], -1, v3
; %bb.12616:                            ;   in Loop: Header=BB6_12355 Depth=2
	s_or_b64 exec, exec, s[90:91]
	v_add_u32_e32 v1, 0xffffff81, v1
	v_mov_b32_e32 v3, 0xffffff82
	v_cndmask_b32_e32 v1, v1, v3, vcc
	v_lshrrev_b32_e32 v3, 23, v10
	v_add3_u32 v3, v2, v1, v3
	v_add_u32_e32 v2, 6, v3
	v_and_b32_e32 v1, 0xfffff, v16
	v_add_u32_e32 v52, v1, v10
	v_cmp_ne_u32_e32 vcc, 0, v2
                                        ; implicit-def: $vgpr10_vgpr11
                                        ; implicit-def: $vgpr1
	s_and_saveexec_b64 s[20:21], vcc
	s_xor_b64 s[20:21], exec, s[20:21]
; %bb.12617:                            ;   in Loop: Header=BB6_12355 Depth=2
	v_cmp_lt_u64_e32 vcc, s[58:59], v[52:53]
	v_add_u32_e32 v1, 7, v3
	v_cndmask_b32_e32 v1, v2, v1, vcc
	v_cndmask_b32_e64 v2, 0, 1, vcc
	v_lshrrev_b64 v[10:11], v2, v[52:53]
; %bb.12618:                            ;   in Loop: Header=BB6_12355 Depth=2
	s_andn2_saveexec_b64 s[20:21], s[20:21]
; %bb.12619:                            ;   in Loop: Header=BB6_12355 Depth=2
	v_mov_b32_e32 v10, v52
	v_bfe_u32 v1, v52, 23, 1
	v_mov_b32_e32 v11, v53
; %bb.12620:                            ;   in Loop: Header=BB6_12355 Depth=2
	s_or_b64 exec, exec, s[20:21]
	v_lshrrev_b64 v[2:3], 20, v[10:11]
	v_cmp_gt_i32_e32 vcc, 16, v1
	v_cndmask_b32_e32 v3, 0, v3, vcc
	v_cndmask_b32_e32 v2, 7, v2, vcc
	v_cmp_eq_u32_e32 vcc, 0, v1
	v_min_i32_e32 v1, 15, v1
	v_cmp_eq_u64_e64 s[20:21], 0, v[2:3]
	v_lshlrev_b32_e32 v1, 3, v1
	v_and_b32_e32 v1, 0xf8, v1
	v_and_or_b32 v1, v2, 7, v1
	s_and_b64 s[20:21], vcc, s[20:21]
	v_cndmask_b32_e64 v1, v1, 0, s[20:21]
	v_or_b32_e32 v0, v1, v0
	buffer_store_dword v0, off, s[0:3], s33 offset:140 ; 4-byte Folded Spill
.LBB6_12621:                            ;   in Loop: Header=BB6_12355 Depth=2
	s_or_b64 exec, exec, s[88:89]
                                        ; implicit-def: $vgpr0
.LBB6_12622:                            ;   in Loop: Header=BB6_12355 Depth=2
	s_andn2_saveexec_b64 s[20:21], s[78:79]
	s_cbranch_execz .LBB6_12624
; %bb.12623:                            ;   in Loop: Header=BB6_12355 Depth=2
	v_or_b32_e32 v0, 0x7e, v0
	buffer_store_dword v0, off, s[0:3], s33 offset:140 ; 4-byte Folded Spill
.LBB6_12624:                            ;   in Loop: Header=BB6_12355 Depth=2
	s_or_b64 exec, exec, s[20:21]
                                        ; implicit-def: $vgpr1
.LBB6_12625:                            ;   in Loop: Header=BB6_12355 Depth=2
	s_andn2_saveexec_b64 s[20:21], s[76:77]
	s_cbranch_execz .LBB6_12627
; %bb.12626:                            ;   in Loop: Header=BB6_12355 Depth=2
	v_or_b32_sdwa v0, v1, s39 dst_sel:DWORD dst_unused:UNUSED_PAD src0_sel:BYTE_3 src1_sel:DWORD
	buffer_store_dword v0, off, s[0:3], s33 offset:140 ; 4-byte Folded Spill
.LBB6_12627:                            ;   in Loop: Header=BB6_12355 Depth=2
	s_or_b64 exec, exec, s[20:21]
	v_mov_b32_e32 v52, v13
	v_cmp_ne_u16_sdwa s[76:77], v13, v53 src0_sel:BYTE_0 src1_sel:DWORD
	v_mov_b32_e32 v0, 0
	s_and_saveexec_b64 s[20:21], s[76:77]
	s_cbranch_execz .LBB6_12633
; %bb.12628:                            ;   in Loop: Header=BB6_12355 Depth=2
	v_cmp_ne_u16_sdwa s[78:79], v13, s48 src0_sel:BYTE_0 src1_sel:DWORD
	v_bfrev_b32_e32 v0, 1
	s_and_saveexec_b64 s[76:77], s[78:79]
	s_cbranch_execz .LBB6_12632
; %bb.12629:                            ;   in Loop: Header=BB6_12355 Depth=2
	v_and_b32_e32 v1, 0x7f, v13
	v_cmp_ne_u32_e32 vcc, s39, v1
	v_mov_b32_e32 v0, 0x7f800001
	s_and_saveexec_b64 s[78:79], vcc
	s_cbranch_execz .LBB6_12631
; %bb.12630:                            ;   in Loop: Header=BB6_12355 Depth=2
	v_and_b32_e32 v0, 7, v13
	v_ffbh_u32_e32 v0, v0
	v_min_u32_e32 v0, 32, v0
	v_lshrrev_b32_e32 v2, 3, v1
	v_cmp_gt_u32_e32 vcc, 8, v1
	v_subrev_u32_e32 v1, 28, v0
	v_sub_u32_e32 v0, 29, v0
	v_cndmask_b32_e32 v2, v2, v0, vcc
	v_cndmask_b32_e32 v0, 0, v1, vcc
	v_lshlrev_b64 v[0:1], v0, v[52:53]
	v_lshlrev_b32_e32 v1, 24, v52
	v_lshlrev_b32_e32 v0, 20, v0
	v_bfrev_b32_e32 v3, 60
	v_and_b32_e32 v0, 0x700000, v0
	v_and_b32_e32 v1, 0x80000000, v1
	v_lshl_add_u32 v2, v2, 23, v3
	v_or3_b32 v0, v1, v2, v0
.LBB6_12631:                            ;   in Loop: Header=BB6_12355 Depth=2
	s_or_b64 exec, exec, s[78:79]
.LBB6_12632:                            ;   in Loop: Header=BB6_12355 Depth=2
	s_or_b64 exec, exec, s[76:77]
.LBB6_12633:                            ;   in Loop: Header=BB6_12355 Depth=2
	s_or_b64 exec, exec, s[20:21]
	v_mul_f32_e32 v1, v19, v0
	v_and_b32_e32 v2, 0x7f800000, v1
	v_mov_b32_e32 v3, v53
	v_cmp_ne_u64_e32 vcc, s[46:47], v[2:3]
                                        ; implicit-def: $vgpr0
                                        ; kill: killed $vgpr0
	s_and_saveexec_b64 s[20:21], vcc
	s_xor_b64 s[76:77], exec, s[20:21]
	s_cbranch_execz .LBB6_12647
; %bb.12634:                            ;   in Loop: Header=BB6_12355 Depth=2
	v_and_b32_e32 v2, 0x7fffffff, v1
	v_mov_b32_e32 v3, v53
	v_cmp_gt_u64_e32 vcc, s[56:57], v[2:3]
	v_and_b32_sdwa v0, v1, s48 dst_sel:DWORD dst_unused:UNUSED_PAD src0_sel:BYTE_3 src1_sel:DWORD
                                        ; implicit-def: $vgpr2
                                        ; kill: killed $vgpr2
	s_and_saveexec_b64 s[20:21], vcc
	s_xor_b64 s[78:79], exec, s[20:21]
	s_cbranch_execz .LBB6_12644
; %bb.12635:                            ;   in Loop: Header=BB6_12355 Depth=2
	v_mov_b32_e32 v2, 0
	v_cmp_ne_u32_e32 vcc, 0, v1
	buffer_store_dword v2, off, s[0:3], s33 offset:144 ; 4-byte Folded Spill
	s_and_saveexec_b64 s[88:89], vcc
	s_cbranch_execz .LBB6_12643
; %bb.12636:                            ;   in Loop: Header=BB6_12355 Depth=2
	v_and_b32_e32 v3, 0x7fffff, v1
	v_bfe_u32 v1, v1, 23, 8
	v_cmp_gt_u32_e64 s[20:21], s49, v1
	v_sub_u32_e32 v2, 0x79, v1
	v_cmp_eq_u32_e32 vcc, 0, v1
	v_cndmask_b32_e64 v2, 0, v2, s[20:21]
	v_mov_b32_e32 v5, 0x78
	v_cndmask_b32_e32 v2, v2, v5, vcc
	v_add_u32_e32 v5, 20, v2
	v_or_b32_e32 v4, 0x800000, v3
	v_lshlrev_b64 v[5:6], v5, -1
	v_add_u32_e32 v7, 19, v2
	v_cndmask_b32_e32 v3, v4, v3, vcc
	v_lshlrev_b64 v[10:11], v7, 1
	v_mov_b32_e32 v4, v53
	v_bfi_b32 v6, v6, 0, 0
	v_bfi_b32 v5, v5, 0, v3
	v_cmp_eq_u64_e64 s[20:21], v[5:6], v[10:11]
	v_lshrrev_b64 v[10:11], v2, v[3:4]
	v_mov_b32_e32 v17, v11
	v_mov_b32_e32 v16, v10
	s_and_saveexec_b64 s[90:91], s[20:21]
; %bb.12637:                            ;   in Loop: Header=BB6_12355 Depth=2
	v_bfe_u32 v3, v10, 20, 1
	v_add_co_u32_e64 v3, s[20:21], v10, v3
	v_add_co_u32_e64 v16, s[20:21], -1, v3
; %bb.12638:                            ;   in Loop: Header=BB6_12355 Depth=2
	s_or_b64 exec, exec, s[90:91]
	v_add_u32_e32 v1, 0xffffff81, v1
	v_mov_b32_e32 v3, 0xffffff82
	v_cndmask_b32_e32 v1, v1, v3, vcc
	v_lshrrev_b32_e32 v3, 23, v10
	v_add3_u32 v3, v2, v1, v3
	v_add_u32_e32 v2, 6, v3
	v_and_b32_e32 v1, 0xfffff, v16
	v_add_u32_e32 v10, v1, v10
	v_mov_b32_e32 v11, v53
	v_cmp_ne_u32_e32 vcc, 0, v2
                                        ; implicit-def: $vgpr1
	s_and_saveexec_b64 s[20:21], vcc
	s_xor_b64 s[20:21], exec, s[20:21]
; %bb.12639:                            ;   in Loop: Header=BB6_12355 Depth=2
	v_cmp_lt_u64_e32 vcc, s[58:59], v[10:11]
	v_add_u32_e32 v1, 7, v3
	v_cndmask_b32_e32 v1, v2, v1, vcc
	v_cndmask_b32_e64 v2, 0, 1, vcc
	v_lshrrev_b64 v[10:11], v2, v[10:11]
; %bb.12640:                            ;   in Loop: Header=BB6_12355 Depth=2
	s_andn2_saveexec_b64 s[20:21], s[20:21]
; %bb.12641:                            ;   in Loop: Header=BB6_12355 Depth=2
	v_bfe_u32 v1, v10, 23, 1
; %bb.12642:                            ;   in Loop: Header=BB6_12355 Depth=2
	s_or_b64 exec, exec, s[20:21]
	v_lshrrev_b64 v[2:3], 20, v[10:11]
	v_cmp_gt_i32_e32 vcc, 16, v1
	v_cndmask_b32_e32 v3, 0, v3, vcc
	v_cndmask_b32_e32 v2, 7, v2, vcc
	v_cmp_eq_u32_e32 vcc, 0, v1
	v_min_i32_e32 v1, 15, v1
	v_cmp_eq_u64_e64 s[20:21], 0, v[2:3]
	v_lshlrev_b32_e32 v1, 3, v1
	v_and_b32_e32 v1, 0xf8, v1
	v_and_or_b32 v1, v2, 7, v1
	s_and_b64 s[20:21], vcc, s[20:21]
	v_cndmask_b32_e64 v1, v1, 0, s[20:21]
	v_or_b32_e32 v0, v1, v0
	buffer_store_dword v0, off, s[0:3], s33 offset:144 ; 4-byte Folded Spill
.LBB6_12643:                            ;   in Loop: Header=BB6_12355 Depth=2
	s_or_b64 exec, exec, s[88:89]
                                        ; implicit-def: $vgpr0
.LBB6_12644:                            ;   in Loop: Header=BB6_12355 Depth=2
	s_andn2_saveexec_b64 s[20:21], s[78:79]
	s_cbranch_execz .LBB6_12646
; %bb.12645:                            ;   in Loop: Header=BB6_12355 Depth=2
	v_or_b32_e32 v0, 0x7e, v0
	buffer_store_dword v0, off, s[0:3], s33 offset:144 ; 4-byte Folded Spill
.LBB6_12646:                            ;   in Loop: Header=BB6_12355 Depth=2
	s_or_b64 exec, exec, s[20:21]
                                        ; implicit-def: $vgpr1
.LBB6_12647:                            ;   in Loop: Header=BB6_12355 Depth=2
	s_andn2_saveexec_b64 s[20:21], s[76:77]
	s_cbranch_execz .LBB6_12649
; %bb.12648:                            ;   in Loop: Header=BB6_12355 Depth=2
	v_or_b32_sdwa v0, v1, s39 dst_sel:DWORD dst_unused:UNUSED_PAD src0_sel:BYTE_3 src1_sel:DWORD
	buffer_store_dword v0, off, s[0:3], s33 offset:144 ; 4-byte Folded Spill
.LBB6_12649:                            ;   in Loop: Header=BB6_12355 Depth=2
	s_or_b64 exec, exec, s[20:21]
	v_lshrrev_b16_e32 v10, 8, v52
	v_cmp_ne_u16_e32 vcc, 0, v10
	v_mov_b32_e32 v0, 0
	s_and_saveexec_b64 s[20:21], vcc
	s_cbranch_execz .LBB6_12655
; %bb.12650:                            ;   in Loop: Header=BB6_12355 Depth=2
	v_cmp_ne_u16_e32 vcc, s48, v10
	v_bfrev_b32_e32 v0, 1
	s_and_saveexec_b64 s[76:77], vcc
	s_cbranch_execz .LBB6_12654
; %bb.12651:                            ;   in Loop: Header=BB6_12355 Depth=2
	v_and_b32_e32 v1, 0x7f, v10
	v_cmp_ne_u32_e32 vcc, s39, v1
	v_mov_b32_e32 v0, 0x7f800001
	s_and_saveexec_b64 s[78:79], vcc
	s_cbranch_execz .LBB6_12653
; %bb.12652:                            ;   in Loop: Header=BB6_12355 Depth=2
	v_and_b32_e32 v2, 7, v10
	v_ffbh_u32_e32 v0, v2
	v_min_u32_e32 v4, 32, v0
	v_subrev_u32_e32 v0, 28, v4
	v_lshrrev_b32_e32 v3, 3, v1
	v_cmp_gt_u32_e32 vcc, 8, v1
	v_lshlrev_b64 v[0:1], v0, v[10:11]
	v_sub_u32_e32 v1, 29, v4
	v_and_b32_e32 v0, 7, v0
	v_cndmask_b32_e32 v1, v3, v1, vcc
	v_cndmask_b32_e32 v0, v2, v0, vcc
	v_lshlrev_b32_e32 v2, 16, v52
	v_bfrev_b32_e32 v3, 60
	v_lshlrev_b32_e32 v0, 20, v0
	v_and_b32_e32 v2, 0x80000000, v2
	v_lshl_add_u32 v1, v1, 23, v3
	v_or3_b32 v0, v2, v1, v0
.LBB6_12653:                            ;   in Loop: Header=BB6_12355 Depth=2
	s_or_b64 exec, exec, s[78:79]
.LBB6_12654:                            ;   in Loop: Header=BB6_12355 Depth=2
	s_or_b64 exec, exec, s[76:77]
.LBB6_12655:                            ;   in Loop: Header=BB6_12355 Depth=2
	s_or_b64 exec, exec, s[20:21]
	v_mul_f32_e32 v1, v19, v0
	v_and_b32_e32 v52, 0x7f800000, v1
	v_cmp_ne_u64_e32 vcc, s[46:47], v[52:53]
                                        ; implicit-def: $vgpr0
                                        ; kill: killed $vgpr0
	s_and_saveexec_b64 s[20:21], vcc
	s_xor_b64 s[76:77], exec, s[20:21]
	s_cbranch_execz .LBB6_12669
; %bb.12656:                            ;   in Loop: Header=BB6_12355 Depth=2
	v_and_b32_e32 v52, 0x7fffffff, v1
	v_cmp_gt_u64_e32 vcc, s[56:57], v[52:53]
	v_and_b32_sdwa v0, v1, s48 dst_sel:DWORD dst_unused:UNUSED_PAD src0_sel:BYTE_3 src1_sel:DWORD
                                        ; implicit-def: $vgpr2
                                        ; kill: killed $vgpr2
	s_and_saveexec_b64 s[20:21], vcc
	s_xor_b64 s[78:79], exec, s[20:21]
	s_cbranch_execz .LBB6_12666
; %bb.12657:                            ;   in Loop: Header=BB6_12355 Depth=2
	v_mov_b32_e32 v2, 0
	v_cmp_ne_u32_e32 vcc, 0, v1
	buffer_store_dword v2, off, s[0:3], s33 offset:148 ; 4-byte Folded Spill
	s_and_saveexec_b64 s[88:89], vcc
	s_cbranch_execz .LBB6_12665
; %bb.12658:                            ;   in Loop: Header=BB6_12355 Depth=2
	v_and_b32_e32 v3, 0x7fffff, v1
	v_bfe_u32 v1, v1, 23, 8
	v_cmp_gt_u32_e64 s[20:21], s49, v1
	v_sub_u32_e32 v2, 0x79, v1
	v_cmp_eq_u32_e32 vcc, 0, v1
	v_cndmask_b32_e64 v2, 0, v2, s[20:21]
	v_mov_b32_e32 v5, 0x78
	v_or_b32_e32 v4, 0x800000, v3
	v_cndmask_b32_e32 v2, v2, v5, vcc
	v_cndmask_b32_e32 v52, v4, v3, vcc
	v_add_u32_e32 v3, 20, v2
	v_lshlrev_b64 v[3:4], v3, -1
	v_add_u32_e32 v5, 19, v2
	v_lshlrev_b64 v[5:6], v5, 1
	v_lshrrev_b64 v[10:11], v2, v[52:53]
	v_bfi_b32 v4, v4, 0, 0
	v_bfi_b32 v3, v3, 0, v52
	v_cmp_eq_u64_e64 s[20:21], v[3:4], v[5:6]
	v_mov_b32_e32 v17, v11
	v_mov_b32_e32 v16, v10
	s_and_saveexec_b64 s[90:91], s[20:21]
; %bb.12659:                            ;   in Loop: Header=BB6_12355 Depth=2
	v_bfe_u32 v3, v10, 20, 1
	v_add_co_u32_e64 v3, s[20:21], v10, v3
	v_add_co_u32_e64 v16, s[20:21], -1, v3
; %bb.12660:                            ;   in Loop: Header=BB6_12355 Depth=2
	s_or_b64 exec, exec, s[90:91]
	v_add_u32_e32 v1, 0xffffff81, v1
	v_mov_b32_e32 v3, 0xffffff82
	v_cndmask_b32_e32 v1, v1, v3, vcc
	v_lshrrev_b32_e32 v3, 23, v10
	v_add3_u32 v3, v2, v1, v3
	v_add_u32_e32 v2, 6, v3
	v_and_b32_e32 v1, 0xfffff, v16
	v_add_u32_e32 v52, v1, v10
	v_cmp_ne_u32_e32 vcc, 0, v2
                                        ; implicit-def: $vgpr10_vgpr11
                                        ; implicit-def: $vgpr1
	s_and_saveexec_b64 s[20:21], vcc
	s_xor_b64 s[20:21], exec, s[20:21]
; %bb.12661:                            ;   in Loop: Header=BB6_12355 Depth=2
	v_cmp_lt_u64_e32 vcc, s[58:59], v[52:53]
	v_add_u32_e32 v1, 7, v3
	v_cndmask_b32_e32 v1, v2, v1, vcc
	v_cndmask_b32_e64 v2, 0, 1, vcc
	v_lshrrev_b64 v[10:11], v2, v[52:53]
; %bb.12662:                            ;   in Loop: Header=BB6_12355 Depth=2
	s_andn2_saveexec_b64 s[20:21], s[20:21]
; %bb.12663:                            ;   in Loop: Header=BB6_12355 Depth=2
	v_mov_b32_e32 v10, v52
	v_bfe_u32 v1, v52, 23, 1
	v_mov_b32_e32 v11, v53
; %bb.12664:                            ;   in Loop: Header=BB6_12355 Depth=2
	s_or_b64 exec, exec, s[20:21]
	v_lshrrev_b64 v[2:3], 20, v[10:11]
	v_cmp_gt_i32_e32 vcc, 16, v1
	v_cndmask_b32_e32 v3, 0, v3, vcc
	v_cndmask_b32_e32 v2, 7, v2, vcc
	v_cmp_eq_u32_e32 vcc, 0, v1
	v_min_i32_e32 v1, 15, v1
	v_cmp_eq_u64_e64 s[20:21], 0, v[2:3]
	v_lshlrev_b32_e32 v1, 3, v1
	v_and_b32_e32 v1, 0xf8, v1
	v_and_or_b32 v1, v2, 7, v1
	s_and_b64 s[20:21], vcc, s[20:21]
	v_cndmask_b32_e64 v1, v1, 0, s[20:21]
	v_or_b32_e32 v0, v1, v0
	buffer_store_dword v0, off, s[0:3], s33 offset:148 ; 4-byte Folded Spill
.LBB6_12665:                            ;   in Loop: Header=BB6_12355 Depth=2
	s_or_b64 exec, exec, s[88:89]
                                        ; implicit-def: $vgpr0
.LBB6_12666:                            ;   in Loop: Header=BB6_12355 Depth=2
	s_andn2_saveexec_b64 s[20:21], s[78:79]
	s_cbranch_execz .LBB6_12668
; %bb.12667:                            ;   in Loop: Header=BB6_12355 Depth=2
	v_or_b32_e32 v0, 0x7e, v0
	buffer_store_dword v0, off, s[0:3], s33 offset:148 ; 4-byte Folded Spill
.LBB6_12668:                            ;   in Loop: Header=BB6_12355 Depth=2
	s_or_b64 exec, exec, s[20:21]
                                        ; implicit-def: $vgpr1
.LBB6_12669:                            ;   in Loop: Header=BB6_12355 Depth=2
	s_andn2_saveexec_b64 s[20:21], s[76:77]
	s_cbranch_execz .LBB6_12671
; %bb.12670:                            ;   in Loop: Header=BB6_12355 Depth=2
	v_or_b32_sdwa v0, v1, s39 dst_sel:DWORD dst_unused:UNUSED_PAD src0_sel:BYTE_3 src1_sel:DWORD
	buffer_store_dword v0, off, s[0:3], s33 offset:148 ; 4-byte Folded Spill
.LBB6_12671:                            ;   in Loop: Header=BB6_12355 Depth=2
	s_or_b64 exec, exec, s[20:21]
	v_lshrrev_b32_e32 v10, 16, v13
	v_cmp_ne_u16_sdwa s[76:77], v10, v53 src0_sel:BYTE_0 src1_sel:DWORD
	v_mov_b32_e32 v0, 0
	s_and_saveexec_b64 s[20:21], s[76:77]
	s_cbranch_execz .LBB6_12677
; %bb.12672:                            ;   in Loop: Header=BB6_12355 Depth=2
	v_cmp_ne_u16_sdwa s[78:79], v10, s48 src0_sel:BYTE_0 src1_sel:DWORD
	v_bfrev_b32_e32 v0, 1
	s_and_saveexec_b64 s[76:77], s[78:79]
	s_cbranch_execz .LBB6_12676
; %bb.12673:                            ;   in Loop: Header=BB6_12355 Depth=2
	v_bfe_u32 v1, v13, 16, 7
	v_cmp_ne_u32_e32 vcc, s39, v1
	v_mov_b32_e32 v0, 0x7f800001
	s_and_saveexec_b64 s[78:79], vcc
	s_cbranch_execz .LBB6_12675
; %bb.12674:                            ;   in Loop: Header=BB6_12355 Depth=2
	v_and_b32_e32 v2, 7, v10
	v_ffbh_u32_e32 v0, v2
	v_min_u32_e32 v4, 32, v0
	v_subrev_u32_e32 v0, 28, v4
	v_lshrrev_b32_e32 v3, 3, v1
	v_cmp_gt_u32_e32 vcc, 8, v1
	v_lshlrev_b64 v[0:1], v0, v[10:11]
	v_sub_u32_e32 v1, 29, v4
	v_and_b32_e32 v0, 7, v0
	v_cndmask_b32_e32 v1, v3, v1, vcc
	v_cndmask_b32_e32 v0, v2, v0, vcc
	v_lshlrev_b32_e32 v2, 24, v10
	v_bfrev_b32_e32 v3, 60
	v_lshlrev_b32_e32 v0, 20, v0
	v_and_b32_e32 v2, 0x80000000, v2
	v_lshl_add_u32 v1, v1, 23, v3
	v_or3_b32 v0, v2, v1, v0
.LBB6_12675:                            ;   in Loop: Header=BB6_12355 Depth=2
	s_or_b64 exec, exec, s[78:79]
.LBB6_12676:                            ;   in Loop: Header=BB6_12355 Depth=2
	s_or_b64 exec, exec, s[76:77]
.LBB6_12677:                            ;   in Loop: Header=BB6_12355 Depth=2
	s_or_b64 exec, exec, s[20:21]
	v_mul_f32_e32 v1, v19, v0
	v_and_b32_e32 v52, 0x7f800000, v1
	v_cmp_ne_u64_e32 vcc, s[46:47], v[52:53]
                                        ; implicit-def: $vgpr0
                                        ; kill: killed $vgpr0
	s_and_saveexec_b64 s[20:21], vcc
	s_xor_b64 s[76:77], exec, s[20:21]
	s_cbranch_execz .LBB6_12691
; %bb.12678:                            ;   in Loop: Header=BB6_12355 Depth=2
	v_and_b32_e32 v52, 0x7fffffff, v1
	v_cmp_gt_u64_e32 vcc, s[56:57], v[52:53]
	v_and_b32_sdwa v0, v1, s48 dst_sel:DWORD dst_unused:UNUSED_PAD src0_sel:BYTE_3 src1_sel:DWORD
                                        ; implicit-def: $vgpr2
                                        ; kill: killed $vgpr2
	s_and_saveexec_b64 s[20:21], vcc
	s_xor_b64 s[78:79], exec, s[20:21]
	s_cbranch_execz .LBB6_12688
; %bb.12679:                            ;   in Loop: Header=BB6_12355 Depth=2
	v_mov_b32_e32 v2, 0
	v_cmp_ne_u32_e32 vcc, 0, v1
	buffer_store_dword v2, off, s[0:3], s33 offset:152 ; 4-byte Folded Spill
	s_and_saveexec_b64 s[88:89], vcc
	s_cbranch_execz .LBB6_12687
; %bb.12680:                            ;   in Loop: Header=BB6_12355 Depth=2
	v_and_b32_e32 v3, 0x7fffff, v1
	v_bfe_u32 v1, v1, 23, 8
	v_cmp_gt_u32_e64 s[20:21], s49, v1
	v_sub_u32_e32 v2, 0x79, v1
	v_cmp_eq_u32_e32 vcc, 0, v1
	v_cndmask_b32_e64 v2, 0, v2, s[20:21]
	v_mov_b32_e32 v5, 0x78
	v_or_b32_e32 v4, 0x800000, v3
	v_cndmask_b32_e32 v2, v2, v5, vcc
	v_cndmask_b32_e32 v52, v4, v3, vcc
	v_add_u32_e32 v3, 20, v2
	v_lshlrev_b64 v[3:4], v3, -1
	v_add_u32_e32 v5, 19, v2
	v_lshlrev_b64 v[5:6], v5, 1
	v_lshrrev_b64 v[10:11], v2, v[52:53]
	v_bfi_b32 v4, v4, 0, 0
	v_bfi_b32 v3, v3, 0, v52
	v_cmp_eq_u64_e64 s[20:21], v[3:4], v[5:6]
	v_mov_b32_e32 v17, v11
	v_mov_b32_e32 v16, v10
	s_and_saveexec_b64 s[90:91], s[20:21]
; %bb.12681:                            ;   in Loop: Header=BB6_12355 Depth=2
	v_bfe_u32 v3, v10, 20, 1
	v_add_co_u32_e64 v3, s[20:21], v10, v3
	v_add_co_u32_e64 v16, s[20:21], -1, v3
; %bb.12682:                            ;   in Loop: Header=BB6_12355 Depth=2
	s_or_b64 exec, exec, s[90:91]
	v_add_u32_e32 v1, 0xffffff81, v1
	v_mov_b32_e32 v3, 0xffffff82
	v_cndmask_b32_e32 v1, v1, v3, vcc
	v_lshrrev_b32_e32 v3, 23, v10
	v_add3_u32 v3, v2, v1, v3
	v_add_u32_e32 v2, 6, v3
	v_and_b32_e32 v1, 0xfffff, v16
	v_add_u32_e32 v52, v1, v10
	v_cmp_ne_u32_e32 vcc, 0, v2
                                        ; implicit-def: $vgpr10_vgpr11
                                        ; implicit-def: $vgpr1
	s_and_saveexec_b64 s[20:21], vcc
	s_xor_b64 s[20:21], exec, s[20:21]
; %bb.12683:                            ;   in Loop: Header=BB6_12355 Depth=2
	v_cmp_lt_u64_e32 vcc, s[58:59], v[52:53]
	v_add_u32_e32 v1, 7, v3
	v_cndmask_b32_e32 v1, v2, v1, vcc
	v_cndmask_b32_e64 v2, 0, 1, vcc
	v_lshrrev_b64 v[10:11], v2, v[52:53]
; %bb.12684:                            ;   in Loop: Header=BB6_12355 Depth=2
	s_andn2_saveexec_b64 s[20:21], s[20:21]
; %bb.12685:                            ;   in Loop: Header=BB6_12355 Depth=2
	v_mov_b32_e32 v10, v52
	v_bfe_u32 v1, v52, 23, 1
	v_mov_b32_e32 v11, v53
; %bb.12686:                            ;   in Loop: Header=BB6_12355 Depth=2
	s_or_b64 exec, exec, s[20:21]
	v_lshrrev_b64 v[2:3], 20, v[10:11]
	v_cmp_gt_i32_e32 vcc, 16, v1
	v_cndmask_b32_e32 v3, 0, v3, vcc
	v_cndmask_b32_e32 v2, 7, v2, vcc
	v_cmp_eq_u32_e32 vcc, 0, v1
	v_min_i32_e32 v1, 15, v1
	v_cmp_eq_u64_e64 s[20:21], 0, v[2:3]
	v_lshlrev_b32_e32 v1, 3, v1
	v_and_b32_e32 v1, 0xf8, v1
	v_and_or_b32 v1, v2, 7, v1
	s_and_b64 s[20:21], vcc, s[20:21]
	v_cndmask_b32_e64 v1, v1, 0, s[20:21]
	v_or_b32_e32 v0, v1, v0
	buffer_store_dword v0, off, s[0:3], s33 offset:152 ; 4-byte Folded Spill
.LBB6_12687:                            ;   in Loop: Header=BB6_12355 Depth=2
	s_or_b64 exec, exec, s[88:89]
                                        ; implicit-def: $vgpr0
.LBB6_12688:                            ;   in Loop: Header=BB6_12355 Depth=2
	s_andn2_saveexec_b64 s[20:21], s[78:79]
	s_cbranch_execz .LBB6_12690
; %bb.12689:                            ;   in Loop: Header=BB6_12355 Depth=2
	v_or_b32_e32 v0, 0x7e, v0
	buffer_store_dword v0, off, s[0:3], s33 offset:152 ; 4-byte Folded Spill
.LBB6_12690:                            ;   in Loop: Header=BB6_12355 Depth=2
	s_or_b64 exec, exec, s[20:21]
                                        ; implicit-def: $vgpr1
.LBB6_12691:                            ;   in Loop: Header=BB6_12355 Depth=2
	s_andn2_saveexec_b64 s[20:21], s[76:77]
	s_cbranch_execz .LBB6_12693
; %bb.12692:                            ;   in Loop: Header=BB6_12355 Depth=2
	v_or_b32_sdwa v0, v1, s39 dst_sel:DWORD dst_unused:UNUSED_PAD src0_sel:BYTE_3 src1_sel:DWORD
	buffer_store_dword v0, off, s[0:3], s33 offset:152 ; 4-byte Folded Spill
.LBB6_12693:                            ;   in Loop: Header=BB6_12355 Depth=2
	s_or_b64 exec, exec, s[20:21]
	v_cmp_lt_u64_e32 vcc, s[60:61], v[12:13]
	v_mov_b32_e32 v0, 0
	s_and_saveexec_b64 s[20:21], vcc
	s_cbranch_execz .LBB6_12699
; %bb.12694:                            ;   in Loop: Header=BB6_12355 Depth=2
	v_lshrrev_b32_e32 v10, 24, v13
	v_cmp_ne_u32_e32 vcc, s48, v10
	v_bfrev_b32_e32 v0, 1
	s_and_saveexec_b64 s[76:77], vcc
	s_cbranch_execz .LBB6_12698
; %bb.12695:                            ;   in Loop: Header=BB6_12355 Depth=2
	v_bfe_u32 v1, v13, 24, 7
	v_cmp_ne_u32_e32 vcc, s39, v1
	v_mov_b32_e32 v0, 0x7f800001
	s_and_saveexec_b64 s[78:79], vcc
	s_cbranch_execz .LBB6_12697
; %bb.12696:                            ;   in Loop: Header=BB6_12355 Depth=2
	v_and_b32_e32 v2, 7, v10
	v_ffbh_u32_e32 v0, v2
	v_min_u32_e32 v4, 32, v0
	v_subrev_u32_e32 v0, 28, v4
	v_lshrrev_b32_e32 v3, 3, v1
	v_cmp_gt_u32_e32 vcc, 8, v1
	v_lshlrev_b64 v[0:1], v0, v[10:11]
	v_sub_u32_e32 v1, 29, v4
	v_and_b32_e32 v0, 7, v0
	v_cndmask_b32_e32 v1, v3, v1, vcc
	v_cndmask_b32_e32 v0, v2, v0, vcc
	v_lshlrev_b32_e32 v2, 24, v10
	v_bfrev_b32_e32 v3, 60
	v_lshlrev_b32_e32 v0, 20, v0
	v_and_b32_e32 v2, 0x80000000, v2
	v_lshl_add_u32 v1, v1, 23, v3
	v_or3_b32 v0, v2, v1, v0
.LBB6_12697:                            ;   in Loop: Header=BB6_12355 Depth=2
	s_or_b64 exec, exec, s[78:79]
.LBB6_12698:                            ;   in Loop: Header=BB6_12355 Depth=2
	s_or_b64 exec, exec, s[76:77]
.LBB6_12699:                            ;   in Loop: Header=BB6_12355 Depth=2
	s_or_b64 exec, exec, s[20:21]
	v_mul_f32_e32 v1, v19, v0
	v_and_b32_e32 v52, 0x7f800000, v1
	v_cmp_ne_u64_e32 vcc, s[46:47], v[52:53]
                                        ; implicit-def: $vgpr0
                                        ; kill: killed $vgpr0
	s_and_saveexec_b64 s[20:21], vcc
	s_xor_b64 s[76:77], exec, s[20:21]
	s_cbranch_execz .LBB6_12713
; %bb.12700:                            ;   in Loop: Header=BB6_12355 Depth=2
	v_and_b32_e32 v52, 0x7fffffff, v1
	v_cmp_gt_u64_e32 vcc, s[56:57], v[52:53]
	v_and_b32_sdwa v0, v1, s48 dst_sel:DWORD dst_unused:UNUSED_PAD src0_sel:BYTE_3 src1_sel:DWORD
                                        ; implicit-def: $vgpr2
                                        ; kill: killed $vgpr2
	s_and_saveexec_b64 s[20:21], vcc
	s_xor_b64 s[78:79], exec, s[20:21]
	s_cbranch_execz .LBB6_12710
; %bb.12701:                            ;   in Loop: Header=BB6_12355 Depth=2
	v_mov_b32_e32 v2, 0
	v_cmp_ne_u32_e32 vcc, 0, v1
	buffer_store_dword v2, off, s[0:3], s33 offset:156 ; 4-byte Folded Spill
	s_and_saveexec_b64 s[88:89], vcc
	s_cbranch_execz .LBB6_12709
; %bb.12702:                            ;   in Loop: Header=BB6_12355 Depth=2
	v_and_b32_e32 v3, 0x7fffff, v1
	v_bfe_u32 v1, v1, 23, 8
	v_cmp_gt_u32_e64 s[20:21], s49, v1
	v_sub_u32_e32 v2, 0x79, v1
	v_cmp_eq_u32_e32 vcc, 0, v1
	v_cndmask_b32_e64 v2, 0, v2, s[20:21]
	v_mov_b32_e32 v5, 0x78
	v_or_b32_e32 v4, 0x800000, v3
	v_cndmask_b32_e32 v2, v2, v5, vcc
	v_cndmask_b32_e32 v52, v4, v3, vcc
	v_add_u32_e32 v3, 20, v2
	v_lshlrev_b64 v[3:4], v3, -1
	v_add_u32_e32 v5, 19, v2
	v_lshlrev_b64 v[5:6], v5, 1
	v_lshrrev_b64 v[10:11], v2, v[52:53]
	v_bfi_b32 v4, v4, 0, 0
	v_bfi_b32 v3, v3, 0, v52
	v_cmp_eq_u64_e64 s[20:21], v[3:4], v[5:6]
	v_mov_b32_e32 v12, v11
	v_mov_b32_e32 v11, v10
	s_and_saveexec_b64 s[90:91], s[20:21]
; %bb.12703:                            ;   in Loop: Header=BB6_12355 Depth=2
	v_bfe_u32 v3, v10, 20, 1
	v_add_co_u32_e64 v3, s[20:21], v10, v3
	v_add_co_u32_e64 v11, s[20:21], -1, v3
; %bb.12704:                            ;   in Loop: Header=BB6_12355 Depth=2
	s_or_b64 exec, exec, s[90:91]
	v_add_u32_e32 v1, 0xffffff81, v1
	v_mov_b32_e32 v3, 0xffffff82
	v_cndmask_b32_e32 v1, v1, v3, vcc
	v_lshrrev_b32_e32 v3, 23, v10
	v_add3_u32 v3, v2, v1, v3
	v_add_u32_e32 v2, 6, v3
	v_and_b32_e32 v1, 0xfffff, v11
	v_add_u32_e32 v52, v1, v10
	v_cmp_ne_u32_e32 vcc, 0, v2
                                        ; implicit-def: $vgpr10_vgpr11
                                        ; implicit-def: $vgpr1
	s_and_saveexec_b64 s[20:21], vcc
	s_xor_b64 s[20:21], exec, s[20:21]
; %bb.12705:                            ;   in Loop: Header=BB6_12355 Depth=2
	v_cmp_lt_u64_e32 vcc, s[58:59], v[52:53]
	v_add_u32_e32 v1, 7, v3
	v_cndmask_b32_e32 v1, v2, v1, vcc
	v_cndmask_b32_e64 v2, 0, 1, vcc
	v_lshrrev_b64 v[10:11], v2, v[52:53]
; %bb.12706:                            ;   in Loop: Header=BB6_12355 Depth=2
	s_andn2_saveexec_b64 s[20:21], s[20:21]
; %bb.12707:                            ;   in Loop: Header=BB6_12355 Depth=2
	v_mov_b32_e32 v10, v52
	v_bfe_u32 v1, v52, 23, 1
	v_mov_b32_e32 v11, v53
; %bb.12708:                            ;   in Loop: Header=BB6_12355 Depth=2
	s_or_b64 exec, exec, s[20:21]
	v_lshrrev_b64 v[2:3], 20, v[10:11]
	v_cmp_gt_i32_e32 vcc, 16, v1
	v_cndmask_b32_e32 v3, 0, v3, vcc
	v_cndmask_b32_e32 v2, 7, v2, vcc
	v_cmp_eq_u32_e32 vcc, 0, v1
	v_min_i32_e32 v1, 15, v1
	v_cmp_eq_u64_e64 s[20:21], 0, v[2:3]
	v_lshlrev_b32_e32 v1, 3, v1
	v_and_b32_e32 v1, 0xf8, v1
	v_and_or_b32 v1, v2, 7, v1
	s_and_b64 s[20:21], vcc, s[20:21]
	v_cndmask_b32_e64 v1, v1, 0, s[20:21]
	v_or_b32_e32 v0, v1, v0
	buffer_store_dword v0, off, s[0:3], s33 offset:156 ; 4-byte Folded Spill
.LBB6_12709:                            ;   in Loop: Header=BB6_12355 Depth=2
	s_or_b64 exec, exec, s[88:89]
                                        ; implicit-def: $vgpr0
.LBB6_12710:                            ;   in Loop: Header=BB6_12355 Depth=2
	s_andn2_saveexec_b64 s[20:21], s[78:79]
	s_cbranch_execz .LBB6_12712
; %bb.12711:                            ;   in Loop: Header=BB6_12355 Depth=2
	v_or_b32_e32 v0, 0x7e, v0
	buffer_store_dword v0, off, s[0:3], s33 offset:156 ; 4-byte Folded Spill
.LBB6_12712:                            ;   in Loop: Header=BB6_12355 Depth=2
	s_or_b64 exec, exec, s[20:21]
                                        ; implicit-def: $vgpr1
.LBB6_12713:                            ;   in Loop: Header=BB6_12355 Depth=2
	s_andn2_saveexec_b64 s[20:21], s[76:77]
	s_cbranch_execz .LBB6_12715
; %bb.12714:                            ;   in Loop: Header=BB6_12355 Depth=2
	v_or_b32_sdwa v0, v1, s39 dst_sel:DWORD dst_unused:UNUSED_PAD src0_sel:BYTE_3 src1_sel:DWORD
	buffer_store_dword v0, off, s[0:3], s33 offset:156 ; 4-byte Folded Spill
.LBB6_12715:                            ;   in Loop: Header=BB6_12355 Depth=2
	s_or_b64 exec, exec, s[20:21]
	global_load_dwordx4 v[10:13], v[14:15], off offset:1024 glc slc
	v_mov_b32_e32 v0, 0
	s_waitcnt vmcnt(0)
	v_cmp_ne_u16_sdwa s[76:77], v10, v53 src0_sel:BYTE_0 src1_sel:DWORD
	s_and_saveexec_b64 s[20:21], s[76:77]
	s_cbranch_execz .LBB6_12721
; %bb.12716:                            ;   in Loop: Header=BB6_12355 Depth=2
	v_cmp_ne_u16_sdwa s[78:79], v10, s48 src0_sel:BYTE_0 src1_sel:DWORD
	v_bfrev_b32_e32 v0, 1
	s_and_saveexec_b64 s[76:77], s[78:79]
	s_cbranch_execz .LBB6_12720
; %bb.12717:                            ;   in Loop: Header=BB6_12355 Depth=2
	v_and_b32_e32 v1, 0x7f, v10
	v_cmp_ne_u32_e32 vcc, s39, v1
	v_mov_b32_e32 v0, 0x7f800001
	s_and_saveexec_b64 s[78:79], vcc
	s_cbranch_execz .LBB6_12719
; %bb.12718:                            ;   in Loop: Header=BB6_12355 Depth=2
	v_and_b32_e32 v0, 7, v10
	v_ffbh_u32_e32 v0, v0
	v_min_u32_e32 v0, 32, v0
	v_lshrrev_b32_e32 v2, 3, v1
	v_cmp_gt_u32_e32 vcc, 8, v1
	v_subrev_u32_e32 v1, 28, v0
	v_sub_u32_e32 v0, 29, v0
	v_cndmask_b32_e32 v2, v2, v0, vcc
	v_cndmask_b32_e32 v0, 0, v1, vcc
	v_lshlrev_b64 v[0:1], v0, v[10:11]
	v_lshlrev_b32_e32 v1, 24, v10
	v_lshlrev_b32_e32 v0, 20, v0
	v_bfrev_b32_e32 v3, 60
	v_and_b32_e32 v0, 0x700000, v0
	v_and_b32_e32 v1, 0x80000000, v1
	v_lshl_add_u32 v2, v2, 23, v3
	v_or3_b32 v0, v1, v2, v0
.LBB6_12719:                            ;   in Loop: Header=BB6_12355 Depth=2
	s_or_b64 exec, exec, s[78:79]
.LBB6_12720:                            ;   in Loop: Header=BB6_12355 Depth=2
	s_or_b64 exec, exec, s[76:77]
.LBB6_12721:                            ;   in Loop: Header=BB6_12355 Depth=2
	s_or_b64 exec, exec, s[20:21]
	v_mul_f32_e32 v1, v19, v0
	v_and_b32_e32 v52, 0x7f800000, v1
	v_cmp_ne_u64_e32 vcc, s[46:47], v[52:53]
                                        ; implicit-def: $vgpr0
                                        ; kill: killed $vgpr0
	s_and_saveexec_b64 s[20:21], vcc
	s_xor_b64 s[76:77], exec, s[20:21]
	s_cbranch_execz .LBB6_12735
; %bb.12722:                            ;   in Loop: Header=BB6_12355 Depth=2
	v_and_b32_e32 v52, 0x7fffffff, v1
	v_cmp_gt_u64_e32 vcc, s[56:57], v[52:53]
	v_and_b32_sdwa v0, v1, s48 dst_sel:DWORD dst_unused:UNUSED_PAD src0_sel:BYTE_3 src1_sel:DWORD
                                        ; implicit-def: $vgpr2
                                        ; kill: killed $vgpr2
	s_and_saveexec_b64 s[20:21], vcc
	s_xor_b64 s[78:79], exec, s[20:21]
	s_cbranch_execz .LBB6_12732
; %bb.12723:                            ;   in Loop: Header=BB6_12355 Depth=2
	v_mov_b32_e32 v2, 0
	v_cmp_ne_u32_e32 vcc, 0, v1
	buffer_store_dword v2, off, s[0:3], s33 offset:160 ; 4-byte Folded Spill
	s_and_saveexec_b64 s[88:89], vcc
	s_cbranch_execz .LBB6_12731
; %bb.12724:                            ;   in Loop: Header=BB6_12355 Depth=2
	v_and_b32_e32 v3, 0x7fffff, v1
	v_bfe_u32 v1, v1, 23, 8
	v_cmp_gt_u32_e64 s[20:21], s49, v1
	v_sub_u32_e32 v2, 0x79, v1
	v_cmp_eq_u32_e32 vcc, 0, v1
	v_cndmask_b32_e64 v2, 0, v2, s[20:21]
	v_mov_b32_e32 v5, 0x78
	v_or_b32_e32 v4, 0x800000, v3
	v_cndmask_b32_e32 v2, v2, v5, vcc
	v_cndmask_b32_e32 v52, v4, v3, vcc
	v_add_u32_e32 v3, 20, v2
	v_lshlrev_b64 v[3:4], v3, -1
	v_add_u32_e32 v5, 19, v2
	v_lshlrev_b64 v[5:6], v5, 1
	v_lshrrev_b64 v[16:17], v2, v[52:53]
	v_bfi_b32 v4, v4, 0, 0
	v_bfi_b32 v3, v3, 0, v52
	v_cmp_eq_u64_e64 s[20:21], v[3:4], v[5:6]
	v_mov_b32_e32 v18, v17
	v_mov_b32_e32 v17, v16
	s_and_saveexec_b64 s[90:91], s[20:21]
; %bb.12725:                            ;   in Loop: Header=BB6_12355 Depth=2
	v_bfe_u32 v3, v16, 20, 1
	v_add_co_u32_e64 v3, s[20:21], v16, v3
	v_add_co_u32_e64 v17, s[20:21], -1, v3
; %bb.12726:                            ;   in Loop: Header=BB6_12355 Depth=2
	s_or_b64 exec, exec, s[90:91]
	v_add_u32_e32 v1, 0xffffff81, v1
	v_mov_b32_e32 v3, 0xffffff82
	v_cndmask_b32_e32 v1, v1, v3, vcc
	v_lshrrev_b32_e32 v3, 23, v16
	v_add3_u32 v3, v2, v1, v3
	v_add_u32_e32 v2, 6, v3
	v_and_b32_e32 v1, 0xfffff, v17
	v_add_u32_e32 v52, v1, v16
	v_cmp_ne_u32_e32 vcc, 0, v2
                                        ; implicit-def: $vgpr16_vgpr17
                                        ; implicit-def: $vgpr1
	s_and_saveexec_b64 s[20:21], vcc
	s_xor_b64 s[20:21], exec, s[20:21]
; %bb.12727:                            ;   in Loop: Header=BB6_12355 Depth=2
	v_cmp_lt_u64_e32 vcc, s[58:59], v[52:53]
	v_add_u32_e32 v1, 7, v3
	v_cndmask_b32_e32 v1, v2, v1, vcc
	v_cndmask_b32_e64 v2, 0, 1, vcc
	v_lshrrev_b64 v[16:17], v2, v[52:53]
; %bb.12728:                            ;   in Loop: Header=BB6_12355 Depth=2
	s_andn2_saveexec_b64 s[20:21], s[20:21]
; %bb.12729:                            ;   in Loop: Header=BB6_12355 Depth=2
	v_mov_b32_e32 v16, v52
	v_bfe_u32 v1, v52, 23, 1
	v_mov_b32_e32 v17, v53
; %bb.12730:                            ;   in Loop: Header=BB6_12355 Depth=2
	s_or_b64 exec, exec, s[20:21]
	v_lshrrev_b64 v[2:3], 20, v[16:17]
	v_cmp_gt_i32_e32 vcc, 16, v1
	v_cndmask_b32_e32 v3, 0, v3, vcc
	v_cndmask_b32_e32 v2, 7, v2, vcc
	v_cmp_eq_u32_e32 vcc, 0, v1
	v_min_i32_e32 v1, 15, v1
	v_cmp_eq_u64_e64 s[20:21], 0, v[2:3]
	v_lshlrev_b32_e32 v1, 3, v1
	v_and_b32_e32 v1, 0xf8, v1
	v_and_or_b32 v1, v2, 7, v1
	s_and_b64 s[20:21], vcc, s[20:21]
	v_cndmask_b32_e64 v1, v1, 0, s[20:21]
	v_or_b32_e32 v0, v1, v0
	buffer_store_dword v0, off, s[0:3], s33 offset:160 ; 4-byte Folded Spill
.LBB6_12731:                            ;   in Loop: Header=BB6_12355 Depth=2
	s_or_b64 exec, exec, s[88:89]
                                        ; implicit-def: $vgpr0
.LBB6_12732:                            ;   in Loop: Header=BB6_12355 Depth=2
	s_andn2_saveexec_b64 s[20:21], s[78:79]
	s_cbranch_execz .LBB6_12734
; %bb.12733:                            ;   in Loop: Header=BB6_12355 Depth=2
	v_or_b32_e32 v0, 0x7e, v0
	buffer_store_dword v0, off, s[0:3], s33 offset:160 ; 4-byte Folded Spill
.LBB6_12734:                            ;   in Loop: Header=BB6_12355 Depth=2
	s_or_b64 exec, exec, s[20:21]
                                        ; implicit-def: $vgpr1
.LBB6_12735:                            ;   in Loop: Header=BB6_12355 Depth=2
	s_andn2_saveexec_b64 s[20:21], s[76:77]
	s_cbranch_execz .LBB6_12737
; %bb.12736:                            ;   in Loop: Header=BB6_12355 Depth=2
	v_or_b32_sdwa v0, v1, s39 dst_sel:DWORD dst_unused:UNUSED_PAD src0_sel:BYTE_3 src1_sel:DWORD
	buffer_store_dword v0, off, s[0:3], s33 offset:160 ; 4-byte Folded Spill
.LBB6_12737:                            ;   in Loop: Header=BB6_12355 Depth=2
	s_or_b64 exec, exec, s[20:21]
	v_lshrrev_b16_e32 v16, 8, v10
	v_cmp_ne_u16_e32 vcc, 0, v16
	v_mov_b32_e32 v0, 0
	s_and_saveexec_b64 s[20:21], vcc
	s_cbranch_execz .LBB6_12743
; %bb.12738:                            ;   in Loop: Header=BB6_12355 Depth=2
	v_cmp_ne_u16_e32 vcc, s48, v16
	v_bfrev_b32_e32 v0, 1
	s_and_saveexec_b64 s[76:77], vcc
	s_cbranch_execz .LBB6_12742
; %bb.12739:                            ;   in Loop: Header=BB6_12355 Depth=2
	v_and_b32_e32 v1, 0x7f, v16
	v_cmp_ne_u32_e32 vcc, s39, v1
	v_mov_b32_e32 v0, 0x7f800001
	s_and_saveexec_b64 s[78:79], vcc
	s_cbranch_execz .LBB6_12741
; %bb.12740:                            ;   in Loop: Header=BB6_12355 Depth=2
	v_and_b32_e32 v2, 7, v16
	v_ffbh_u32_e32 v0, v2
	v_min_u32_e32 v4, 32, v0
	v_subrev_u32_e32 v0, 28, v4
	v_lshrrev_b32_e32 v3, 3, v1
	v_cmp_gt_u32_e32 vcc, 8, v1
	v_lshlrev_b64 v[0:1], v0, v[16:17]
	v_sub_u32_e32 v1, 29, v4
	v_and_b32_e32 v0, 7, v0
	v_cndmask_b32_e32 v1, v3, v1, vcc
	v_cndmask_b32_e32 v0, v2, v0, vcc
	v_lshlrev_b32_e32 v2, 16, v10
	v_bfrev_b32_e32 v3, 60
	v_lshlrev_b32_e32 v0, 20, v0
	v_and_b32_e32 v2, 0x80000000, v2
	v_lshl_add_u32 v1, v1, 23, v3
	v_or3_b32 v0, v2, v1, v0
.LBB6_12741:                            ;   in Loop: Header=BB6_12355 Depth=2
	s_or_b64 exec, exec, s[78:79]
.LBB6_12742:                            ;   in Loop: Header=BB6_12355 Depth=2
	s_or_b64 exec, exec, s[76:77]
.LBB6_12743:                            ;   in Loop: Header=BB6_12355 Depth=2
	s_or_b64 exec, exec, s[20:21]
	v_mul_f32_e32 v1, v19, v0
	v_and_b32_e32 v52, 0x7f800000, v1
	v_cmp_ne_u64_e32 vcc, s[46:47], v[52:53]
                                        ; implicit-def: $vgpr0
                                        ; kill: killed $vgpr0
	s_and_saveexec_b64 s[20:21], vcc
	s_xor_b64 s[76:77], exec, s[20:21]
	s_cbranch_execz .LBB6_12757
; %bb.12744:                            ;   in Loop: Header=BB6_12355 Depth=2
	v_and_b32_e32 v52, 0x7fffffff, v1
	v_cmp_gt_u64_e32 vcc, s[56:57], v[52:53]
	v_and_b32_sdwa v0, v1, s48 dst_sel:DWORD dst_unused:UNUSED_PAD src0_sel:BYTE_3 src1_sel:DWORD
                                        ; implicit-def: $vgpr2
                                        ; kill: killed $vgpr2
	s_and_saveexec_b64 s[20:21], vcc
	s_xor_b64 s[78:79], exec, s[20:21]
	s_cbranch_execz .LBB6_12754
; %bb.12745:                            ;   in Loop: Header=BB6_12355 Depth=2
	v_mov_b32_e32 v2, 0
	v_cmp_ne_u32_e32 vcc, 0, v1
	buffer_store_dword v2, off, s[0:3], s33 offset:164 ; 4-byte Folded Spill
	s_and_saveexec_b64 s[88:89], vcc
	s_cbranch_execz .LBB6_12753
; %bb.12746:                            ;   in Loop: Header=BB6_12355 Depth=2
	v_and_b32_e32 v3, 0x7fffff, v1
	v_bfe_u32 v1, v1, 23, 8
	v_cmp_gt_u32_e64 s[20:21], s49, v1
	v_sub_u32_e32 v2, 0x79, v1
	v_cmp_eq_u32_e32 vcc, 0, v1
	v_cndmask_b32_e64 v2, 0, v2, s[20:21]
	v_mov_b32_e32 v5, 0x78
	v_or_b32_e32 v4, 0x800000, v3
	v_cndmask_b32_e32 v2, v2, v5, vcc
	v_cndmask_b32_e32 v52, v4, v3, vcc
	v_add_u32_e32 v3, 20, v2
	v_lshlrev_b64 v[3:4], v3, -1
	v_add_u32_e32 v5, 19, v2
	v_lshlrev_b64 v[5:6], v5, 1
	v_lshrrev_b64 v[16:17], v2, v[52:53]
	v_bfi_b32 v4, v4, 0, 0
	v_bfi_b32 v3, v3, 0, v52
	v_cmp_eq_u64_e64 s[20:21], v[3:4], v[5:6]
	v_mov_b32_e32 v18, v17
	v_mov_b32_e32 v17, v16
	s_and_saveexec_b64 s[90:91], s[20:21]
; %bb.12747:                            ;   in Loop: Header=BB6_12355 Depth=2
	v_bfe_u32 v3, v16, 20, 1
	v_add_co_u32_e64 v3, s[20:21], v16, v3
	v_add_co_u32_e64 v17, s[20:21], -1, v3
; %bb.12748:                            ;   in Loop: Header=BB6_12355 Depth=2
	s_or_b64 exec, exec, s[90:91]
	v_add_u32_e32 v1, 0xffffff81, v1
	v_mov_b32_e32 v3, 0xffffff82
	v_cndmask_b32_e32 v1, v1, v3, vcc
	v_lshrrev_b32_e32 v3, 23, v16
	v_add3_u32 v3, v2, v1, v3
	v_add_u32_e32 v2, 6, v3
	v_and_b32_e32 v1, 0xfffff, v17
	v_add_u32_e32 v52, v1, v16
	v_cmp_ne_u32_e32 vcc, 0, v2
                                        ; implicit-def: $vgpr16_vgpr17
                                        ; implicit-def: $vgpr1
	s_and_saveexec_b64 s[20:21], vcc
	s_xor_b64 s[20:21], exec, s[20:21]
; %bb.12749:                            ;   in Loop: Header=BB6_12355 Depth=2
	v_cmp_lt_u64_e32 vcc, s[58:59], v[52:53]
	v_add_u32_e32 v1, 7, v3
	v_cndmask_b32_e32 v1, v2, v1, vcc
	v_cndmask_b32_e64 v2, 0, 1, vcc
	v_lshrrev_b64 v[16:17], v2, v[52:53]
; %bb.12750:                            ;   in Loop: Header=BB6_12355 Depth=2
	s_andn2_saveexec_b64 s[20:21], s[20:21]
; %bb.12751:                            ;   in Loop: Header=BB6_12355 Depth=2
	v_mov_b32_e32 v16, v52
	v_bfe_u32 v1, v52, 23, 1
	v_mov_b32_e32 v17, v53
; %bb.12752:                            ;   in Loop: Header=BB6_12355 Depth=2
	s_or_b64 exec, exec, s[20:21]
	v_lshrrev_b64 v[2:3], 20, v[16:17]
	v_cmp_gt_i32_e32 vcc, 16, v1
	v_cndmask_b32_e32 v3, 0, v3, vcc
	v_cndmask_b32_e32 v2, 7, v2, vcc
	v_cmp_eq_u32_e32 vcc, 0, v1
	v_min_i32_e32 v1, 15, v1
	v_cmp_eq_u64_e64 s[20:21], 0, v[2:3]
	v_lshlrev_b32_e32 v1, 3, v1
	v_and_b32_e32 v1, 0xf8, v1
	v_and_or_b32 v1, v2, 7, v1
	s_and_b64 s[20:21], vcc, s[20:21]
	v_cndmask_b32_e64 v1, v1, 0, s[20:21]
	v_or_b32_e32 v0, v1, v0
	buffer_store_dword v0, off, s[0:3], s33 offset:164 ; 4-byte Folded Spill
.LBB6_12753:                            ;   in Loop: Header=BB6_12355 Depth=2
	s_or_b64 exec, exec, s[88:89]
                                        ; implicit-def: $vgpr0
.LBB6_12754:                            ;   in Loop: Header=BB6_12355 Depth=2
	s_andn2_saveexec_b64 s[20:21], s[78:79]
	s_cbranch_execz .LBB6_12756
; %bb.12755:                            ;   in Loop: Header=BB6_12355 Depth=2
	v_or_b32_e32 v0, 0x7e, v0
	buffer_store_dword v0, off, s[0:3], s33 offset:164 ; 4-byte Folded Spill
.LBB6_12756:                            ;   in Loop: Header=BB6_12355 Depth=2
	s_or_b64 exec, exec, s[20:21]
                                        ; implicit-def: $vgpr1
.LBB6_12757:                            ;   in Loop: Header=BB6_12355 Depth=2
	s_andn2_saveexec_b64 s[20:21], s[76:77]
	s_cbranch_execz .LBB6_12759
; %bb.12758:                            ;   in Loop: Header=BB6_12355 Depth=2
	v_or_b32_sdwa v0, v1, s39 dst_sel:DWORD dst_unused:UNUSED_PAD src0_sel:BYTE_3 src1_sel:DWORD
	buffer_store_dword v0, off, s[0:3], s33 offset:164 ; 4-byte Folded Spill
.LBB6_12759:                            ;   in Loop: Header=BB6_12355 Depth=2
	s_or_b64 exec, exec, s[20:21]
	v_lshrrev_b32_e32 v16, 16, v10
	v_cmp_ne_u16_sdwa s[76:77], v16, v53 src0_sel:BYTE_0 src1_sel:DWORD
	v_mov_b32_e32 v0, 0
	s_and_saveexec_b64 s[20:21], s[76:77]
	s_cbranch_execz .LBB6_12765
; %bb.12760:                            ;   in Loop: Header=BB6_12355 Depth=2
	v_cmp_ne_u16_sdwa s[78:79], v16, s48 src0_sel:BYTE_0 src1_sel:DWORD
	v_bfrev_b32_e32 v0, 1
	s_and_saveexec_b64 s[76:77], s[78:79]
	s_cbranch_execz .LBB6_12764
; %bb.12761:                            ;   in Loop: Header=BB6_12355 Depth=2
	v_bfe_u32 v1, v10, 16, 7
	v_cmp_ne_u32_e32 vcc, s39, v1
	v_mov_b32_e32 v0, 0x7f800001
	s_and_saveexec_b64 s[78:79], vcc
	s_cbranch_execz .LBB6_12763
; %bb.12762:                            ;   in Loop: Header=BB6_12355 Depth=2
	v_and_b32_e32 v2, 7, v16
	v_ffbh_u32_e32 v0, v2
	v_min_u32_e32 v4, 32, v0
	v_subrev_u32_e32 v0, 28, v4
	v_lshrrev_b32_e32 v3, 3, v1
	v_cmp_gt_u32_e32 vcc, 8, v1
	v_lshlrev_b64 v[0:1], v0, v[16:17]
	v_sub_u32_e32 v1, 29, v4
	v_and_b32_e32 v0, 7, v0
	v_cndmask_b32_e32 v1, v3, v1, vcc
	v_cndmask_b32_e32 v0, v2, v0, vcc
	v_lshlrev_b32_e32 v2, 24, v16
	v_bfrev_b32_e32 v3, 60
	v_lshlrev_b32_e32 v0, 20, v0
	v_and_b32_e32 v2, 0x80000000, v2
	v_lshl_add_u32 v1, v1, 23, v3
	v_or3_b32 v0, v2, v1, v0
.LBB6_12763:                            ;   in Loop: Header=BB6_12355 Depth=2
	s_or_b64 exec, exec, s[78:79]
.LBB6_12764:                            ;   in Loop: Header=BB6_12355 Depth=2
	s_or_b64 exec, exec, s[76:77]
.LBB6_12765:                            ;   in Loop: Header=BB6_12355 Depth=2
	s_or_b64 exec, exec, s[20:21]
	v_mul_f32_e32 v1, v19, v0
	v_and_b32_e32 v52, 0x7f800000, v1
	v_cmp_ne_u64_e32 vcc, s[46:47], v[52:53]
                                        ; implicit-def: $vgpr0
                                        ; kill: killed $vgpr0
	s_and_saveexec_b64 s[20:21], vcc
	s_xor_b64 s[76:77], exec, s[20:21]
	s_cbranch_execz .LBB6_12779
; %bb.12766:                            ;   in Loop: Header=BB6_12355 Depth=2
	v_and_b32_e32 v52, 0x7fffffff, v1
	v_cmp_gt_u64_e32 vcc, s[56:57], v[52:53]
	v_and_b32_sdwa v0, v1, s48 dst_sel:DWORD dst_unused:UNUSED_PAD src0_sel:BYTE_3 src1_sel:DWORD
                                        ; implicit-def: $vgpr2
                                        ; kill: killed $vgpr2
	s_and_saveexec_b64 s[20:21], vcc
	s_xor_b64 s[78:79], exec, s[20:21]
	s_cbranch_execz .LBB6_12776
; %bb.12767:                            ;   in Loop: Header=BB6_12355 Depth=2
	v_mov_b32_e32 v2, 0
	v_cmp_ne_u32_e32 vcc, 0, v1
	buffer_store_dword v2, off, s[0:3], s33 offset:168 ; 4-byte Folded Spill
	s_and_saveexec_b64 s[88:89], vcc
	s_cbranch_execz .LBB6_12775
; %bb.12768:                            ;   in Loop: Header=BB6_12355 Depth=2
	v_and_b32_e32 v3, 0x7fffff, v1
	v_bfe_u32 v1, v1, 23, 8
	v_cmp_gt_u32_e64 s[20:21], s49, v1
	v_sub_u32_e32 v2, 0x79, v1
	v_cmp_eq_u32_e32 vcc, 0, v1
	v_cndmask_b32_e64 v2, 0, v2, s[20:21]
	v_mov_b32_e32 v5, 0x78
	v_or_b32_e32 v4, 0x800000, v3
	v_cndmask_b32_e32 v2, v2, v5, vcc
	v_cndmask_b32_e32 v52, v4, v3, vcc
	v_add_u32_e32 v3, 20, v2
	v_lshlrev_b64 v[3:4], v3, -1
	v_add_u32_e32 v5, 19, v2
	v_lshlrev_b64 v[5:6], v5, 1
	v_lshrrev_b64 v[16:17], v2, v[52:53]
	v_bfi_b32 v4, v4, 0, 0
	v_bfi_b32 v3, v3, 0, v52
	v_cmp_eq_u64_e64 s[20:21], v[3:4], v[5:6]
	v_mov_b32_e32 v18, v17
	v_mov_b32_e32 v17, v16
	s_and_saveexec_b64 s[90:91], s[20:21]
; %bb.12769:                            ;   in Loop: Header=BB6_12355 Depth=2
	v_bfe_u32 v3, v16, 20, 1
	v_add_co_u32_e64 v3, s[20:21], v16, v3
	v_add_co_u32_e64 v17, s[20:21], -1, v3
; %bb.12770:                            ;   in Loop: Header=BB6_12355 Depth=2
	s_or_b64 exec, exec, s[90:91]
	v_add_u32_e32 v1, 0xffffff81, v1
	v_mov_b32_e32 v3, 0xffffff82
	v_cndmask_b32_e32 v1, v1, v3, vcc
	v_lshrrev_b32_e32 v3, 23, v16
	v_add3_u32 v3, v2, v1, v3
	v_add_u32_e32 v2, 6, v3
	v_and_b32_e32 v1, 0xfffff, v17
	v_add_u32_e32 v52, v1, v16
	v_cmp_ne_u32_e32 vcc, 0, v2
                                        ; implicit-def: $vgpr16_vgpr17
                                        ; implicit-def: $vgpr1
	s_and_saveexec_b64 s[20:21], vcc
	s_xor_b64 s[20:21], exec, s[20:21]
; %bb.12771:                            ;   in Loop: Header=BB6_12355 Depth=2
	v_cmp_lt_u64_e32 vcc, s[58:59], v[52:53]
	v_add_u32_e32 v1, 7, v3
	v_cndmask_b32_e32 v1, v2, v1, vcc
	v_cndmask_b32_e64 v2, 0, 1, vcc
	v_lshrrev_b64 v[16:17], v2, v[52:53]
; %bb.12772:                            ;   in Loop: Header=BB6_12355 Depth=2
	s_andn2_saveexec_b64 s[20:21], s[20:21]
; %bb.12773:                            ;   in Loop: Header=BB6_12355 Depth=2
	v_mov_b32_e32 v16, v52
	v_bfe_u32 v1, v52, 23, 1
	v_mov_b32_e32 v17, v53
; %bb.12774:                            ;   in Loop: Header=BB6_12355 Depth=2
	s_or_b64 exec, exec, s[20:21]
	v_lshrrev_b64 v[2:3], 20, v[16:17]
	v_cmp_gt_i32_e32 vcc, 16, v1
	v_cndmask_b32_e32 v3, 0, v3, vcc
	v_cndmask_b32_e32 v2, 7, v2, vcc
	v_cmp_eq_u32_e32 vcc, 0, v1
	v_min_i32_e32 v1, 15, v1
	v_cmp_eq_u64_e64 s[20:21], 0, v[2:3]
	v_lshlrev_b32_e32 v1, 3, v1
	v_and_b32_e32 v1, 0xf8, v1
	v_and_or_b32 v1, v2, 7, v1
	s_and_b64 s[20:21], vcc, s[20:21]
	v_cndmask_b32_e64 v1, v1, 0, s[20:21]
	v_or_b32_e32 v0, v1, v0
	buffer_store_dword v0, off, s[0:3], s33 offset:168 ; 4-byte Folded Spill
.LBB6_12775:                            ;   in Loop: Header=BB6_12355 Depth=2
	s_or_b64 exec, exec, s[88:89]
                                        ; implicit-def: $vgpr0
.LBB6_12776:                            ;   in Loop: Header=BB6_12355 Depth=2
	s_andn2_saveexec_b64 s[20:21], s[78:79]
	s_cbranch_execz .LBB6_12778
; %bb.12777:                            ;   in Loop: Header=BB6_12355 Depth=2
	v_or_b32_e32 v0, 0x7e, v0
	buffer_store_dword v0, off, s[0:3], s33 offset:168 ; 4-byte Folded Spill
.LBB6_12778:                            ;   in Loop: Header=BB6_12355 Depth=2
	s_or_b64 exec, exec, s[20:21]
                                        ; implicit-def: $vgpr1
.LBB6_12779:                            ;   in Loop: Header=BB6_12355 Depth=2
	s_andn2_saveexec_b64 s[20:21], s[76:77]
	s_cbranch_execz .LBB6_12781
; %bb.12780:                            ;   in Loop: Header=BB6_12355 Depth=2
	v_or_b32_sdwa v0, v1, s39 dst_sel:DWORD dst_unused:UNUSED_PAD src0_sel:BYTE_3 src1_sel:DWORD
	buffer_store_dword v0, off, s[0:3], s33 offset:168 ; 4-byte Folded Spill
.LBB6_12781:                            ;   in Loop: Header=BB6_12355 Depth=2
	s_or_b64 exec, exec, s[20:21]
	v_cmp_lt_u32_e32 vcc, s61, v10
	v_mov_b32_e32 v0, 0
	s_and_saveexec_b64 s[20:21], vcc
	s_cbranch_execz .LBB6_12787
; %bb.12782:                            ;   in Loop: Header=BB6_12355 Depth=2
	v_lshrrev_b32_e32 v16, 24, v10
	v_cmp_ne_u32_e32 vcc, s48, v16
	v_bfrev_b32_e32 v0, 1
	s_and_saveexec_b64 s[76:77], vcc
	s_cbranch_execz .LBB6_12786
; %bb.12783:                            ;   in Loop: Header=BB6_12355 Depth=2
	v_bfe_u32 v1, v10, 24, 7
	v_cmp_ne_u32_e32 vcc, s39, v1
	v_mov_b32_e32 v0, 0x7f800001
	s_and_saveexec_b64 s[78:79], vcc
	s_cbranch_execz .LBB6_12785
; %bb.12784:                            ;   in Loop: Header=BB6_12355 Depth=2
	v_and_b32_e32 v2, 7, v16
	v_ffbh_u32_e32 v0, v2
	v_min_u32_e32 v4, 32, v0
	v_subrev_u32_e32 v0, 28, v4
	v_lshrrev_b32_e32 v3, 3, v1
	v_cmp_gt_u32_e32 vcc, 8, v1
	v_lshlrev_b64 v[0:1], v0, v[16:17]
	v_sub_u32_e32 v1, 29, v4
	v_and_b32_e32 v0, 7, v0
	v_cndmask_b32_e32 v1, v3, v1, vcc
	v_cndmask_b32_e32 v0, v2, v0, vcc
	v_lshlrev_b32_e32 v2, 24, v16
	v_bfrev_b32_e32 v3, 60
	v_lshlrev_b32_e32 v0, 20, v0
	v_and_b32_e32 v2, 0x80000000, v2
	v_lshl_add_u32 v1, v1, 23, v3
	v_or3_b32 v0, v2, v1, v0
.LBB6_12785:                            ;   in Loop: Header=BB6_12355 Depth=2
	s_or_b64 exec, exec, s[78:79]
.LBB6_12786:                            ;   in Loop: Header=BB6_12355 Depth=2
	s_or_b64 exec, exec, s[76:77]
.LBB6_12787:                            ;   in Loop: Header=BB6_12355 Depth=2
	s_or_b64 exec, exec, s[20:21]
	v_mul_f32_e32 v1, v19, v0
	v_and_b32_e32 v52, 0x7f800000, v1
	v_cmp_ne_u64_e32 vcc, s[46:47], v[52:53]
                                        ; implicit-def: $vgpr0
                                        ; kill: killed $vgpr0
	s_and_saveexec_b64 s[20:21], vcc
	s_xor_b64 s[76:77], exec, s[20:21]
	s_cbranch_execz .LBB6_12801
; %bb.12788:                            ;   in Loop: Header=BB6_12355 Depth=2
	v_and_b32_e32 v52, 0x7fffffff, v1
	v_cmp_gt_u64_e32 vcc, s[56:57], v[52:53]
	v_and_b32_sdwa v0, v1, s48 dst_sel:DWORD dst_unused:UNUSED_PAD src0_sel:BYTE_3 src1_sel:DWORD
                                        ; implicit-def: $vgpr2
                                        ; kill: killed $vgpr2
	s_and_saveexec_b64 s[20:21], vcc
	s_xor_b64 s[78:79], exec, s[20:21]
	s_cbranch_execz .LBB6_12798
; %bb.12789:                            ;   in Loop: Header=BB6_12355 Depth=2
	v_mov_b32_e32 v2, 0
	v_cmp_ne_u32_e32 vcc, 0, v1
	buffer_store_dword v2, off, s[0:3], s33 offset:172 ; 4-byte Folded Spill
	s_and_saveexec_b64 s[88:89], vcc
	s_cbranch_execz .LBB6_12797
; %bb.12790:                            ;   in Loop: Header=BB6_12355 Depth=2
	v_and_b32_e32 v3, 0x7fffff, v1
	v_bfe_u32 v1, v1, 23, 8
	v_cmp_gt_u32_e64 s[20:21], s49, v1
	v_sub_u32_e32 v2, 0x79, v1
	v_cmp_eq_u32_e32 vcc, 0, v1
	v_cndmask_b32_e64 v2, 0, v2, s[20:21]
	v_mov_b32_e32 v5, 0x78
	v_or_b32_e32 v4, 0x800000, v3
	v_cndmask_b32_e32 v2, v2, v5, vcc
	v_cndmask_b32_e32 v52, v4, v3, vcc
	v_add_u32_e32 v3, 20, v2
	v_lshlrev_b64 v[3:4], v3, -1
	v_add_u32_e32 v5, 19, v2
	v_lshlrev_b64 v[5:6], v5, 1
	v_lshrrev_b64 v[16:17], v2, v[52:53]
	v_bfi_b32 v4, v4, 0, 0
	v_bfi_b32 v3, v3, 0, v52
	v_cmp_eq_u64_e64 s[20:21], v[3:4], v[5:6]
	v_mov_b32_e32 v18, v17
	v_mov_b32_e32 v17, v16
	s_and_saveexec_b64 s[90:91], s[20:21]
; %bb.12791:                            ;   in Loop: Header=BB6_12355 Depth=2
	v_bfe_u32 v3, v16, 20, 1
	v_add_co_u32_e64 v3, s[20:21], v16, v3
	v_add_co_u32_e64 v17, s[20:21], -1, v3
; %bb.12792:                            ;   in Loop: Header=BB6_12355 Depth=2
	s_or_b64 exec, exec, s[90:91]
	v_add_u32_e32 v1, 0xffffff81, v1
	v_mov_b32_e32 v3, 0xffffff82
	v_cndmask_b32_e32 v1, v1, v3, vcc
	v_lshrrev_b32_e32 v3, 23, v16
	v_add3_u32 v3, v2, v1, v3
	v_add_u32_e32 v2, 6, v3
	v_and_b32_e32 v1, 0xfffff, v17
	v_add_u32_e32 v52, v1, v16
	v_cmp_ne_u32_e32 vcc, 0, v2
                                        ; implicit-def: $vgpr16_vgpr17
                                        ; implicit-def: $vgpr1
	s_and_saveexec_b64 s[20:21], vcc
	s_xor_b64 s[20:21], exec, s[20:21]
; %bb.12793:                            ;   in Loop: Header=BB6_12355 Depth=2
	v_cmp_lt_u64_e32 vcc, s[58:59], v[52:53]
	v_add_u32_e32 v1, 7, v3
	v_cndmask_b32_e32 v1, v2, v1, vcc
	v_cndmask_b32_e64 v2, 0, 1, vcc
	v_lshrrev_b64 v[16:17], v2, v[52:53]
; %bb.12794:                            ;   in Loop: Header=BB6_12355 Depth=2
	s_andn2_saveexec_b64 s[20:21], s[20:21]
; %bb.12795:                            ;   in Loop: Header=BB6_12355 Depth=2
	v_mov_b32_e32 v16, v52
	v_bfe_u32 v1, v52, 23, 1
	v_mov_b32_e32 v17, v53
; %bb.12796:                            ;   in Loop: Header=BB6_12355 Depth=2
	s_or_b64 exec, exec, s[20:21]
	v_lshrrev_b64 v[2:3], 20, v[16:17]
	v_cmp_gt_i32_e32 vcc, 16, v1
	v_cndmask_b32_e32 v3, 0, v3, vcc
	v_cndmask_b32_e32 v2, 7, v2, vcc
	v_cmp_eq_u32_e32 vcc, 0, v1
	v_min_i32_e32 v1, 15, v1
	v_cmp_eq_u64_e64 s[20:21], 0, v[2:3]
	v_lshlrev_b32_e32 v1, 3, v1
	v_and_b32_e32 v1, 0xf8, v1
	v_and_or_b32 v1, v2, 7, v1
	s_and_b64 s[20:21], vcc, s[20:21]
	v_cndmask_b32_e64 v1, v1, 0, s[20:21]
	v_or_b32_e32 v0, v1, v0
	buffer_store_dword v0, off, s[0:3], s33 offset:172 ; 4-byte Folded Spill
.LBB6_12797:                            ;   in Loop: Header=BB6_12355 Depth=2
	s_or_b64 exec, exec, s[88:89]
                                        ; implicit-def: $vgpr0
.LBB6_12798:                            ;   in Loop: Header=BB6_12355 Depth=2
	s_andn2_saveexec_b64 s[20:21], s[78:79]
	s_cbranch_execz .LBB6_12800
; %bb.12799:                            ;   in Loop: Header=BB6_12355 Depth=2
	v_or_b32_e32 v0, 0x7e, v0
	buffer_store_dword v0, off, s[0:3], s33 offset:172 ; 4-byte Folded Spill
.LBB6_12800:                            ;   in Loop: Header=BB6_12355 Depth=2
	s_or_b64 exec, exec, s[20:21]
                                        ; implicit-def: $vgpr1
.LBB6_12801:                            ;   in Loop: Header=BB6_12355 Depth=2
	s_andn2_saveexec_b64 s[20:21], s[76:77]
	s_cbranch_execz .LBB6_12803
; %bb.12802:                            ;   in Loop: Header=BB6_12355 Depth=2
	v_or_b32_sdwa v0, v1, s39 dst_sel:DWORD dst_unused:UNUSED_PAD src0_sel:BYTE_3 src1_sel:DWORD
	buffer_store_dword v0, off, s[0:3], s33 offset:172 ; 4-byte Folded Spill
.LBB6_12803:                            ;   in Loop: Header=BB6_12355 Depth=2
	s_or_b64 exec, exec, s[20:21]
	v_mov_b32_e32 v52, v11
	v_cmp_ne_u16_sdwa s[76:77], v11, v53 src0_sel:BYTE_0 src1_sel:DWORD
	v_mov_b32_e32 v0, 0
	s_and_saveexec_b64 s[20:21], s[76:77]
	s_cbranch_execz .LBB6_12809
; %bb.12804:                            ;   in Loop: Header=BB6_12355 Depth=2
	v_cmp_ne_u16_sdwa s[78:79], v11, s48 src0_sel:BYTE_0 src1_sel:DWORD
	v_bfrev_b32_e32 v0, 1
	s_and_saveexec_b64 s[76:77], s[78:79]
	s_cbranch_execz .LBB6_12808
; %bb.12805:                            ;   in Loop: Header=BB6_12355 Depth=2
	v_and_b32_e32 v1, 0x7f, v11
	v_cmp_ne_u32_e32 vcc, s39, v1
	v_mov_b32_e32 v0, 0x7f800001
	s_and_saveexec_b64 s[78:79], vcc
	s_cbranch_execz .LBB6_12807
; %bb.12806:                            ;   in Loop: Header=BB6_12355 Depth=2
	v_and_b32_e32 v0, 7, v11
	v_ffbh_u32_e32 v0, v0
	v_min_u32_e32 v0, 32, v0
	v_lshrrev_b32_e32 v2, 3, v1
	v_cmp_gt_u32_e32 vcc, 8, v1
	v_subrev_u32_e32 v1, 28, v0
	v_sub_u32_e32 v0, 29, v0
	v_cndmask_b32_e32 v2, v2, v0, vcc
	v_cndmask_b32_e32 v0, 0, v1, vcc
	v_lshlrev_b64 v[0:1], v0, v[52:53]
	v_lshlrev_b32_e32 v1, 24, v52
	v_lshlrev_b32_e32 v0, 20, v0
	v_bfrev_b32_e32 v3, 60
	v_and_b32_e32 v0, 0x700000, v0
	v_and_b32_e32 v1, 0x80000000, v1
	v_lshl_add_u32 v2, v2, 23, v3
	v_or3_b32 v0, v1, v2, v0
.LBB6_12807:                            ;   in Loop: Header=BB6_12355 Depth=2
	s_or_b64 exec, exec, s[78:79]
.LBB6_12808:                            ;   in Loop: Header=BB6_12355 Depth=2
	s_or_b64 exec, exec, s[76:77]
.LBB6_12809:                            ;   in Loop: Header=BB6_12355 Depth=2
	s_or_b64 exec, exec, s[20:21]
	v_mul_f32_e32 v1, v19, v0
	v_and_b32_e32 v2, 0x7f800000, v1
	v_mov_b32_e32 v3, v53
	v_cmp_ne_u64_e32 vcc, s[46:47], v[2:3]
                                        ; implicit-def: $vgpr0
                                        ; kill: killed $vgpr0
	s_and_saveexec_b64 s[20:21], vcc
	s_xor_b64 s[76:77], exec, s[20:21]
	s_cbranch_execz .LBB6_12823
; %bb.12810:                            ;   in Loop: Header=BB6_12355 Depth=2
	v_and_b32_e32 v2, 0x7fffffff, v1
	v_mov_b32_e32 v3, v53
	v_cmp_gt_u64_e32 vcc, s[56:57], v[2:3]
	v_and_b32_sdwa v0, v1, s48 dst_sel:DWORD dst_unused:UNUSED_PAD src0_sel:BYTE_3 src1_sel:DWORD
                                        ; implicit-def: $vgpr2
                                        ; kill: killed $vgpr2
	s_and_saveexec_b64 s[20:21], vcc
	s_xor_b64 s[78:79], exec, s[20:21]
	s_cbranch_execz .LBB6_12820
; %bb.12811:                            ;   in Loop: Header=BB6_12355 Depth=2
	v_mov_b32_e32 v2, 0
	v_cmp_ne_u32_e32 vcc, 0, v1
	buffer_store_dword v2, off, s[0:3], s33 offset:180 ; 4-byte Folded Spill
	s_and_saveexec_b64 s[88:89], vcc
	s_cbranch_execz .LBB6_12819
; %bb.12812:                            ;   in Loop: Header=BB6_12355 Depth=2
	v_and_b32_e32 v3, 0x7fffff, v1
	v_bfe_u32 v1, v1, 23, 8
	v_cmp_gt_u32_e64 s[20:21], s49, v1
	v_sub_u32_e32 v2, 0x79, v1
	v_cmp_eq_u32_e32 vcc, 0, v1
	v_cndmask_b32_e64 v2, 0, v2, s[20:21]
	v_mov_b32_e32 v5, 0x78
	v_cndmask_b32_e32 v2, v2, v5, vcc
	v_add_u32_e32 v5, 20, v2
	v_or_b32_e32 v4, 0x800000, v3
	v_lshlrev_b64 v[5:6], v5, -1
	v_add_u32_e32 v7, 19, v2
	v_cndmask_b32_e32 v3, v4, v3, vcc
	v_lshlrev_b64 v[16:17], v7, 1
	v_mov_b32_e32 v4, v53
	v_bfi_b32 v6, v6, 0, 0
	v_bfi_b32 v5, v5, 0, v3
	v_cmp_eq_u64_e64 s[20:21], v[5:6], v[16:17]
	v_lshrrev_b64 v[16:17], v2, v[3:4]
	v_mov_b32_e32 v18, v17
	v_mov_b32_e32 v17, v16
	s_and_saveexec_b64 s[90:91], s[20:21]
; %bb.12813:                            ;   in Loop: Header=BB6_12355 Depth=2
	v_bfe_u32 v3, v16, 20, 1
	v_add_co_u32_e64 v3, s[20:21], v16, v3
	v_add_co_u32_e64 v17, s[20:21], -1, v3
; %bb.12814:                            ;   in Loop: Header=BB6_12355 Depth=2
	s_or_b64 exec, exec, s[90:91]
	v_add_u32_e32 v1, 0xffffff81, v1
	v_mov_b32_e32 v3, 0xffffff82
	v_cndmask_b32_e32 v1, v1, v3, vcc
	v_lshrrev_b32_e32 v3, 23, v16
	v_add3_u32 v3, v2, v1, v3
	v_add_u32_e32 v2, 6, v3
	v_and_b32_e32 v1, 0xfffff, v17
	v_add_u32_e32 v16, v1, v16
	v_mov_b32_e32 v17, v53
	v_cmp_ne_u32_e32 vcc, 0, v2
                                        ; implicit-def: $vgpr1
	s_and_saveexec_b64 s[20:21], vcc
	s_xor_b64 s[20:21], exec, s[20:21]
; %bb.12815:                            ;   in Loop: Header=BB6_12355 Depth=2
	v_cmp_lt_u64_e32 vcc, s[58:59], v[16:17]
	v_add_u32_e32 v1, 7, v3
	v_cndmask_b32_e32 v1, v2, v1, vcc
	v_cndmask_b32_e64 v2, 0, 1, vcc
	v_lshrrev_b64 v[16:17], v2, v[16:17]
; %bb.12816:                            ;   in Loop: Header=BB6_12355 Depth=2
	s_andn2_saveexec_b64 s[20:21], s[20:21]
; %bb.12817:                            ;   in Loop: Header=BB6_12355 Depth=2
	v_bfe_u32 v1, v16, 23, 1
; %bb.12818:                            ;   in Loop: Header=BB6_12355 Depth=2
	s_or_b64 exec, exec, s[20:21]
	v_lshrrev_b64 v[2:3], 20, v[16:17]
	v_cmp_gt_i32_e32 vcc, 16, v1
	v_cndmask_b32_e32 v3, 0, v3, vcc
	v_cndmask_b32_e32 v2, 7, v2, vcc
	v_cmp_eq_u32_e32 vcc, 0, v1
	v_min_i32_e32 v1, 15, v1
	v_cmp_eq_u64_e64 s[20:21], 0, v[2:3]
	v_lshlrev_b32_e32 v1, 3, v1
	v_and_b32_e32 v1, 0xf8, v1
	v_and_or_b32 v1, v2, 7, v1
	s_and_b64 s[20:21], vcc, s[20:21]
	v_cndmask_b32_e64 v1, v1, 0, s[20:21]
	v_or_b32_e32 v0, v1, v0
	buffer_store_dword v0, off, s[0:3], s33 offset:180 ; 4-byte Folded Spill
.LBB6_12819:                            ;   in Loop: Header=BB6_12355 Depth=2
	s_or_b64 exec, exec, s[88:89]
                                        ; implicit-def: $vgpr0
.LBB6_12820:                            ;   in Loop: Header=BB6_12355 Depth=2
	s_andn2_saveexec_b64 s[20:21], s[78:79]
	s_cbranch_execz .LBB6_12822
; %bb.12821:                            ;   in Loop: Header=BB6_12355 Depth=2
	v_or_b32_e32 v0, 0x7e, v0
	buffer_store_dword v0, off, s[0:3], s33 offset:180 ; 4-byte Folded Spill
.LBB6_12822:                            ;   in Loop: Header=BB6_12355 Depth=2
	s_or_b64 exec, exec, s[20:21]
                                        ; implicit-def: $vgpr1
.LBB6_12823:                            ;   in Loop: Header=BB6_12355 Depth=2
	s_andn2_saveexec_b64 s[20:21], s[76:77]
	s_cbranch_execz .LBB6_12825
; %bb.12824:                            ;   in Loop: Header=BB6_12355 Depth=2
	v_or_b32_sdwa v0, v1, s39 dst_sel:DWORD dst_unused:UNUSED_PAD src0_sel:BYTE_3 src1_sel:DWORD
	buffer_store_dword v0, off, s[0:3], s33 offset:180 ; 4-byte Folded Spill
.LBB6_12825:                            ;   in Loop: Header=BB6_12355 Depth=2
	s_or_b64 exec, exec, s[20:21]
	v_lshrrev_b16_e32 v16, 8, v52
	v_cmp_ne_u16_e32 vcc, 0, v16
	v_mov_b32_e32 v0, 0
	s_and_saveexec_b64 s[20:21], vcc
	s_cbranch_execz .LBB6_12831
; %bb.12826:                            ;   in Loop: Header=BB6_12355 Depth=2
	v_cmp_ne_u16_e32 vcc, s48, v16
	v_bfrev_b32_e32 v0, 1
	s_and_saveexec_b64 s[76:77], vcc
	s_cbranch_execz .LBB6_12830
; %bb.12827:                            ;   in Loop: Header=BB6_12355 Depth=2
	v_and_b32_e32 v1, 0x7f, v16
	v_cmp_ne_u32_e32 vcc, s39, v1
	v_mov_b32_e32 v0, 0x7f800001
	s_and_saveexec_b64 s[78:79], vcc
	s_cbranch_execz .LBB6_12829
; %bb.12828:                            ;   in Loop: Header=BB6_12355 Depth=2
	v_and_b32_e32 v2, 7, v16
	v_ffbh_u32_e32 v0, v2
	v_min_u32_e32 v4, 32, v0
	v_subrev_u32_e32 v0, 28, v4
	v_lshrrev_b32_e32 v3, 3, v1
	v_cmp_gt_u32_e32 vcc, 8, v1
	v_lshlrev_b64 v[0:1], v0, v[16:17]
	v_sub_u32_e32 v1, 29, v4
	v_and_b32_e32 v0, 7, v0
	v_cndmask_b32_e32 v1, v3, v1, vcc
	v_cndmask_b32_e32 v0, v2, v0, vcc
	v_lshlrev_b32_e32 v2, 16, v52
	v_bfrev_b32_e32 v3, 60
	v_lshlrev_b32_e32 v0, 20, v0
	v_and_b32_e32 v2, 0x80000000, v2
	v_lshl_add_u32 v1, v1, 23, v3
	v_or3_b32 v0, v2, v1, v0
.LBB6_12829:                            ;   in Loop: Header=BB6_12355 Depth=2
	s_or_b64 exec, exec, s[78:79]
.LBB6_12830:                            ;   in Loop: Header=BB6_12355 Depth=2
	s_or_b64 exec, exec, s[76:77]
.LBB6_12831:                            ;   in Loop: Header=BB6_12355 Depth=2
	s_or_b64 exec, exec, s[20:21]
	v_mul_f32_e32 v1, v19, v0
	v_and_b32_e32 v52, 0x7f800000, v1
	v_cmp_ne_u64_e32 vcc, s[46:47], v[52:53]
                                        ; implicit-def: $vgpr0
                                        ; kill: killed $vgpr0
	s_and_saveexec_b64 s[20:21], vcc
	s_xor_b64 s[76:77], exec, s[20:21]
	s_cbranch_execz .LBB6_12845
; %bb.12832:                            ;   in Loop: Header=BB6_12355 Depth=2
	v_and_b32_e32 v52, 0x7fffffff, v1
	v_cmp_gt_u64_e32 vcc, s[56:57], v[52:53]
	v_and_b32_sdwa v0, v1, s48 dst_sel:DWORD dst_unused:UNUSED_PAD src0_sel:BYTE_3 src1_sel:DWORD
                                        ; implicit-def: $vgpr2
                                        ; kill: killed $vgpr2
	s_and_saveexec_b64 s[20:21], vcc
	s_xor_b64 s[78:79], exec, s[20:21]
	s_cbranch_execz .LBB6_12842
; %bb.12833:                            ;   in Loop: Header=BB6_12355 Depth=2
	v_mov_b32_e32 v2, 0
	v_cmp_ne_u32_e32 vcc, 0, v1
	buffer_store_dword v2, off, s[0:3], s33 offset:184 ; 4-byte Folded Spill
	s_and_saveexec_b64 s[88:89], vcc
	s_cbranch_execz .LBB6_12841
; %bb.12834:                            ;   in Loop: Header=BB6_12355 Depth=2
	v_and_b32_e32 v3, 0x7fffff, v1
	v_bfe_u32 v1, v1, 23, 8
	v_cmp_gt_u32_e64 s[20:21], s49, v1
	v_sub_u32_e32 v2, 0x79, v1
	v_cmp_eq_u32_e32 vcc, 0, v1
	v_cndmask_b32_e64 v2, 0, v2, s[20:21]
	v_mov_b32_e32 v5, 0x78
	v_or_b32_e32 v4, 0x800000, v3
	v_cndmask_b32_e32 v2, v2, v5, vcc
	v_cndmask_b32_e32 v52, v4, v3, vcc
	v_add_u32_e32 v3, 20, v2
	v_lshlrev_b64 v[3:4], v3, -1
	v_add_u32_e32 v5, 19, v2
	v_lshlrev_b64 v[5:6], v5, 1
	v_lshrrev_b64 v[16:17], v2, v[52:53]
	v_bfi_b32 v4, v4, 0, 0
	v_bfi_b32 v3, v3, 0, v52
	v_cmp_eq_u64_e64 s[20:21], v[3:4], v[5:6]
	v_mov_b32_e32 v18, v17
	v_mov_b32_e32 v17, v16
	s_and_saveexec_b64 s[90:91], s[20:21]
; %bb.12835:                            ;   in Loop: Header=BB6_12355 Depth=2
	v_bfe_u32 v3, v16, 20, 1
	v_add_co_u32_e64 v3, s[20:21], v16, v3
	v_add_co_u32_e64 v17, s[20:21], -1, v3
; %bb.12836:                            ;   in Loop: Header=BB6_12355 Depth=2
	s_or_b64 exec, exec, s[90:91]
	v_add_u32_e32 v1, 0xffffff81, v1
	v_mov_b32_e32 v3, 0xffffff82
	v_cndmask_b32_e32 v1, v1, v3, vcc
	v_lshrrev_b32_e32 v3, 23, v16
	v_add3_u32 v3, v2, v1, v3
	v_add_u32_e32 v2, 6, v3
	v_and_b32_e32 v1, 0xfffff, v17
	v_add_u32_e32 v52, v1, v16
	v_cmp_ne_u32_e32 vcc, 0, v2
                                        ; implicit-def: $vgpr16_vgpr17
                                        ; implicit-def: $vgpr1
	s_and_saveexec_b64 s[20:21], vcc
	s_xor_b64 s[20:21], exec, s[20:21]
; %bb.12837:                            ;   in Loop: Header=BB6_12355 Depth=2
	v_cmp_lt_u64_e32 vcc, s[58:59], v[52:53]
	v_add_u32_e32 v1, 7, v3
	v_cndmask_b32_e32 v1, v2, v1, vcc
	v_cndmask_b32_e64 v2, 0, 1, vcc
	v_lshrrev_b64 v[16:17], v2, v[52:53]
; %bb.12838:                            ;   in Loop: Header=BB6_12355 Depth=2
	s_andn2_saveexec_b64 s[20:21], s[20:21]
; %bb.12839:                            ;   in Loop: Header=BB6_12355 Depth=2
	v_mov_b32_e32 v16, v52
	v_bfe_u32 v1, v52, 23, 1
	v_mov_b32_e32 v17, v53
; %bb.12840:                            ;   in Loop: Header=BB6_12355 Depth=2
	s_or_b64 exec, exec, s[20:21]
	v_lshrrev_b64 v[2:3], 20, v[16:17]
	v_cmp_gt_i32_e32 vcc, 16, v1
	v_cndmask_b32_e32 v3, 0, v3, vcc
	v_cndmask_b32_e32 v2, 7, v2, vcc
	v_cmp_eq_u32_e32 vcc, 0, v1
	v_min_i32_e32 v1, 15, v1
	v_cmp_eq_u64_e64 s[20:21], 0, v[2:3]
	v_lshlrev_b32_e32 v1, 3, v1
	v_and_b32_e32 v1, 0xf8, v1
	v_and_or_b32 v1, v2, 7, v1
	s_and_b64 s[20:21], vcc, s[20:21]
	v_cndmask_b32_e64 v1, v1, 0, s[20:21]
	v_or_b32_e32 v0, v1, v0
	buffer_store_dword v0, off, s[0:3], s33 offset:184 ; 4-byte Folded Spill
.LBB6_12841:                            ;   in Loop: Header=BB6_12355 Depth=2
	s_or_b64 exec, exec, s[88:89]
                                        ; implicit-def: $vgpr0
.LBB6_12842:                            ;   in Loop: Header=BB6_12355 Depth=2
	s_andn2_saveexec_b64 s[20:21], s[78:79]
	s_cbranch_execz .LBB6_12844
; %bb.12843:                            ;   in Loop: Header=BB6_12355 Depth=2
	v_or_b32_e32 v0, 0x7e, v0
	buffer_store_dword v0, off, s[0:3], s33 offset:184 ; 4-byte Folded Spill
.LBB6_12844:                            ;   in Loop: Header=BB6_12355 Depth=2
	s_or_b64 exec, exec, s[20:21]
                                        ; implicit-def: $vgpr1
.LBB6_12845:                            ;   in Loop: Header=BB6_12355 Depth=2
	s_andn2_saveexec_b64 s[20:21], s[76:77]
	s_cbranch_execz .LBB6_12847
; %bb.12846:                            ;   in Loop: Header=BB6_12355 Depth=2
	v_or_b32_sdwa v0, v1, s39 dst_sel:DWORD dst_unused:UNUSED_PAD src0_sel:BYTE_3 src1_sel:DWORD
	buffer_store_dword v0, off, s[0:3], s33 offset:184 ; 4-byte Folded Spill
.LBB6_12847:                            ;   in Loop: Header=BB6_12355 Depth=2
	s_or_b64 exec, exec, s[20:21]
	v_lshrrev_b32_e32 v16, 16, v11
	v_cmp_ne_u16_sdwa s[76:77], v16, v53 src0_sel:BYTE_0 src1_sel:DWORD
	v_mov_b32_e32 v0, 0
	s_and_saveexec_b64 s[20:21], s[76:77]
	s_cbranch_execz .LBB6_12853
; %bb.12848:                            ;   in Loop: Header=BB6_12355 Depth=2
	v_cmp_ne_u16_sdwa s[78:79], v16, s48 src0_sel:BYTE_0 src1_sel:DWORD
	v_bfrev_b32_e32 v0, 1
	s_and_saveexec_b64 s[76:77], s[78:79]
	s_cbranch_execz .LBB6_12852
; %bb.12849:                            ;   in Loop: Header=BB6_12355 Depth=2
	v_bfe_u32 v1, v11, 16, 7
	v_cmp_ne_u32_e32 vcc, s39, v1
	v_mov_b32_e32 v0, 0x7f800001
	s_and_saveexec_b64 s[78:79], vcc
	s_cbranch_execz .LBB6_12851
; %bb.12850:                            ;   in Loop: Header=BB6_12355 Depth=2
	v_and_b32_e32 v2, 7, v16
	v_ffbh_u32_e32 v0, v2
	v_min_u32_e32 v4, 32, v0
	v_subrev_u32_e32 v0, 28, v4
	v_lshrrev_b32_e32 v3, 3, v1
	v_cmp_gt_u32_e32 vcc, 8, v1
	v_lshlrev_b64 v[0:1], v0, v[16:17]
	v_sub_u32_e32 v1, 29, v4
	v_and_b32_e32 v0, 7, v0
	v_cndmask_b32_e32 v1, v3, v1, vcc
	v_cndmask_b32_e32 v0, v2, v0, vcc
	v_lshlrev_b32_e32 v2, 24, v16
	v_bfrev_b32_e32 v3, 60
	v_lshlrev_b32_e32 v0, 20, v0
	v_and_b32_e32 v2, 0x80000000, v2
	v_lshl_add_u32 v1, v1, 23, v3
	v_or3_b32 v0, v2, v1, v0
.LBB6_12851:                            ;   in Loop: Header=BB6_12355 Depth=2
	s_or_b64 exec, exec, s[78:79]
.LBB6_12852:                            ;   in Loop: Header=BB6_12355 Depth=2
	s_or_b64 exec, exec, s[76:77]
.LBB6_12853:                            ;   in Loop: Header=BB6_12355 Depth=2
	s_or_b64 exec, exec, s[20:21]
	v_mul_f32_e32 v1, v19, v0
	v_and_b32_e32 v52, 0x7f800000, v1
	v_cmp_ne_u64_e32 vcc, s[46:47], v[52:53]
                                        ; implicit-def: $vgpr0
                                        ; kill: killed $vgpr0
	s_and_saveexec_b64 s[20:21], vcc
	s_xor_b64 s[76:77], exec, s[20:21]
	s_cbranch_execz .LBB6_12867
; %bb.12854:                            ;   in Loop: Header=BB6_12355 Depth=2
	v_and_b32_e32 v52, 0x7fffffff, v1
	v_cmp_gt_u64_e32 vcc, s[56:57], v[52:53]
	v_and_b32_sdwa v0, v1, s48 dst_sel:DWORD dst_unused:UNUSED_PAD src0_sel:BYTE_3 src1_sel:DWORD
                                        ; implicit-def: $vgpr2
                                        ; kill: killed $vgpr2
	s_and_saveexec_b64 s[20:21], vcc
	s_xor_b64 s[78:79], exec, s[20:21]
	s_cbranch_execz .LBB6_12864
; %bb.12855:                            ;   in Loop: Header=BB6_12355 Depth=2
	v_mov_b32_e32 v2, 0
	v_cmp_ne_u32_e32 vcc, 0, v1
	buffer_store_dword v2, off, s[0:3], s33 offset:188 ; 4-byte Folded Spill
	s_and_saveexec_b64 s[88:89], vcc
	s_cbranch_execz .LBB6_12863
; %bb.12856:                            ;   in Loop: Header=BB6_12355 Depth=2
	v_and_b32_e32 v3, 0x7fffff, v1
	v_bfe_u32 v1, v1, 23, 8
	v_cmp_gt_u32_e64 s[20:21], s49, v1
	v_sub_u32_e32 v2, 0x79, v1
	v_cmp_eq_u32_e32 vcc, 0, v1
	v_cndmask_b32_e64 v2, 0, v2, s[20:21]
	v_mov_b32_e32 v5, 0x78
	v_or_b32_e32 v4, 0x800000, v3
	v_cndmask_b32_e32 v2, v2, v5, vcc
	v_cndmask_b32_e32 v52, v4, v3, vcc
	v_add_u32_e32 v3, 20, v2
	v_lshlrev_b64 v[3:4], v3, -1
	v_add_u32_e32 v5, 19, v2
	v_lshlrev_b64 v[5:6], v5, 1
	v_lshrrev_b64 v[16:17], v2, v[52:53]
	v_bfi_b32 v4, v4, 0, 0
	v_bfi_b32 v3, v3, 0, v52
	v_cmp_eq_u64_e64 s[20:21], v[3:4], v[5:6]
	v_mov_b32_e32 v18, v17
	v_mov_b32_e32 v17, v16
	s_and_saveexec_b64 s[90:91], s[20:21]
; %bb.12857:                            ;   in Loop: Header=BB6_12355 Depth=2
	v_bfe_u32 v3, v16, 20, 1
	v_add_co_u32_e64 v3, s[20:21], v16, v3
	v_add_co_u32_e64 v17, s[20:21], -1, v3
; %bb.12858:                            ;   in Loop: Header=BB6_12355 Depth=2
	s_or_b64 exec, exec, s[90:91]
	v_add_u32_e32 v1, 0xffffff81, v1
	v_mov_b32_e32 v3, 0xffffff82
	v_cndmask_b32_e32 v1, v1, v3, vcc
	v_lshrrev_b32_e32 v3, 23, v16
	v_add3_u32 v3, v2, v1, v3
	v_add_u32_e32 v2, 6, v3
	v_and_b32_e32 v1, 0xfffff, v17
	v_add_u32_e32 v52, v1, v16
	v_cmp_ne_u32_e32 vcc, 0, v2
                                        ; implicit-def: $vgpr16_vgpr17
                                        ; implicit-def: $vgpr1
	s_and_saveexec_b64 s[20:21], vcc
	s_xor_b64 s[20:21], exec, s[20:21]
; %bb.12859:                            ;   in Loop: Header=BB6_12355 Depth=2
	v_cmp_lt_u64_e32 vcc, s[58:59], v[52:53]
	v_add_u32_e32 v1, 7, v3
	v_cndmask_b32_e32 v1, v2, v1, vcc
	v_cndmask_b32_e64 v2, 0, 1, vcc
	v_lshrrev_b64 v[16:17], v2, v[52:53]
; %bb.12860:                            ;   in Loop: Header=BB6_12355 Depth=2
	s_andn2_saveexec_b64 s[20:21], s[20:21]
; %bb.12861:                            ;   in Loop: Header=BB6_12355 Depth=2
	v_mov_b32_e32 v16, v52
	v_bfe_u32 v1, v52, 23, 1
	v_mov_b32_e32 v17, v53
; %bb.12862:                            ;   in Loop: Header=BB6_12355 Depth=2
	s_or_b64 exec, exec, s[20:21]
	v_lshrrev_b64 v[2:3], 20, v[16:17]
	v_cmp_gt_i32_e32 vcc, 16, v1
	v_cndmask_b32_e32 v3, 0, v3, vcc
	v_cndmask_b32_e32 v2, 7, v2, vcc
	v_cmp_eq_u32_e32 vcc, 0, v1
	v_min_i32_e32 v1, 15, v1
	v_cmp_eq_u64_e64 s[20:21], 0, v[2:3]
	v_lshlrev_b32_e32 v1, 3, v1
	v_and_b32_e32 v1, 0xf8, v1
	v_and_or_b32 v1, v2, 7, v1
	s_and_b64 s[20:21], vcc, s[20:21]
	v_cndmask_b32_e64 v1, v1, 0, s[20:21]
	v_or_b32_e32 v0, v1, v0
	buffer_store_dword v0, off, s[0:3], s33 offset:188 ; 4-byte Folded Spill
.LBB6_12863:                            ;   in Loop: Header=BB6_12355 Depth=2
	s_or_b64 exec, exec, s[88:89]
                                        ; implicit-def: $vgpr0
.LBB6_12864:                            ;   in Loop: Header=BB6_12355 Depth=2
	s_andn2_saveexec_b64 s[20:21], s[78:79]
	s_cbranch_execz .LBB6_12866
; %bb.12865:                            ;   in Loop: Header=BB6_12355 Depth=2
	v_or_b32_e32 v0, 0x7e, v0
	buffer_store_dword v0, off, s[0:3], s33 offset:188 ; 4-byte Folded Spill
.LBB6_12866:                            ;   in Loop: Header=BB6_12355 Depth=2
	s_or_b64 exec, exec, s[20:21]
                                        ; implicit-def: $vgpr1
.LBB6_12867:                            ;   in Loop: Header=BB6_12355 Depth=2
	s_andn2_saveexec_b64 s[20:21], s[76:77]
	s_cbranch_execz .LBB6_12869
; %bb.12868:                            ;   in Loop: Header=BB6_12355 Depth=2
	v_or_b32_sdwa v0, v1, s39 dst_sel:DWORD dst_unused:UNUSED_PAD src0_sel:BYTE_3 src1_sel:DWORD
	buffer_store_dword v0, off, s[0:3], s33 offset:188 ; 4-byte Folded Spill
.LBB6_12869:                            ;   in Loop: Header=BB6_12355 Depth=2
	s_or_b64 exec, exec, s[20:21]
	v_cmp_lt_u64_e32 vcc, s[60:61], v[10:11]
	v_mov_b32_e32 v0, 0
	s_and_saveexec_b64 s[20:21], vcc
	s_cbranch_execz .LBB6_12875
; %bb.12870:                            ;   in Loop: Header=BB6_12355 Depth=2
	v_lshrrev_b32_e32 v10, 24, v11
	v_cmp_ne_u32_e32 vcc, s48, v10
	v_bfrev_b32_e32 v0, 1
	s_and_saveexec_b64 s[76:77], vcc
	s_cbranch_execz .LBB6_12874
; %bb.12871:                            ;   in Loop: Header=BB6_12355 Depth=2
	v_bfe_u32 v1, v11, 24, 7
	v_cmp_ne_u32_e32 vcc, s39, v1
	v_mov_b32_e32 v0, 0x7f800001
	s_and_saveexec_b64 s[78:79], vcc
	s_cbranch_execz .LBB6_12873
; %bb.12872:                            ;   in Loop: Header=BB6_12355 Depth=2
	v_and_b32_e32 v2, 7, v10
	v_ffbh_u32_e32 v0, v2
	v_min_u32_e32 v4, 32, v0
	v_subrev_u32_e32 v0, 28, v4
	v_lshrrev_b32_e32 v3, 3, v1
	v_cmp_gt_u32_e32 vcc, 8, v1
	v_lshlrev_b64 v[0:1], v0, v[10:11]
	v_sub_u32_e32 v1, 29, v4
	v_and_b32_e32 v0, 7, v0
	v_cndmask_b32_e32 v1, v3, v1, vcc
	v_cndmask_b32_e32 v0, v2, v0, vcc
	v_lshlrev_b32_e32 v2, 24, v10
	v_bfrev_b32_e32 v3, 60
	v_lshlrev_b32_e32 v0, 20, v0
	v_and_b32_e32 v2, 0x80000000, v2
	v_lshl_add_u32 v1, v1, 23, v3
	v_or3_b32 v0, v2, v1, v0
.LBB6_12873:                            ;   in Loop: Header=BB6_12355 Depth=2
	s_or_b64 exec, exec, s[78:79]
.LBB6_12874:                            ;   in Loop: Header=BB6_12355 Depth=2
	s_or_b64 exec, exec, s[76:77]
.LBB6_12875:                            ;   in Loop: Header=BB6_12355 Depth=2
	s_or_b64 exec, exec, s[20:21]
	v_mul_f32_e32 v1, v19, v0
	v_and_b32_e32 v52, 0x7f800000, v1
	v_cmp_ne_u64_e32 vcc, s[46:47], v[52:53]
                                        ; implicit-def: $vgpr0
                                        ; kill: killed $vgpr0
	s_and_saveexec_b64 s[20:21], vcc
	s_xor_b64 s[76:77], exec, s[20:21]
	s_cbranch_execz .LBB6_12889
; %bb.12876:                            ;   in Loop: Header=BB6_12355 Depth=2
	v_and_b32_e32 v52, 0x7fffffff, v1
	v_cmp_gt_u64_e32 vcc, s[56:57], v[52:53]
	v_and_b32_sdwa v0, v1, s48 dst_sel:DWORD dst_unused:UNUSED_PAD src0_sel:BYTE_3 src1_sel:DWORD
                                        ; implicit-def: $vgpr2
                                        ; kill: killed $vgpr2
	s_and_saveexec_b64 s[20:21], vcc
	s_xor_b64 s[78:79], exec, s[20:21]
	s_cbranch_execz .LBB6_12886
; %bb.12877:                            ;   in Loop: Header=BB6_12355 Depth=2
	v_mov_b32_e32 v2, 0
	v_cmp_ne_u32_e32 vcc, 0, v1
	buffer_store_dword v2, off, s[0:3], s33 offset:192 ; 4-byte Folded Spill
	s_and_saveexec_b64 s[88:89], vcc
	s_cbranch_execz .LBB6_12885
; %bb.12878:                            ;   in Loop: Header=BB6_12355 Depth=2
	v_and_b32_e32 v3, 0x7fffff, v1
	v_bfe_u32 v1, v1, 23, 8
	v_cmp_gt_u32_e64 s[20:21], s49, v1
	v_sub_u32_e32 v2, 0x79, v1
	v_cmp_eq_u32_e32 vcc, 0, v1
	v_cndmask_b32_e64 v2, 0, v2, s[20:21]
	v_mov_b32_e32 v5, 0x78
	v_or_b32_e32 v4, 0x800000, v3
	v_cndmask_b32_e32 v2, v2, v5, vcc
	v_cndmask_b32_e32 v52, v4, v3, vcc
	v_add_u32_e32 v3, 20, v2
	v_lshlrev_b64 v[3:4], v3, -1
	v_add_u32_e32 v5, 19, v2
	v_lshlrev_b64 v[5:6], v5, 1
	v_lshrrev_b64 v[10:11], v2, v[52:53]
	v_bfi_b32 v4, v4, 0, 0
	v_bfi_b32 v3, v3, 0, v52
	v_cmp_eq_u64_e64 s[20:21], v[3:4], v[5:6]
	v_mov_b32_e32 v17, v11
	v_mov_b32_e32 v16, v10
	s_and_saveexec_b64 s[90:91], s[20:21]
; %bb.12879:                            ;   in Loop: Header=BB6_12355 Depth=2
	v_bfe_u32 v3, v10, 20, 1
	v_add_co_u32_e64 v3, s[20:21], v10, v3
	v_add_co_u32_e64 v16, s[20:21], -1, v3
; %bb.12880:                            ;   in Loop: Header=BB6_12355 Depth=2
	s_or_b64 exec, exec, s[90:91]
	v_add_u32_e32 v1, 0xffffff81, v1
	v_mov_b32_e32 v3, 0xffffff82
	v_cndmask_b32_e32 v1, v1, v3, vcc
	v_lshrrev_b32_e32 v3, 23, v10
	v_add3_u32 v3, v2, v1, v3
	v_add_u32_e32 v2, 6, v3
	v_and_b32_e32 v1, 0xfffff, v16
	v_add_u32_e32 v52, v1, v10
	v_cmp_ne_u32_e32 vcc, 0, v2
                                        ; implicit-def: $vgpr10_vgpr11
                                        ; implicit-def: $vgpr1
	s_and_saveexec_b64 s[20:21], vcc
	s_xor_b64 s[20:21], exec, s[20:21]
; %bb.12881:                            ;   in Loop: Header=BB6_12355 Depth=2
	v_cmp_lt_u64_e32 vcc, s[58:59], v[52:53]
	v_add_u32_e32 v1, 7, v3
	v_cndmask_b32_e32 v1, v2, v1, vcc
	v_cndmask_b32_e64 v2, 0, 1, vcc
	v_lshrrev_b64 v[10:11], v2, v[52:53]
; %bb.12882:                            ;   in Loop: Header=BB6_12355 Depth=2
	s_andn2_saveexec_b64 s[20:21], s[20:21]
; %bb.12883:                            ;   in Loop: Header=BB6_12355 Depth=2
	v_mov_b32_e32 v10, v52
	v_bfe_u32 v1, v52, 23, 1
	v_mov_b32_e32 v11, v53
; %bb.12884:                            ;   in Loop: Header=BB6_12355 Depth=2
	s_or_b64 exec, exec, s[20:21]
	v_lshrrev_b64 v[2:3], 20, v[10:11]
	v_cmp_gt_i32_e32 vcc, 16, v1
	v_cndmask_b32_e32 v3, 0, v3, vcc
	v_cndmask_b32_e32 v2, 7, v2, vcc
	v_cmp_eq_u32_e32 vcc, 0, v1
	v_min_i32_e32 v1, 15, v1
	v_cmp_eq_u64_e64 s[20:21], 0, v[2:3]
	v_lshlrev_b32_e32 v1, 3, v1
	v_and_b32_e32 v1, 0xf8, v1
	v_and_or_b32 v1, v2, 7, v1
	s_and_b64 s[20:21], vcc, s[20:21]
	v_cndmask_b32_e64 v1, v1, 0, s[20:21]
	v_or_b32_e32 v0, v1, v0
	buffer_store_dword v0, off, s[0:3], s33 offset:192 ; 4-byte Folded Spill
.LBB6_12885:                            ;   in Loop: Header=BB6_12355 Depth=2
	s_or_b64 exec, exec, s[88:89]
                                        ; implicit-def: $vgpr0
.LBB6_12886:                            ;   in Loop: Header=BB6_12355 Depth=2
	s_andn2_saveexec_b64 s[20:21], s[78:79]
	s_cbranch_execz .LBB6_12888
; %bb.12887:                            ;   in Loop: Header=BB6_12355 Depth=2
	v_or_b32_e32 v0, 0x7e, v0
	buffer_store_dword v0, off, s[0:3], s33 offset:192 ; 4-byte Folded Spill
.LBB6_12888:                            ;   in Loop: Header=BB6_12355 Depth=2
	s_or_b64 exec, exec, s[20:21]
                                        ; implicit-def: $vgpr1
.LBB6_12889:                            ;   in Loop: Header=BB6_12355 Depth=2
	s_andn2_saveexec_b64 s[20:21], s[76:77]
	s_cbranch_execz .LBB6_12891
; %bb.12890:                            ;   in Loop: Header=BB6_12355 Depth=2
	v_or_b32_sdwa v0, v1, s39 dst_sel:DWORD dst_unused:UNUSED_PAD src0_sel:BYTE_3 src1_sel:DWORD
	buffer_store_dword v0, off, s[0:3], s33 offset:192 ; 4-byte Folded Spill
.LBB6_12891:                            ;   in Loop: Header=BB6_12355 Depth=2
	s_or_b64 exec, exec, s[20:21]
	v_cmp_ne_u16_sdwa s[76:77], v12, v53 src0_sel:BYTE_0 src1_sel:DWORD
	v_mov_b32_e32 v0, 0
	s_and_saveexec_b64 s[20:21], s[76:77]
	s_cbranch_execz .LBB6_12897
; %bb.12892:                            ;   in Loop: Header=BB6_12355 Depth=2
	v_cmp_ne_u16_sdwa s[78:79], v12, s48 src0_sel:BYTE_0 src1_sel:DWORD
	v_bfrev_b32_e32 v0, 1
	s_and_saveexec_b64 s[76:77], s[78:79]
	s_cbranch_execz .LBB6_12896
; %bb.12893:                            ;   in Loop: Header=BB6_12355 Depth=2
	v_and_b32_e32 v1, 0x7f, v12
	v_cmp_ne_u32_e32 vcc, s39, v1
	v_mov_b32_e32 v0, 0x7f800001
	s_and_saveexec_b64 s[78:79], vcc
	s_cbranch_execz .LBB6_12895
; %bb.12894:                            ;   in Loop: Header=BB6_12355 Depth=2
	v_and_b32_e32 v0, 7, v12
	v_ffbh_u32_e32 v0, v0
	v_min_u32_e32 v0, 32, v0
	v_lshrrev_b32_e32 v2, 3, v1
	v_cmp_gt_u32_e32 vcc, 8, v1
	v_subrev_u32_e32 v1, 28, v0
	v_sub_u32_e32 v0, 29, v0
	v_cndmask_b32_e32 v2, v2, v0, vcc
	v_cndmask_b32_e32 v0, 0, v1, vcc
	v_lshlrev_b64 v[0:1], v0, v[12:13]
	v_lshlrev_b32_e32 v1, 24, v12
	v_lshlrev_b32_e32 v0, 20, v0
	v_bfrev_b32_e32 v3, 60
	v_and_b32_e32 v0, 0x700000, v0
	v_and_b32_e32 v1, 0x80000000, v1
	v_lshl_add_u32 v2, v2, 23, v3
	v_or3_b32 v0, v1, v2, v0
.LBB6_12895:                            ;   in Loop: Header=BB6_12355 Depth=2
	s_or_b64 exec, exec, s[78:79]
.LBB6_12896:                            ;   in Loop: Header=BB6_12355 Depth=2
	s_or_b64 exec, exec, s[76:77]
.LBB6_12897:                            ;   in Loop: Header=BB6_12355 Depth=2
	s_or_b64 exec, exec, s[20:21]
	v_mul_f32_e32 v1, v19, v0
	v_and_b32_e32 v52, 0x7f800000, v1
	v_cmp_ne_u64_e32 vcc, s[46:47], v[52:53]
                                        ; implicit-def: $vgpr0
                                        ; kill: killed $vgpr0
	s_and_saveexec_b64 s[20:21], vcc
	s_xor_b64 s[76:77], exec, s[20:21]
	s_cbranch_execz .LBB6_12911
; %bb.12898:                            ;   in Loop: Header=BB6_12355 Depth=2
	v_and_b32_e32 v52, 0x7fffffff, v1
	v_cmp_gt_u64_e32 vcc, s[56:57], v[52:53]
	v_and_b32_sdwa v0, v1, s48 dst_sel:DWORD dst_unused:UNUSED_PAD src0_sel:BYTE_3 src1_sel:DWORD
                                        ; implicit-def: $vgpr2
                                        ; kill: killed $vgpr2
	s_and_saveexec_b64 s[20:21], vcc
	s_xor_b64 s[78:79], exec, s[20:21]
	s_cbranch_execz .LBB6_12908
; %bb.12899:                            ;   in Loop: Header=BB6_12355 Depth=2
	v_mov_b32_e32 v2, 0
	v_cmp_ne_u32_e32 vcc, 0, v1
	buffer_store_dword v2, off, s[0:3], s33 offset:196 ; 4-byte Folded Spill
	s_and_saveexec_b64 s[88:89], vcc
	s_cbranch_execz .LBB6_12907
; %bb.12900:                            ;   in Loop: Header=BB6_12355 Depth=2
	v_and_b32_e32 v3, 0x7fffff, v1
	v_bfe_u32 v1, v1, 23, 8
	v_cmp_gt_u32_e64 s[20:21], s49, v1
	v_sub_u32_e32 v2, 0x79, v1
	v_cmp_eq_u32_e32 vcc, 0, v1
	v_cndmask_b32_e64 v2, 0, v2, s[20:21]
	v_mov_b32_e32 v5, 0x78
	v_or_b32_e32 v4, 0x800000, v3
	v_cndmask_b32_e32 v2, v2, v5, vcc
	v_cndmask_b32_e32 v52, v4, v3, vcc
	v_add_u32_e32 v3, 20, v2
	v_lshlrev_b64 v[3:4], v3, -1
	v_add_u32_e32 v5, 19, v2
	v_lshlrev_b64 v[5:6], v5, 1
	v_lshrrev_b64 v[10:11], v2, v[52:53]
	v_bfi_b32 v4, v4, 0, 0
	v_bfi_b32 v3, v3, 0, v52
	v_cmp_eq_u64_e64 s[20:21], v[3:4], v[5:6]
	v_mov_b32_e32 v17, v11
	v_mov_b32_e32 v16, v10
	s_and_saveexec_b64 s[90:91], s[20:21]
; %bb.12901:                            ;   in Loop: Header=BB6_12355 Depth=2
	v_bfe_u32 v3, v10, 20, 1
	v_add_co_u32_e64 v3, s[20:21], v10, v3
	v_add_co_u32_e64 v16, s[20:21], -1, v3
; %bb.12902:                            ;   in Loop: Header=BB6_12355 Depth=2
	s_or_b64 exec, exec, s[90:91]
	v_add_u32_e32 v1, 0xffffff81, v1
	v_mov_b32_e32 v3, 0xffffff82
	v_cndmask_b32_e32 v1, v1, v3, vcc
	v_lshrrev_b32_e32 v3, 23, v10
	v_add3_u32 v3, v2, v1, v3
	v_add_u32_e32 v2, 6, v3
	v_and_b32_e32 v1, 0xfffff, v16
	v_add_u32_e32 v52, v1, v10
	v_cmp_ne_u32_e32 vcc, 0, v2
                                        ; implicit-def: $vgpr10_vgpr11
                                        ; implicit-def: $vgpr1
	s_and_saveexec_b64 s[20:21], vcc
	s_xor_b64 s[20:21], exec, s[20:21]
; %bb.12903:                            ;   in Loop: Header=BB6_12355 Depth=2
	v_cmp_lt_u64_e32 vcc, s[58:59], v[52:53]
	v_add_u32_e32 v1, 7, v3
	v_cndmask_b32_e32 v1, v2, v1, vcc
	v_cndmask_b32_e64 v2, 0, 1, vcc
	v_lshrrev_b64 v[10:11], v2, v[52:53]
; %bb.12904:                            ;   in Loop: Header=BB6_12355 Depth=2
	s_andn2_saveexec_b64 s[20:21], s[20:21]
; %bb.12905:                            ;   in Loop: Header=BB6_12355 Depth=2
	v_mov_b32_e32 v10, v52
	v_bfe_u32 v1, v52, 23, 1
	v_mov_b32_e32 v11, v53
; %bb.12906:                            ;   in Loop: Header=BB6_12355 Depth=2
	s_or_b64 exec, exec, s[20:21]
	v_lshrrev_b64 v[2:3], 20, v[10:11]
	v_cmp_gt_i32_e32 vcc, 16, v1
	v_cndmask_b32_e32 v3, 0, v3, vcc
	v_cndmask_b32_e32 v2, 7, v2, vcc
	v_cmp_eq_u32_e32 vcc, 0, v1
	v_min_i32_e32 v1, 15, v1
	v_cmp_eq_u64_e64 s[20:21], 0, v[2:3]
	v_lshlrev_b32_e32 v1, 3, v1
	v_and_b32_e32 v1, 0xf8, v1
	v_and_or_b32 v1, v2, 7, v1
	s_and_b64 s[20:21], vcc, s[20:21]
	v_cndmask_b32_e64 v1, v1, 0, s[20:21]
	v_or_b32_e32 v0, v1, v0
	buffer_store_dword v0, off, s[0:3], s33 offset:196 ; 4-byte Folded Spill
.LBB6_12907:                            ;   in Loop: Header=BB6_12355 Depth=2
	s_or_b64 exec, exec, s[88:89]
                                        ; implicit-def: $vgpr0
.LBB6_12908:                            ;   in Loop: Header=BB6_12355 Depth=2
	s_andn2_saveexec_b64 s[20:21], s[78:79]
	s_cbranch_execz .LBB6_12910
; %bb.12909:                            ;   in Loop: Header=BB6_12355 Depth=2
	v_or_b32_e32 v0, 0x7e, v0
	buffer_store_dword v0, off, s[0:3], s33 offset:196 ; 4-byte Folded Spill
.LBB6_12910:                            ;   in Loop: Header=BB6_12355 Depth=2
	s_or_b64 exec, exec, s[20:21]
                                        ; implicit-def: $vgpr1
.LBB6_12911:                            ;   in Loop: Header=BB6_12355 Depth=2
	s_andn2_saveexec_b64 s[20:21], s[76:77]
	s_cbranch_execz .LBB6_12913
; %bb.12912:                            ;   in Loop: Header=BB6_12355 Depth=2
	v_or_b32_sdwa v0, v1, s39 dst_sel:DWORD dst_unused:UNUSED_PAD src0_sel:BYTE_3 src1_sel:DWORD
	buffer_store_dword v0, off, s[0:3], s33 offset:196 ; 4-byte Folded Spill
.LBB6_12913:                            ;   in Loop: Header=BB6_12355 Depth=2
	s_or_b64 exec, exec, s[20:21]
	v_lshrrev_b16_e32 v10, 8, v12
	v_cmp_ne_u16_e32 vcc, 0, v10
	v_mov_b32_e32 v0, 0
	s_and_saveexec_b64 s[20:21], vcc
	s_cbranch_execz .LBB6_12919
; %bb.12914:                            ;   in Loop: Header=BB6_12355 Depth=2
	v_cmp_ne_u16_e32 vcc, s48, v10
	v_bfrev_b32_e32 v0, 1
	s_and_saveexec_b64 s[76:77], vcc
	s_cbranch_execz .LBB6_12918
; %bb.12915:                            ;   in Loop: Header=BB6_12355 Depth=2
	v_and_b32_e32 v1, 0x7f, v10
	v_cmp_ne_u32_e32 vcc, s39, v1
	v_mov_b32_e32 v0, 0x7f800001
	s_and_saveexec_b64 s[78:79], vcc
	s_cbranch_execz .LBB6_12917
; %bb.12916:                            ;   in Loop: Header=BB6_12355 Depth=2
	v_and_b32_e32 v2, 7, v10
	v_ffbh_u32_e32 v0, v2
	v_min_u32_e32 v4, 32, v0
	v_subrev_u32_e32 v0, 28, v4
	v_lshrrev_b32_e32 v3, 3, v1
	v_cmp_gt_u32_e32 vcc, 8, v1
	v_lshlrev_b64 v[0:1], v0, v[10:11]
	v_sub_u32_e32 v1, 29, v4
	v_and_b32_e32 v0, 7, v0
	v_cndmask_b32_e32 v1, v3, v1, vcc
	v_cndmask_b32_e32 v0, v2, v0, vcc
	v_lshlrev_b32_e32 v2, 16, v12
	v_bfrev_b32_e32 v3, 60
	v_lshlrev_b32_e32 v0, 20, v0
	v_and_b32_e32 v2, 0x80000000, v2
	v_lshl_add_u32 v1, v1, 23, v3
	v_or3_b32 v0, v2, v1, v0
.LBB6_12917:                            ;   in Loop: Header=BB6_12355 Depth=2
	s_or_b64 exec, exec, s[78:79]
.LBB6_12918:                            ;   in Loop: Header=BB6_12355 Depth=2
	s_or_b64 exec, exec, s[76:77]
.LBB6_12919:                            ;   in Loop: Header=BB6_12355 Depth=2
	s_or_b64 exec, exec, s[20:21]
	v_mul_f32_e32 v1, v19, v0
	v_and_b32_e32 v52, 0x7f800000, v1
	v_cmp_ne_u64_e32 vcc, s[46:47], v[52:53]
                                        ; implicit-def: $vgpr0
                                        ; kill: killed $vgpr0
	s_and_saveexec_b64 s[20:21], vcc
	s_xor_b64 s[76:77], exec, s[20:21]
	s_cbranch_execz .LBB6_12933
; %bb.12920:                            ;   in Loop: Header=BB6_12355 Depth=2
	v_and_b32_e32 v52, 0x7fffffff, v1
	v_cmp_gt_u64_e32 vcc, s[56:57], v[52:53]
	v_and_b32_sdwa v0, v1, s48 dst_sel:DWORD dst_unused:UNUSED_PAD src0_sel:BYTE_3 src1_sel:DWORD
                                        ; implicit-def: $vgpr2
                                        ; kill: killed $vgpr2
	s_and_saveexec_b64 s[20:21], vcc
	s_xor_b64 s[78:79], exec, s[20:21]
	s_cbranch_execz .LBB6_12930
; %bb.12921:                            ;   in Loop: Header=BB6_12355 Depth=2
	v_mov_b32_e32 v2, 0
	v_cmp_ne_u32_e32 vcc, 0, v1
	buffer_store_dword v2, off, s[0:3], s33 offset:200 ; 4-byte Folded Spill
	s_and_saveexec_b64 s[88:89], vcc
	s_cbranch_execz .LBB6_12929
; %bb.12922:                            ;   in Loop: Header=BB6_12355 Depth=2
	v_and_b32_e32 v3, 0x7fffff, v1
	v_bfe_u32 v1, v1, 23, 8
	v_cmp_gt_u32_e64 s[20:21], s49, v1
	v_sub_u32_e32 v2, 0x79, v1
	v_cmp_eq_u32_e32 vcc, 0, v1
	v_cndmask_b32_e64 v2, 0, v2, s[20:21]
	v_mov_b32_e32 v5, 0x78
	v_or_b32_e32 v4, 0x800000, v3
	v_cndmask_b32_e32 v2, v2, v5, vcc
	v_cndmask_b32_e32 v52, v4, v3, vcc
	v_add_u32_e32 v3, 20, v2
	v_lshlrev_b64 v[3:4], v3, -1
	v_add_u32_e32 v5, 19, v2
	v_lshlrev_b64 v[5:6], v5, 1
	v_lshrrev_b64 v[10:11], v2, v[52:53]
	v_bfi_b32 v4, v4, 0, 0
	v_bfi_b32 v3, v3, 0, v52
	v_cmp_eq_u64_e64 s[20:21], v[3:4], v[5:6]
	v_mov_b32_e32 v17, v11
	v_mov_b32_e32 v16, v10
	s_and_saveexec_b64 s[90:91], s[20:21]
; %bb.12923:                            ;   in Loop: Header=BB6_12355 Depth=2
	v_bfe_u32 v3, v10, 20, 1
	v_add_co_u32_e64 v3, s[20:21], v10, v3
	v_add_co_u32_e64 v16, s[20:21], -1, v3
; %bb.12924:                            ;   in Loop: Header=BB6_12355 Depth=2
	s_or_b64 exec, exec, s[90:91]
	v_add_u32_e32 v1, 0xffffff81, v1
	v_mov_b32_e32 v3, 0xffffff82
	v_cndmask_b32_e32 v1, v1, v3, vcc
	v_lshrrev_b32_e32 v3, 23, v10
	v_add3_u32 v3, v2, v1, v3
	v_add_u32_e32 v2, 6, v3
	v_and_b32_e32 v1, 0xfffff, v16
	v_add_u32_e32 v52, v1, v10
	v_cmp_ne_u32_e32 vcc, 0, v2
                                        ; implicit-def: $vgpr10_vgpr11
                                        ; implicit-def: $vgpr1
	s_and_saveexec_b64 s[20:21], vcc
	s_xor_b64 s[20:21], exec, s[20:21]
; %bb.12925:                            ;   in Loop: Header=BB6_12355 Depth=2
	v_cmp_lt_u64_e32 vcc, s[58:59], v[52:53]
	v_add_u32_e32 v1, 7, v3
	v_cndmask_b32_e32 v1, v2, v1, vcc
	v_cndmask_b32_e64 v2, 0, 1, vcc
	v_lshrrev_b64 v[10:11], v2, v[52:53]
; %bb.12926:                            ;   in Loop: Header=BB6_12355 Depth=2
	s_andn2_saveexec_b64 s[20:21], s[20:21]
; %bb.12927:                            ;   in Loop: Header=BB6_12355 Depth=2
	v_mov_b32_e32 v10, v52
	v_bfe_u32 v1, v52, 23, 1
	v_mov_b32_e32 v11, v53
; %bb.12928:                            ;   in Loop: Header=BB6_12355 Depth=2
	s_or_b64 exec, exec, s[20:21]
	v_lshrrev_b64 v[2:3], 20, v[10:11]
	v_cmp_gt_i32_e32 vcc, 16, v1
	v_cndmask_b32_e32 v3, 0, v3, vcc
	v_cndmask_b32_e32 v2, 7, v2, vcc
	v_cmp_eq_u32_e32 vcc, 0, v1
	v_min_i32_e32 v1, 15, v1
	v_cmp_eq_u64_e64 s[20:21], 0, v[2:3]
	v_lshlrev_b32_e32 v1, 3, v1
	v_and_b32_e32 v1, 0xf8, v1
	v_and_or_b32 v1, v2, 7, v1
	s_and_b64 s[20:21], vcc, s[20:21]
	v_cndmask_b32_e64 v1, v1, 0, s[20:21]
	v_or_b32_e32 v0, v1, v0
	buffer_store_dword v0, off, s[0:3], s33 offset:200 ; 4-byte Folded Spill
.LBB6_12929:                            ;   in Loop: Header=BB6_12355 Depth=2
	s_or_b64 exec, exec, s[88:89]
                                        ; implicit-def: $vgpr0
.LBB6_12930:                            ;   in Loop: Header=BB6_12355 Depth=2
	s_andn2_saveexec_b64 s[20:21], s[78:79]
	s_cbranch_execz .LBB6_12932
; %bb.12931:                            ;   in Loop: Header=BB6_12355 Depth=2
	v_or_b32_e32 v0, 0x7e, v0
	buffer_store_dword v0, off, s[0:3], s33 offset:200 ; 4-byte Folded Spill
.LBB6_12932:                            ;   in Loop: Header=BB6_12355 Depth=2
	s_or_b64 exec, exec, s[20:21]
                                        ; implicit-def: $vgpr1
.LBB6_12933:                            ;   in Loop: Header=BB6_12355 Depth=2
	s_andn2_saveexec_b64 s[20:21], s[76:77]
	s_cbranch_execz .LBB6_12935
; %bb.12934:                            ;   in Loop: Header=BB6_12355 Depth=2
	v_or_b32_sdwa v0, v1, s39 dst_sel:DWORD dst_unused:UNUSED_PAD src0_sel:BYTE_3 src1_sel:DWORD
	buffer_store_dword v0, off, s[0:3], s33 offset:200 ; 4-byte Folded Spill
.LBB6_12935:                            ;   in Loop: Header=BB6_12355 Depth=2
	s_or_b64 exec, exec, s[20:21]
	v_lshrrev_b32_e32 v10, 16, v12
	v_cmp_ne_u16_sdwa s[76:77], v10, v53 src0_sel:BYTE_0 src1_sel:DWORD
	v_mov_b32_e32 v0, 0
	s_and_saveexec_b64 s[20:21], s[76:77]
	s_cbranch_execz .LBB6_12941
; %bb.12936:                            ;   in Loop: Header=BB6_12355 Depth=2
	v_cmp_ne_u16_sdwa s[78:79], v10, s48 src0_sel:BYTE_0 src1_sel:DWORD
	v_bfrev_b32_e32 v0, 1
	s_and_saveexec_b64 s[76:77], s[78:79]
	s_cbranch_execz .LBB6_12940
; %bb.12937:                            ;   in Loop: Header=BB6_12355 Depth=2
	v_bfe_u32 v1, v12, 16, 7
	v_cmp_ne_u32_e32 vcc, s39, v1
	v_mov_b32_e32 v0, 0x7f800001
	s_and_saveexec_b64 s[78:79], vcc
	s_cbranch_execz .LBB6_12939
; %bb.12938:                            ;   in Loop: Header=BB6_12355 Depth=2
	v_and_b32_e32 v2, 7, v10
	v_ffbh_u32_e32 v0, v2
	v_min_u32_e32 v4, 32, v0
	v_subrev_u32_e32 v0, 28, v4
	v_lshrrev_b32_e32 v3, 3, v1
	v_cmp_gt_u32_e32 vcc, 8, v1
	v_lshlrev_b64 v[0:1], v0, v[10:11]
	v_sub_u32_e32 v1, 29, v4
	v_and_b32_e32 v0, 7, v0
	v_cndmask_b32_e32 v1, v3, v1, vcc
	v_cndmask_b32_e32 v0, v2, v0, vcc
	v_lshlrev_b32_e32 v2, 24, v10
	v_bfrev_b32_e32 v3, 60
	v_lshlrev_b32_e32 v0, 20, v0
	v_and_b32_e32 v2, 0x80000000, v2
	v_lshl_add_u32 v1, v1, 23, v3
	v_or3_b32 v0, v2, v1, v0
.LBB6_12939:                            ;   in Loop: Header=BB6_12355 Depth=2
	s_or_b64 exec, exec, s[78:79]
.LBB6_12940:                            ;   in Loop: Header=BB6_12355 Depth=2
	s_or_b64 exec, exec, s[76:77]
.LBB6_12941:                            ;   in Loop: Header=BB6_12355 Depth=2
	s_or_b64 exec, exec, s[20:21]
	v_mul_f32_e32 v1, v19, v0
	v_and_b32_e32 v52, 0x7f800000, v1
	v_cmp_ne_u64_e32 vcc, s[46:47], v[52:53]
                                        ; implicit-def: $vgpr0
                                        ; kill: killed $vgpr0
	s_and_saveexec_b64 s[20:21], vcc
	s_xor_b64 s[76:77], exec, s[20:21]
	s_cbranch_execz .LBB6_12955
; %bb.12942:                            ;   in Loop: Header=BB6_12355 Depth=2
	v_and_b32_e32 v52, 0x7fffffff, v1
	v_cmp_gt_u64_e32 vcc, s[56:57], v[52:53]
	v_and_b32_sdwa v0, v1, s48 dst_sel:DWORD dst_unused:UNUSED_PAD src0_sel:BYTE_3 src1_sel:DWORD
                                        ; implicit-def: $vgpr2
                                        ; kill: killed $vgpr2
	s_and_saveexec_b64 s[20:21], vcc
	s_xor_b64 s[78:79], exec, s[20:21]
	s_cbranch_execz .LBB6_12952
; %bb.12943:                            ;   in Loop: Header=BB6_12355 Depth=2
	v_mov_b32_e32 v2, 0
	v_cmp_ne_u32_e32 vcc, 0, v1
	buffer_store_dword v2, off, s[0:3], s33 offset:204 ; 4-byte Folded Spill
	s_and_saveexec_b64 s[88:89], vcc
	s_cbranch_execz .LBB6_12951
; %bb.12944:                            ;   in Loop: Header=BB6_12355 Depth=2
	v_and_b32_e32 v3, 0x7fffff, v1
	v_bfe_u32 v1, v1, 23, 8
	v_cmp_gt_u32_e64 s[20:21], s49, v1
	v_sub_u32_e32 v2, 0x79, v1
	v_cmp_eq_u32_e32 vcc, 0, v1
	v_cndmask_b32_e64 v2, 0, v2, s[20:21]
	v_mov_b32_e32 v5, 0x78
	v_or_b32_e32 v4, 0x800000, v3
	v_cndmask_b32_e32 v2, v2, v5, vcc
	v_cndmask_b32_e32 v52, v4, v3, vcc
	v_add_u32_e32 v3, 20, v2
	v_lshlrev_b64 v[3:4], v3, -1
	v_add_u32_e32 v5, 19, v2
	v_lshlrev_b64 v[5:6], v5, 1
	v_lshrrev_b64 v[10:11], v2, v[52:53]
	v_bfi_b32 v4, v4, 0, 0
	v_bfi_b32 v3, v3, 0, v52
	v_cmp_eq_u64_e64 s[20:21], v[3:4], v[5:6]
	v_mov_b32_e32 v17, v11
	v_mov_b32_e32 v16, v10
	s_and_saveexec_b64 s[90:91], s[20:21]
; %bb.12945:                            ;   in Loop: Header=BB6_12355 Depth=2
	v_bfe_u32 v3, v10, 20, 1
	v_add_co_u32_e64 v3, s[20:21], v10, v3
	v_add_co_u32_e64 v16, s[20:21], -1, v3
; %bb.12946:                            ;   in Loop: Header=BB6_12355 Depth=2
	s_or_b64 exec, exec, s[90:91]
	v_add_u32_e32 v1, 0xffffff81, v1
	v_mov_b32_e32 v3, 0xffffff82
	v_cndmask_b32_e32 v1, v1, v3, vcc
	v_lshrrev_b32_e32 v3, 23, v10
	v_add3_u32 v3, v2, v1, v3
	v_add_u32_e32 v2, 6, v3
	v_and_b32_e32 v1, 0xfffff, v16
	v_add_u32_e32 v52, v1, v10
	v_cmp_ne_u32_e32 vcc, 0, v2
                                        ; implicit-def: $vgpr10_vgpr11
                                        ; implicit-def: $vgpr1
	s_and_saveexec_b64 s[20:21], vcc
	s_xor_b64 s[20:21], exec, s[20:21]
; %bb.12947:                            ;   in Loop: Header=BB6_12355 Depth=2
	v_cmp_lt_u64_e32 vcc, s[58:59], v[52:53]
	v_add_u32_e32 v1, 7, v3
	v_cndmask_b32_e32 v1, v2, v1, vcc
	v_cndmask_b32_e64 v2, 0, 1, vcc
	v_lshrrev_b64 v[10:11], v2, v[52:53]
; %bb.12948:                            ;   in Loop: Header=BB6_12355 Depth=2
	s_andn2_saveexec_b64 s[20:21], s[20:21]
; %bb.12949:                            ;   in Loop: Header=BB6_12355 Depth=2
	v_mov_b32_e32 v10, v52
	v_bfe_u32 v1, v52, 23, 1
	v_mov_b32_e32 v11, v53
; %bb.12950:                            ;   in Loop: Header=BB6_12355 Depth=2
	s_or_b64 exec, exec, s[20:21]
	v_lshrrev_b64 v[2:3], 20, v[10:11]
	v_cmp_gt_i32_e32 vcc, 16, v1
	v_cndmask_b32_e32 v3, 0, v3, vcc
	v_cndmask_b32_e32 v2, 7, v2, vcc
	v_cmp_eq_u32_e32 vcc, 0, v1
	v_min_i32_e32 v1, 15, v1
	v_cmp_eq_u64_e64 s[20:21], 0, v[2:3]
	v_lshlrev_b32_e32 v1, 3, v1
	v_and_b32_e32 v1, 0xf8, v1
	v_and_or_b32 v1, v2, 7, v1
	s_and_b64 s[20:21], vcc, s[20:21]
	v_cndmask_b32_e64 v1, v1, 0, s[20:21]
	v_or_b32_e32 v0, v1, v0
	buffer_store_dword v0, off, s[0:3], s33 offset:204 ; 4-byte Folded Spill
.LBB6_12951:                            ;   in Loop: Header=BB6_12355 Depth=2
	s_or_b64 exec, exec, s[88:89]
                                        ; implicit-def: $vgpr0
.LBB6_12952:                            ;   in Loop: Header=BB6_12355 Depth=2
	s_andn2_saveexec_b64 s[20:21], s[78:79]
	s_cbranch_execz .LBB6_12954
; %bb.12953:                            ;   in Loop: Header=BB6_12355 Depth=2
	v_or_b32_e32 v0, 0x7e, v0
	buffer_store_dword v0, off, s[0:3], s33 offset:204 ; 4-byte Folded Spill
.LBB6_12954:                            ;   in Loop: Header=BB6_12355 Depth=2
	s_or_b64 exec, exec, s[20:21]
                                        ; implicit-def: $vgpr1
.LBB6_12955:                            ;   in Loop: Header=BB6_12355 Depth=2
	s_andn2_saveexec_b64 s[20:21], s[76:77]
	s_cbranch_execz .LBB6_12957
; %bb.12956:                            ;   in Loop: Header=BB6_12355 Depth=2
	v_or_b32_sdwa v0, v1, s39 dst_sel:DWORD dst_unused:UNUSED_PAD src0_sel:BYTE_3 src1_sel:DWORD
	buffer_store_dword v0, off, s[0:3], s33 offset:204 ; 4-byte Folded Spill
.LBB6_12957:                            ;   in Loop: Header=BB6_12355 Depth=2
	s_or_b64 exec, exec, s[20:21]
	v_cmp_lt_u32_e32 vcc, s61, v12
	v_mov_b32_e32 v0, 0
	s_and_saveexec_b64 s[20:21], vcc
	s_cbranch_execz .LBB6_12963
; %bb.12958:                            ;   in Loop: Header=BB6_12355 Depth=2
	v_lshrrev_b32_e32 v10, 24, v12
	v_cmp_ne_u32_e32 vcc, s48, v10
	v_bfrev_b32_e32 v0, 1
	s_and_saveexec_b64 s[76:77], vcc
	s_cbranch_execz .LBB6_12962
; %bb.12959:                            ;   in Loop: Header=BB6_12355 Depth=2
	v_bfe_u32 v1, v12, 24, 7
	v_cmp_ne_u32_e32 vcc, s39, v1
	v_mov_b32_e32 v0, 0x7f800001
	s_and_saveexec_b64 s[78:79], vcc
	s_cbranch_execz .LBB6_12961
; %bb.12960:                            ;   in Loop: Header=BB6_12355 Depth=2
	v_and_b32_e32 v2, 7, v10
	v_ffbh_u32_e32 v0, v2
	v_min_u32_e32 v4, 32, v0
	v_subrev_u32_e32 v0, 28, v4
	v_lshrrev_b32_e32 v3, 3, v1
	v_cmp_gt_u32_e32 vcc, 8, v1
	v_lshlrev_b64 v[0:1], v0, v[10:11]
	v_sub_u32_e32 v1, 29, v4
	v_and_b32_e32 v0, 7, v0
	v_cndmask_b32_e32 v1, v3, v1, vcc
	v_cndmask_b32_e32 v0, v2, v0, vcc
	v_lshlrev_b32_e32 v2, 24, v10
	v_bfrev_b32_e32 v3, 60
	v_lshlrev_b32_e32 v0, 20, v0
	v_and_b32_e32 v2, 0x80000000, v2
	v_lshl_add_u32 v1, v1, 23, v3
	v_or3_b32 v0, v2, v1, v0
.LBB6_12961:                            ;   in Loop: Header=BB6_12355 Depth=2
	s_or_b64 exec, exec, s[78:79]
.LBB6_12962:                            ;   in Loop: Header=BB6_12355 Depth=2
	s_or_b64 exec, exec, s[76:77]
.LBB6_12963:                            ;   in Loop: Header=BB6_12355 Depth=2
	s_or_b64 exec, exec, s[20:21]
	v_mul_f32_e32 v1, v19, v0
	v_and_b32_e32 v52, 0x7f800000, v1
	v_cmp_ne_u64_e32 vcc, s[46:47], v[52:53]
                                        ; implicit-def: $vgpr0
                                        ; kill: killed $vgpr0
	s_and_saveexec_b64 s[20:21], vcc
	s_xor_b64 s[76:77], exec, s[20:21]
	s_cbranch_execz .LBB6_12977
; %bb.12964:                            ;   in Loop: Header=BB6_12355 Depth=2
	v_and_b32_e32 v52, 0x7fffffff, v1
	v_cmp_gt_u64_e32 vcc, s[56:57], v[52:53]
	v_and_b32_sdwa v0, v1, s48 dst_sel:DWORD dst_unused:UNUSED_PAD src0_sel:BYTE_3 src1_sel:DWORD
                                        ; implicit-def: $vgpr2
                                        ; kill: killed $vgpr2
	s_and_saveexec_b64 s[20:21], vcc
	s_xor_b64 s[78:79], exec, s[20:21]
	s_cbranch_execz .LBB6_12974
; %bb.12965:                            ;   in Loop: Header=BB6_12355 Depth=2
	v_mov_b32_e32 v2, 0
	v_cmp_ne_u32_e32 vcc, 0, v1
	buffer_store_dword v2, off, s[0:3], s33 offset:208 ; 4-byte Folded Spill
	s_and_saveexec_b64 s[88:89], vcc
	s_cbranch_execz .LBB6_12973
; %bb.12966:                            ;   in Loop: Header=BB6_12355 Depth=2
	v_and_b32_e32 v3, 0x7fffff, v1
	v_bfe_u32 v1, v1, 23, 8
	v_cmp_gt_u32_e64 s[20:21], s49, v1
	v_sub_u32_e32 v2, 0x79, v1
	v_cmp_eq_u32_e32 vcc, 0, v1
	v_cndmask_b32_e64 v2, 0, v2, s[20:21]
	v_mov_b32_e32 v5, 0x78
	v_or_b32_e32 v4, 0x800000, v3
	v_cndmask_b32_e32 v2, v2, v5, vcc
	v_cndmask_b32_e32 v52, v4, v3, vcc
	v_add_u32_e32 v3, 20, v2
	v_lshlrev_b64 v[3:4], v3, -1
	v_add_u32_e32 v5, 19, v2
	v_lshlrev_b64 v[5:6], v5, 1
	v_lshrrev_b64 v[10:11], v2, v[52:53]
	v_bfi_b32 v4, v4, 0, 0
	v_bfi_b32 v3, v3, 0, v52
	v_cmp_eq_u64_e64 s[20:21], v[3:4], v[5:6]
	v_mov_b32_e32 v17, v11
	v_mov_b32_e32 v16, v10
	s_and_saveexec_b64 s[90:91], s[20:21]
; %bb.12967:                            ;   in Loop: Header=BB6_12355 Depth=2
	v_bfe_u32 v3, v10, 20, 1
	v_add_co_u32_e64 v3, s[20:21], v10, v3
	v_add_co_u32_e64 v16, s[20:21], -1, v3
; %bb.12968:                            ;   in Loop: Header=BB6_12355 Depth=2
	s_or_b64 exec, exec, s[90:91]
	v_add_u32_e32 v1, 0xffffff81, v1
	v_mov_b32_e32 v3, 0xffffff82
	v_cndmask_b32_e32 v1, v1, v3, vcc
	v_lshrrev_b32_e32 v3, 23, v10
	v_add3_u32 v3, v2, v1, v3
	v_add_u32_e32 v2, 6, v3
	v_and_b32_e32 v1, 0xfffff, v16
	v_add_u32_e32 v52, v1, v10
	v_cmp_ne_u32_e32 vcc, 0, v2
                                        ; implicit-def: $vgpr10_vgpr11
                                        ; implicit-def: $vgpr1
	s_and_saveexec_b64 s[20:21], vcc
	s_xor_b64 s[20:21], exec, s[20:21]
; %bb.12969:                            ;   in Loop: Header=BB6_12355 Depth=2
	v_cmp_lt_u64_e32 vcc, s[58:59], v[52:53]
	v_add_u32_e32 v1, 7, v3
	v_cndmask_b32_e32 v1, v2, v1, vcc
	v_cndmask_b32_e64 v2, 0, 1, vcc
	v_lshrrev_b64 v[10:11], v2, v[52:53]
; %bb.12970:                            ;   in Loop: Header=BB6_12355 Depth=2
	s_andn2_saveexec_b64 s[20:21], s[20:21]
; %bb.12971:                            ;   in Loop: Header=BB6_12355 Depth=2
	v_mov_b32_e32 v10, v52
	v_bfe_u32 v1, v52, 23, 1
	v_mov_b32_e32 v11, v53
; %bb.12972:                            ;   in Loop: Header=BB6_12355 Depth=2
	s_or_b64 exec, exec, s[20:21]
	v_lshrrev_b64 v[2:3], 20, v[10:11]
	v_cmp_gt_i32_e32 vcc, 16, v1
	v_cndmask_b32_e32 v3, 0, v3, vcc
	v_cndmask_b32_e32 v2, 7, v2, vcc
	v_cmp_eq_u32_e32 vcc, 0, v1
	v_min_i32_e32 v1, 15, v1
	v_cmp_eq_u64_e64 s[20:21], 0, v[2:3]
	v_lshlrev_b32_e32 v1, 3, v1
	v_and_b32_e32 v1, 0xf8, v1
	v_and_or_b32 v1, v2, 7, v1
	s_and_b64 s[20:21], vcc, s[20:21]
	v_cndmask_b32_e64 v1, v1, 0, s[20:21]
	v_or_b32_e32 v0, v1, v0
	buffer_store_dword v0, off, s[0:3], s33 offset:208 ; 4-byte Folded Spill
.LBB6_12973:                            ;   in Loop: Header=BB6_12355 Depth=2
	s_or_b64 exec, exec, s[88:89]
                                        ; implicit-def: $vgpr0
.LBB6_12974:                            ;   in Loop: Header=BB6_12355 Depth=2
	s_andn2_saveexec_b64 s[20:21], s[78:79]
	s_cbranch_execz .LBB6_12976
; %bb.12975:                            ;   in Loop: Header=BB6_12355 Depth=2
	v_or_b32_e32 v0, 0x7e, v0
	buffer_store_dword v0, off, s[0:3], s33 offset:208 ; 4-byte Folded Spill
.LBB6_12976:                            ;   in Loop: Header=BB6_12355 Depth=2
	s_or_b64 exec, exec, s[20:21]
                                        ; implicit-def: $vgpr1
.LBB6_12977:                            ;   in Loop: Header=BB6_12355 Depth=2
	s_andn2_saveexec_b64 s[20:21], s[76:77]
	s_cbranch_execz .LBB6_12979
; %bb.12978:                            ;   in Loop: Header=BB6_12355 Depth=2
	v_or_b32_sdwa v0, v1, s39 dst_sel:DWORD dst_unused:UNUSED_PAD src0_sel:BYTE_3 src1_sel:DWORD
	buffer_store_dword v0, off, s[0:3], s33 offset:208 ; 4-byte Folded Spill
.LBB6_12979:                            ;   in Loop: Header=BB6_12355 Depth=2
	s_or_b64 exec, exec, s[20:21]
	v_mov_b32_e32 v52, v13
	v_cmp_ne_u16_sdwa s[76:77], v13, v53 src0_sel:BYTE_0 src1_sel:DWORD
	v_mov_b32_e32 v0, 0
	s_and_saveexec_b64 s[20:21], s[76:77]
	s_cbranch_execz .LBB6_12985
; %bb.12980:                            ;   in Loop: Header=BB6_12355 Depth=2
	v_cmp_ne_u16_sdwa s[78:79], v13, s48 src0_sel:BYTE_0 src1_sel:DWORD
	v_bfrev_b32_e32 v0, 1
	s_and_saveexec_b64 s[76:77], s[78:79]
	s_cbranch_execz .LBB6_12984
; %bb.12981:                            ;   in Loop: Header=BB6_12355 Depth=2
	v_and_b32_e32 v1, 0x7f, v13
	v_cmp_ne_u32_e32 vcc, s39, v1
	v_mov_b32_e32 v0, 0x7f800001
	s_and_saveexec_b64 s[78:79], vcc
	s_cbranch_execz .LBB6_12983
; %bb.12982:                            ;   in Loop: Header=BB6_12355 Depth=2
	v_and_b32_e32 v0, 7, v13
	v_ffbh_u32_e32 v0, v0
	v_min_u32_e32 v0, 32, v0
	v_lshrrev_b32_e32 v2, 3, v1
	v_cmp_gt_u32_e32 vcc, 8, v1
	v_subrev_u32_e32 v1, 28, v0
	v_sub_u32_e32 v0, 29, v0
	v_cndmask_b32_e32 v2, v2, v0, vcc
	v_cndmask_b32_e32 v0, 0, v1, vcc
	v_lshlrev_b64 v[0:1], v0, v[52:53]
	v_lshlrev_b32_e32 v1, 24, v52
	v_lshlrev_b32_e32 v0, 20, v0
	v_bfrev_b32_e32 v3, 60
	v_and_b32_e32 v0, 0x700000, v0
	v_and_b32_e32 v1, 0x80000000, v1
	v_lshl_add_u32 v2, v2, 23, v3
	v_or3_b32 v0, v1, v2, v0
.LBB6_12983:                            ;   in Loop: Header=BB6_12355 Depth=2
	s_or_b64 exec, exec, s[78:79]
.LBB6_12984:                            ;   in Loop: Header=BB6_12355 Depth=2
	s_or_b64 exec, exec, s[76:77]
.LBB6_12985:                            ;   in Loop: Header=BB6_12355 Depth=2
	s_or_b64 exec, exec, s[20:21]
	v_mul_f32_e32 v1, v19, v0
	v_and_b32_e32 v2, 0x7f800000, v1
	v_mov_b32_e32 v3, v53
	v_cmp_ne_u64_e32 vcc, s[46:47], v[2:3]
                                        ; implicit-def: $vgpr0
                                        ; kill: killed $vgpr0
	s_and_saveexec_b64 s[20:21], vcc
	s_xor_b64 s[76:77], exec, s[20:21]
	s_cbranch_execz .LBB6_12999
; %bb.12986:                            ;   in Loop: Header=BB6_12355 Depth=2
	v_and_b32_e32 v2, 0x7fffffff, v1
	v_mov_b32_e32 v3, v53
	v_cmp_gt_u64_e32 vcc, s[56:57], v[2:3]
	v_and_b32_sdwa v0, v1, s48 dst_sel:DWORD dst_unused:UNUSED_PAD src0_sel:BYTE_3 src1_sel:DWORD
                                        ; implicit-def: $vgpr2
                                        ; kill: killed $vgpr2
	s_and_saveexec_b64 s[20:21], vcc
	s_xor_b64 s[78:79], exec, s[20:21]
	s_cbranch_execz .LBB6_12996
; %bb.12987:                            ;   in Loop: Header=BB6_12355 Depth=2
	v_mov_b32_e32 v2, 0
	v_cmp_ne_u32_e32 vcc, 0, v1
	buffer_store_dword v2, off, s[0:3], s33 offset:212 ; 4-byte Folded Spill
	s_and_saveexec_b64 s[88:89], vcc
	s_cbranch_execz .LBB6_12995
; %bb.12988:                            ;   in Loop: Header=BB6_12355 Depth=2
	v_and_b32_e32 v3, 0x7fffff, v1
	v_bfe_u32 v1, v1, 23, 8
	v_cmp_gt_u32_e64 s[20:21], s49, v1
	v_sub_u32_e32 v2, 0x79, v1
	v_cmp_eq_u32_e32 vcc, 0, v1
	v_cndmask_b32_e64 v2, 0, v2, s[20:21]
	v_mov_b32_e32 v5, 0x78
	v_cndmask_b32_e32 v2, v2, v5, vcc
	v_add_u32_e32 v5, 20, v2
	v_or_b32_e32 v4, 0x800000, v3
	v_lshlrev_b64 v[5:6], v5, -1
	v_add_u32_e32 v7, 19, v2
	v_cndmask_b32_e32 v3, v4, v3, vcc
	v_lshlrev_b64 v[10:11], v7, 1
	v_mov_b32_e32 v4, v53
	v_bfi_b32 v6, v6, 0, 0
	v_bfi_b32 v5, v5, 0, v3
	v_cmp_eq_u64_e64 s[20:21], v[5:6], v[10:11]
	v_lshrrev_b64 v[10:11], v2, v[3:4]
	v_mov_b32_e32 v17, v11
	v_mov_b32_e32 v16, v10
	s_and_saveexec_b64 s[90:91], s[20:21]
; %bb.12989:                            ;   in Loop: Header=BB6_12355 Depth=2
	v_bfe_u32 v3, v10, 20, 1
	v_add_co_u32_e64 v3, s[20:21], v10, v3
	v_add_co_u32_e64 v16, s[20:21], -1, v3
; %bb.12990:                            ;   in Loop: Header=BB6_12355 Depth=2
	s_or_b64 exec, exec, s[90:91]
	v_add_u32_e32 v1, 0xffffff81, v1
	v_mov_b32_e32 v3, 0xffffff82
	v_cndmask_b32_e32 v1, v1, v3, vcc
	v_lshrrev_b32_e32 v3, 23, v10
	v_add3_u32 v3, v2, v1, v3
	v_add_u32_e32 v2, 6, v3
	v_and_b32_e32 v1, 0xfffff, v16
	v_add_u32_e32 v10, v1, v10
	v_mov_b32_e32 v11, v53
	v_cmp_ne_u32_e32 vcc, 0, v2
                                        ; implicit-def: $vgpr1
	s_and_saveexec_b64 s[20:21], vcc
	s_xor_b64 s[20:21], exec, s[20:21]
; %bb.12991:                            ;   in Loop: Header=BB6_12355 Depth=2
	v_cmp_lt_u64_e32 vcc, s[58:59], v[10:11]
	v_add_u32_e32 v1, 7, v3
	v_cndmask_b32_e32 v1, v2, v1, vcc
	v_cndmask_b32_e64 v2, 0, 1, vcc
	v_lshrrev_b64 v[10:11], v2, v[10:11]
; %bb.12992:                            ;   in Loop: Header=BB6_12355 Depth=2
	s_andn2_saveexec_b64 s[20:21], s[20:21]
; %bb.12993:                            ;   in Loop: Header=BB6_12355 Depth=2
	v_bfe_u32 v1, v10, 23, 1
; %bb.12994:                            ;   in Loop: Header=BB6_12355 Depth=2
	s_or_b64 exec, exec, s[20:21]
	v_lshrrev_b64 v[2:3], 20, v[10:11]
	v_cmp_gt_i32_e32 vcc, 16, v1
	v_cndmask_b32_e32 v3, 0, v3, vcc
	v_cndmask_b32_e32 v2, 7, v2, vcc
	v_cmp_eq_u32_e32 vcc, 0, v1
	v_min_i32_e32 v1, 15, v1
	v_cmp_eq_u64_e64 s[20:21], 0, v[2:3]
	v_lshlrev_b32_e32 v1, 3, v1
	v_and_b32_e32 v1, 0xf8, v1
	v_and_or_b32 v1, v2, 7, v1
	s_and_b64 s[20:21], vcc, s[20:21]
	v_cndmask_b32_e64 v1, v1, 0, s[20:21]
	v_or_b32_e32 v0, v1, v0
	buffer_store_dword v0, off, s[0:3], s33 offset:212 ; 4-byte Folded Spill
.LBB6_12995:                            ;   in Loop: Header=BB6_12355 Depth=2
	s_or_b64 exec, exec, s[88:89]
                                        ; implicit-def: $vgpr0
.LBB6_12996:                            ;   in Loop: Header=BB6_12355 Depth=2
	s_andn2_saveexec_b64 s[20:21], s[78:79]
	s_cbranch_execz .LBB6_12998
; %bb.12997:                            ;   in Loop: Header=BB6_12355 Depth=2
	v_or_b32_e32 v0, 0x7e, v0
	buffer_store_dword v0, off, s[0:3], s33 offset:212 ; 4-byte Folded Spill
.LBB6_12998:                            ;   in Loop: Header=BB6_12355 Depth=2
	s_or_b64 exec, exec, s[20:21]
                                        ; implicit-def: $vgpr1
.LBB6_12999:                            ;   in Loop: Header=BB6_12355 Depth=2
	s_andn2_saveexec_b64 s[20:21], s[76:77]
	s_cbranch_execz .LBB6_13001
; %bb.13000:                            ;   in Loop: Header=BB6_12355 Depth=2
	v_or_b32_sdwa v0, v1, s39 dst_sel:DWORD dst_unused:UNUSED_PAD src0_sel:BYTE_3 src1_sel:DWORD
	buffer_store_dword v0, off, s[0:3], s33 offset:212 ; 4-byte Folded Spill
.LBB6_13001:                            ;   in Loop: Header=BB6_12355 Depth=2
	s_or_b64 exec, exec, s[20:21]
	v_lshrrev_b16_e32 v10, 8, v52
	v_cmp_ne_u16_e32 vcc, 0, v10
	v_mov_b32_e32 v0, 0
	s_and_saveexec_b64 s[20:21], vcc
	s_cbranch_execz .LBB6_13007
; %bb.13002:                            ;   in Loop: Header=BB6_12355 Depth=2
	v_cmp_ne_u16_e32 vcc, s48, v10
	v_bfrev_b32_e32 v0, 1
	s_and_saveexec_b64 s[76:77], vcc
	s_cbranch_execz .LBB6_13006
; %bb.13003:                            ;   in Loop: Header=BB6_12355 Depth=2
	v_and_b32_e32 v1, 0x7f, v10
	v_cmp_ne_u32_e32 vcc, s39, v1
	v_mov_b32_e32 v0, 0x7f800001
	s_and_saveexec_b64 s[78:79], vcc
	s_cbranch_execz .LBB6_13005
; %bb.13004:                            ;   in Loop: Header=BB6_12355 Depth=2
	v_and_b32_e32 v2, 7, v10
	v_ffbh_u32_e32 v0, v2
	v_min_u32_e32 v4, 32, v0
	v_subrev_u32_e32 v0, 28, v4
	v_lshrrev_b32_e32 v3, 3, v1
	v_cmp_gt_u32_e32 vcc, 8, v1
	v_lshlrev_b64 v[0:1], v0, v[10:11]
	v_sub_u32_e32 v1, 29, v4
	v_and_b32_e32 v0, 7, v0
	v_cndmask_b32_e32 v1, v3, v1, vcc
	v_cndmask_b32_e32 v0, v2, v0, vcc
	v_lshlrev_b32_e32 v2, 16, v52
	v_bfrev_b32_e32 v3, 60
	v_lshlrev_b32_e32 v0, 20, v0
	v_and_b32_e32 v2, 0x80000000, v2
	v_lshl_add_u32 v1, v1, 23, v3
	v_or3_b32 v0, v2, v1, v0
.LBB6_13005:                            ;   in Loop: Header=BB6_12355 Depth=2
	s_or_b64 exec, exec, s[78:79]
.LBB6_13006:                            ;   in Loop: Header=BB6_12355 Depth=2
	s_or_b64 exec, exec, s[76:77]
.LBB6_13007:                            ;   in Loop: Header=BB6_12355 Depth=2
	s_or_b64 exec, exec, s[20:21]
	v_mul_f32_e32 v1, v19, v0
	v_and_b32_e32 v52, 0x7f800000, v1
	v_cmp_ne_u64_e32 vcc, s[46:47], v[52:53]
                                        ; implicit-def: $vgpr0
                                        ; kill: killed $vgpr0
	s_and_saveexec_b64 s[20:21], vcc
	s_xor_b64 s[76:77], exec, s[20:21]
	s_cbranch_execz .LBB6_13021
; %bb.13008:                            ;   in Loop: Header=BB6_12355 Depth=2
	v_and_b32_e32 v52, 0x7fffffff, v1
	v_cmp_gt_u64_e32 vcc, s[56:57], v[52:53]
	v_and_b32_sdwa v0, v1, s48 dst_sel:DWORD dst_unused:UNUSED_PAD src0_sel:BYTE_3 src1_sel:DWORD
                                        ; implicit-def: $vgpr2
                                        ; kill: killed $vgpr2
	s_and_saveexec_b64 s[20:21], vcc
	s_xor_b64 s[78:79], exec, s[20:21]
	s_cbranch_execz .LBB6_13018
; %bb.13009:                            ;   in Loop: Header=BB6_12355 Depth=2
	v_mov_b32_e32 v2, 0
	v_cmp_ne_u32_e32 vcc, 0, v1
	buffer_store_dword v2, off, s[0:3], s33 offset:216 ; 4-byte Folded Spill
	s_and_saveexec_b64 s[88:89], vcc
	s_cbranch_execz .LBB6_13017
; %bb.13010:                            ;   in Loop: Header=BB6_12355 Depth=2
	v_and_b32_e32 v3, 0x7fffff, v1
	v_bfe_u32 v1, v1, 23, 8
	v_cmp_gt_u32_e64 s[20:21], s49, v1
	v_sub_u32_e32 v2, 0x79, v1
	v_cmp_eq_u32_e32 vcc, 0, v1
	v_cndmask_b32_e64 v2, 0, v2, s[20:21]
	v_mov_b32_e32 v5, 0x78
	v_or_b32_e32 v4, 0x800000, v3
	v_cndmask_b32_e32 v2, v2, v5, vcc
	v_cndmask_b32_e32 v52, v4, v3, vcc
	v_add_u32_e32 v3, 20, v2
	v_lshlrev_b64 v[3:4], v3, -1
	v_add_u32_e32 v5, 19, v2
	v_lshlrev_b64 v[5:6], v5, 1
	v_lshrrev_b64 v[10:11], v2, v[52:53]
	v_bfi_b32 v4, v4, 0, 0
	v_bfi_b32 v3, v3, 0, v52
	v_cmp_eq_u64_e64 s[20:21], v[3:4], v[5:6]
	v_mov_b32_e32 v17, v11
	v_mov_b32_e32 v16, v10
	s_and_saveexec_b64 s[90:91], s[20:21]
; %bb.13011:                            ;   in Loop: Header=BB6_12355 Depth=2
	v_bfe_u32 v3, v10, 20, 1
	v_add_co_u32_e64 v3, s[20:21], v10, v3
	v_add_co_u32_e64 v16, s[20:21], -1, v3
; %bb.13012:                            ;   in Loop: Header=BB6_12355 Depth=2
	s_or_b64 exec, exec, s[90:91]
	v_add_u32_e32 v1, 0xffffff81, v1
	v_mov_b32_e32 v3, 0xffffff82
	v_cndmask_b32_e32 v1, v1, v3, vcc
	v_lshrrev_b32_e32 v3, 23, v10
	v_add3_u32 v3, v2, v1, v3
	v_add_u32_e32 v2, 6, v3
	v_and_b32_e32 v1, 0xfffff, v16
	v_add_u32_e32 v52, v1, v10
	v_cmp_ne_u32_e32 vcc, 0, v2
                                        ; implicit-def: $vgpr10_vgpr11
                                        ; implicit-def: $vgpr1
	s_and_saveexec_b64 s[20:21], vcc
	s_xor_b64 s[20:21], exec, s[20:21]
; %bb.13013:                            ;   in Loop: Header=BB6_12355 Depth=2
	v_cmp_lt_u64_e32 vcc, s[58:59], v[52:53]
	v_add_u32_e32 v1, 7, v3
	v_cndmask_b32_e32 v1, v2, v1, vcc
	v_cndmask_b32_e64 v2, 0, 1, vcc
	v_lshrrev_b64 v[10:11], v2, v[52:53]
; %bb.13014:                            ;   in Loop: Header=BB6_12355 Depth=2
	s_andn2_saveexec_b64 s[20:21], s[20:21]
; %bb.13015:                            ;   in Loop: Header=BB6_12355 Depth=2
	v_mov_b32_e32 v10, v52
	v_bfe_u32 v1, v52, 23, 1
	v_mov_b32_e32 v11, v53
; %bb.13016:                            ;   in Loop: Header=BB6_12355 Depth=2
	s_or_b64 exec, exec, s[20:21]
	v_lshrrev_b64 v[2:3], 20, v[10:11]
	v_cmp_gt_i32_e32 vcc, 16, v1
	v_cndmask_b32_e32 v3, 0, v3, vcc
	v_cndmask_b32_e32 v2, 7, v2, vcc
	v_cmp_eq_u32_e32 vcc, 0, v1
	v_min_i32_e32 v1, 15, v1
	v_cmp_eq_u64_e64 s[20:21], 0, v[2:3]
	v_lshlrev_b32_e32 v1, 3, v1
	v_and_b32_e32 v1, 0xf8, v1
	v_and_or_b32 v1, v2, 7, v1
	s_and_b64 s[20:21], vcc, s[20:21]
	v_cndmask_b32_e64 v1, v1, 0, s[20:21]
	v_or_b32_e32 v0, v1, v0
	buffer_store_dword v0, off, s[0:3], s33 offset:216 ; 4-byte Folded Spill
.LBB6_13017:                            ;   in Loop: Header=BB6_12355 Depth=2
	s_or_b64 exec, exec, s[88:89]
                                        ; implicit-def: $vgpr0
.LBB6_13018:                            ;   in Loop: Header=BB6_12355 Depth=2
	s_andn2_saveexec_b64 s[20:21], s[78:79]
	s_cbranch_execz .LBB6_13020
; %bb.13019:                            ;   in Loop: Header=BB6_12355 Depth=2
	v_or_b32_e32 v0, 0x7e, v0
	buffer_store_dword v0, off, s[0:3], s33 offset:216 ; 4-byte Folded Spill
.LBB6_13020:                            ;   in Loop: Header=BB6_12355 Depth=2
	s_or_b64 exec, exec, s[20:21]
                                        ; implicit-def: $vgpr1
.LBB6_13021:                            ;   in Loop: Header=BB6_12355 Depth=2
	s_andn2_saveexec_b64 s[20:21], s[76:77]
	s_cbranch_execz .LBB6_13023
; %bb.13022:                            ;   in Loop: Header=BB6_12355 Depth=2
	v_or_b32_sdwa v0, v1, s39 dst_sel:DWORD dst_unused:UNUSED_PAD src0_sel:BYTE_3 src1_sel:DWORD
	buffer_store_dword v0, off, s[0:3], s33 offset:216 ; 4-byte Folded Spill
.LBB6_13023:                            ;   in Loop: Header=BB6_12355 Depth=2
	s_or_b64 exec, exec, s[20:21]
	v_lshrrev_b32_e32 v10, 16, v13
	v_cmp_ne_u16_sdwa s[76:77], v10, v53 src0_sel:BYTE_0 src1_sel:DWORD
	v_mov_b32_e32 v0, 0
	s_and_saveexec_b64 s[20:21], s[76:77]
	s_cbranch_execz .LBB6_13029
; %bb.13024:                            ;   in Loop: Header=BB6_12355 Depth=2
	v_cmp_ne_u16_sdwa s[78:79], v10, s48 src0_sel:BYTE_0 src1_sel:DWORD
	v_bfrev_b32_e32 v0, 1
	s_and_saveexec_b64 s[76:77], s[78:79]
	s_cbranch_execz .LBB6_13028
; %bb.13025:                            ;   in Loop: Header=BB6_12355 Depth=2
	v_bfe_u32 v1, v13, 16, 7
	v_cmp_ne_u32_e32 vcc, s39, v1
	v_mov_b32_e32 v0, 0x7f800001
	s_and_saveexec_b64 s[78:79], vcc
	s_cbranch_execz .LBB6_13027
; %bb.13026:                            ;   in Loop: Header=BB6_12355 Depth=2
	v_and_b32_e32 v2, 7, v10
	v_ffbh_u32_e32 v0, v2
	v_min_u32_e32 v4, 32, v0
	v_subrev_u32_e32 v0, 28, v4
	v_lshrrev_b32_e32 v3, 3, v1
	v_cmp_gt_u32_e32 vcc, 8, v1
	v_lshlrev_b64 v[0:1], v0, v[10:11]
	v_sub_u32_e32 v1, 29, v4
	v_and_b32_e32 v0, 7, v0
	v_cndmask_b32_e32 v1, v3, v1, vcc
	v_cndmask_b32_e32 v0, v2, v0, vcc
	v_lshlrev_b32_e32 v2, 24, v10
	v_bfrev_b32_e32 v3, 60
	v_lshlrev_b32_e32 v0, 20, v0
	v_and_b32_e32 v2, 0x80000000, v2
	v_lshl_add_u32 v1, v1, 23, v3
	v_or3_b32 v0, v2, v1, v0
.LBB6_13027:                            ;   in Loop: Header=BB6_12355 Depth=2
	s_or_b64 exec, exec, s[78:79]
.LBB6_13028:                            ;   in Loop: Header=BB6_12355 Depth=2
	s_or_b64 exec, exec, s[76:77]
.LBB6_13029:                            ;   in Loop: Header=BB6_12355 Depth=2
	s_or_b64 exec, exec, s[20:21]
	v_mul_f32_e32 v1, v19, v0
	v_and_b32_e32 v52, 0x7f800000, v1
	v_cmp_ne_u64_e32 vcc, s[46:47], v[52:53]
                                        ; implicit-def: $vgpr0
                                        ; kill: killed $vgpr0
	s_and_saveexec_b64 s[20:21], vcc
	s_xor_b64 s[76:77], exec, s[20:21]
	s_cbranch_execz .LBB6_13043
; %bb.13030:                            ;   in Loop: Header=BB6_12355 Depth=2
	v_and_b32_e32 v52, 0x7fffffff, v1
	v_cmp_gt_u64_e32 vcc, s[56:57], v[52:53]
	v_and_b32_sdwa v0, v1, s48 dst_sel:DWORD dst_unused:UNUSED_PAD src0_sel:BYTE_3 src1_sel:DWORD
                                        ; implicit-def: $vgpr2
                                        ; kill: killed $vgpr2
	s_and_saveexec_b64 s[20:21], vcc
	s_xor_b64 s[78:79], exec, s[20:21]
	s_cbranch_execz .LBB6_13040
; %bb.13031:                            ;   in Loop: Header=BB6_12355 Depth=2
	v_mov_b32_e32 v2, 0
	v_cmp_ne_u32_e32 vcc, 0, v1
	buffer_store_dword v2, off, s[0:3], s33 offset:220 ; 4-byte Folded Spill
	s_and_saveexec_b64 s[88:89], vcc
	s_cbranch_execz .LBB6_13039
; %bb.13032:                            ;   in Loop: Header=BB6_12355 Depth=2
	v_and_b32_e32 v3, 0x7fffff, v1
	v_bfe_u32 v1, v1, 23, 8
	v_cmp_gt_u32_e64 s[20:21], s49, v1
	v_sub_u32_e32 v2, 0x79, v1
	v_cmp_eq_u32_e32 vcc, 0, v1
	v_cndmask_b32_e64 v2, 0, v2, s[20:21]
	v_mov_b32_e32 v5, 0x78
	v_or_b32_e32 v4, 0x800000, v3
	v_cndmask_b32_e32 v2, v2, v5, vcc
	v_cndmask_b32_e32 v52, v4, v3, vcc
	v_add_u32_e32 v3, 20, v2
	v_lshlrev_b64 v[3:4], v3, -1
	v_add_u32_e32 v5, 19, v2
	v_lshlrev_b64 v[5:6], v5, 1
	v_lshrrev_b64 v[10:11], v2, v[52:53]
	v_bfi_b32 v4, v4, 0, 0
	v_bfi_b32 v3, v3, 0, v52
	v_cmp_eq_u64_e64 s[20:21], v[3:4], v[5:6]
	v_mov_b32_e32 v17, v11
	v_mov_b32_e32 v16, v10
	s_and_saveexec_b64 s[90:91], s[20:21]
; %bb.13033:                            ;   in Loop: Header=BB6_12355 Depth=2
	v_bfe_u32 v3, v10, 20, 1
	v_add_co_u32_e64 v3, s[20:21], v10, v3
	v_add_co_u32_e64 v16, s[20:21], -1, v3
; %bb.13034:                            ;   in Loop: Header=BB6_12355 Depth=2
	s_or_b64 exec, exec, s[90:91]
	v_add_u32_e32 v1, 0xffffff81, v1
	v_mov_b32_e32 v3, 0xffffff82
	v_cndmask_b32_e32 v1, v1, v3, vcc
	v_lshrrev_b32_e32 v3, 23, v10
	v_add3_u32 v3, v2, v1, v3
	v_add_u32_e32 v2, 6, v3
	v_and_b32_e32 v1, 0xfffff, v16
	v_add_u32_e32 v52, v1, v10
	v_cmp_ne_u32_e32 vcc, 0, v2
                                        ; implicit-def: $vgpr10_vgpr11
                                        ; implicit-def: $vgpr1
	s_and_saveexec_b64 s[20:21], vcc
	s_xor_b64 s[20:21], exec, s[20:21]
; %bb.13035:                            ;   in Loop: Header=BB6_12355 Depth=2
	v_cmp_lt_u64_e32 vcc, s[58:59], v[52:53]
	v_add_u32_e32 v1, 7, v3
	v_cndmask_b32_e32 v1, v2, v1, vcc
	v_cndmask_b32_e64 v2, 0, 1, vcc
	v_lshrrev_b64 v[10:11], v2, v[52:53]
; %bb.13036:                            ;   in Loop: Header=BB6_12355 Depth=2
	s_andn2_saveexec_b64 s[20:21], s[20:21]
; %bb.13037:                            ;   in Loop: Header=BB6_12355 Depth=2
	v_mov_b32_e32 v10, v52
	v_bfe_u32 v1, v52, 23, 1
	v_mov_b32_e32 v11, v53
; %bb.13038:                            ;   in Loop: Header=BB6_12355 Depth=2
	s_or_b64 exec, exec, s[20:21]
	v_lshrrev_b64 v[2:3], 20, v[10:11]
	v_cmp_gt_i32_e32 vcc, 16, v1
	v_cndmask_b32_e32 v3, 0, v3, vcc
	v_cndmask_b32_e32 v2, 7, v2, vcc
	v_cmp_eq_u32_e32 vcc, 0, v1
	v_min_i32_e32 v1, 15, v1
	v_cmp_eq_u64_e64 s[20:21], 0, v[2:3]
	v_lshlrev_b32_e32 v1, 3, v1
	v_and_b32_e32 v1, 0xf8, v1
	v_and_or_b32 v1, v2, 7, v1
	s_and_b64 s[20:21], vcc, s[20:21]
	v_cndmask_b32_e64 v1, v1, 0, s[20:21]
	v_or_b32_e32 v0, v1, v0
	buffer_store_dword v0, off, s[0:3], s33 offset:220 ; 4-byte Folded Spill
.LBB6_13039:                            ;   in Loop: Header=BB6_12355 Depth=2
	s_or_b64 exec, exec, s[88:89]
                                        ; implicit-def: $vgpr0
.LBB6_13040:                            ;   in Loop: Header=BB6_12355 Depth=2
	s_andn2_saveexec_b64 s[20:21], s[78:79]
	s_cbranch_execz .LBB6_13042
; %bb.13041:                            ;   in Loop: Header=BB6_12355 Depth=2
	v_or_b32_e32 v0, 0x7e, v0
	buffer_store_dword v0, off, s[0:3], s33 offset:220 ; 4-byte Folded Spill
.LBB6_13042:                            ;   in Loop: Header=BB6_12355 Depth=2
	s_or_b64 exec, exec, s[20:21]
                                        ; implicit-def: $vgpr1
.LBB6_13043:                            ;   in Loop: Header=BB6_12355 Depth=2
	s_andn2_saveexec_b64 s[20:21], s[76:77]
	s_cbranch_execz .LBB6_13045
; %bb.13044:                            ;   in Loop: Header=BB6_12355 Depth=2
	v_or_b32_sdwa v0, v1, s39 dst_sel:DWORD dst_unused:UNUSED_PAD src0_sel:BYTE_3 src1_sel:DWORD
	buffer_store_dword v0, off, s[0:3], s33 offset:220 ; 4-byte Folded Spill
.LBB6_13045:                            ;   in Loop: Header=BB6_12355 Depth=2
	s_or_b64 exec, exec, s[20:21]
	v_cmp_lt_u64_e32 vcc, s[60:61], v[12:13]
	v_mov_b32_e32 v0, 0
	s_and_saveexec_b64 s[20:21], vcc
	s_cbranch_execz .LBB6_13051
; %bb.13046:                            ;   in Loop: Header=BB6_12355 Depth=2
	v_lshrrev_b32_e32 v10, 24, v13
	v_cmp_ne_u32_e32 vcc, s48, v10
	v_bfrev_b32_e32 v0, 1
	s_and_saveexec_b64 s[76:77], vcc
	s_cbranch_execz .LBB6_13050
; %bb.13047:                            ;   in Loop: Header=BB6_12355 Depth=2
	v_bfe_u32 v1, v13, 24, 7
	v_cmp_ne_u32_e32 vcc, s39, v1
	v_mov_b32_e32 v0, 0x7f800001
	s_and_saveexec_b64 s[78:79], vcc
	s_cbranch_execz .LBB6_13049
; %bb.13048:                            ;   in Loop: Header=BB6_12355 Depth=2
	v_and_b32_e32 v2, 7, v10
	v_ffbh_u32_e32 v0, v2
	v_min_u32_e32 v4, 32, v0
	v_subrev_u32_e32 v0, 28, v4
	v_lshrrev_b32_e32 v3, 3, v1
	v_cmp_gt_u32_e32 vcc, 8, v1
	v_lshlrev_b64 v[0:1], v0, v[10:11]
	v_sub_u32_e32 v1, 29, v4
	v_and_b32_e32 v0, 7, v0
	v_cndmask_b32_e32 v1, v3, v1, vcc
	v_cndmask_b32_e32 v0, v2, v0, vcc
	v_lshlrev_b32_e32 v2, 24, v10
	v_bfrev_b32_e32 v3, 60
	v_lshlrev_b32_e32 v0, 20, v0
	v_and_b32_e32 v2, 0x80000000, v2
	v_lshl_add_u32 v1, v1, 23, v3
	v_or3_b32 v0, v2, v1, v0
.LBB6_13049:                            ;   in Loop: Header=BB6_12355 Depth=2
	s_or_b64 exec, exec, s[78:79]
.LBB6_13050:                            ;   in Loop: Header=BB6_12355 Depth=2
	s_or_b64 exec, exec, s[76:77]
.LBB6_13051:                            ;   in Loop: Header=BB6_12355 Depth=2
	s_or_b64 exec, exec, s[20:21]
	v_mul_f32_e32 v1, v19, v0
	v_and_b32_e32 v52, 0x7f800000, v1
	v_cmp_ne_u64_e32 vcc, s[46:47], v[52:53]
                                        ; implicit-def: $vgpr0
                                        ; kill: killed $vgpr0
	s_and_saveexec_b64 s[20:21], vcc
	s_xor_b64 s[76:77], exec, s[20:21]
	s_cbranch_execz .LBB6_13065
; %bb.13052:                            ;   in Loop: Header=BB6_12355 Depth=2
	v_and_b32_e32 v52, 0x7fffffff, v1
	v_cmp_gt_u64_e32 vcc, s[56:57], v[52:53]
	v_and_b32_sdwa v0, v1, s48 dst_sel:DWORD dst_unused:UNUSED_PAD src0_sel:BYTE_3 src1_sel:DWORD
                                        ; implicit-def: $vgpr2
                                        ; kill: killed $vgpr2
	s_and_saveexec_b64 s[20:21], vcc
	s_xor_b64 s[78:79], exec, s[20:21]
	s_cbranch_execz .LBB6_13062
; %bb.13053:                            ;   in Loop: Header=BB6_12355 Depth=2
	v_mov_b32_e32 v2, 0
	v_cmp_ne_u32_e32 vcc, 0, v1
	buffer_store_dword v2, off, s[0:3], s33 offset:224 ; 4-byte Folded Spill
	s_and_saveexec_b64 s[88:89], vcc
	s_cbranch_execz .LBB6_13061
; %bb.13054:                            ;   in Loop: Header=BB6_12355 Depth=2
	v_and_b32_e32 v3, 0x7fffff, v1
	v_bfe_u32 v1, v1, 23, 8
	v_cmp_gt_u32_e64 s[20:21], s49, v1
	v_sub_u32_e32 v2, 0x79, v1
	v_cmp_eq_u32_e32 vcc, 0, v1
	v_cndmask_b32_e64 v2, 0, v2, s[20:21]
	v_mov_b32_e32 v5, 0x78
	v_or_b32_e32 v4, 0x800000, v3
	v_cndmask_b32_e32 v2, v2, v5, vcc
	v_cndmask_b32_e32 v52, v4, v3, vcc
	v_add_u32_e32 v3, 20, v2
	v_lshlrev_b64 v[3:4], v3, -1
	v_add_u32_e32 v5, 19, v2
	v_lshlrev_b64 v[5:6], v5, 1
	v_lshrrev_b64 v[10:11], v2, v[52:53]
	v_bfi_b32 v4, v4, 0, 0
	v_bfi_b32 v3, v3, 0, v52
	v_cmp_eq_u64_e64 s[20:21], v[3:4], v[5:6]
	v_mov_b32_e32 v12, v11
	v_mov_b32_e32 v11, v10
	s_and_saveexec_b64 s[90:91], s[20:21]
; %bb.13055:                            ;   in Loop: Header=BB6_12355 Depth=2
	v_bfe_u32 v3, v10, 20, 1
	v_add_co_u32_e64 v3, s[20:21], v10, v3
	v_add_co_u32_e64 v11, s[20:21], -1, v3
; %bb.13056:                            ;   in Loop: Header=BB6_12355 Depth=2
	s_or_b64 exec, exec, s[90:91]
	v_add_u32_e32 v1, 0xffffff81, v1
	v_mov_b32_e32 v3, 0xffffff82
	v_cndmask_b32_e32 v1, v1, v3, vcc
	v_lshrrev_b32_e32 v3, 23, v10
	v_add3_u32 v3, v2, v1, v3
	v_add_u32_e32 v2, 6, v3
	v_and_b32_e32 v1, 0xfffff, v11
	v_add_u32_e32 v52, v1, v10
	v_cmp_ne_u32_e32 vcc, 0, v2
                                        ; implicit-def: $vgpr10_vgpr11
                                        ; implicit-def: $vgpr1
	s_and_saveexec_b64 s[20:21], vcc
	s_xor_b64 s[20:21], exec, s[20:21]
; %bb.13057:                            ;   in Loop: Header=BB6_12355 Depth=2
	v_cmp_lt_u64_e32 vcc, s[58:59], v[52:53]
	v_add_u32_e32 v1, 7, v3
	v_cndmask_b32_e32 v1, v2, v1, vcc
	v_cndmask_b32_e64 v2, 0, 1, vcc
	v_lshrrev_b64 v[10:11], v2, v[52:53]
; %bb.13058:                            ;   in Loop: Header=BB6_12355 Depth=2
	s_andn2_saveexec_b64 s[20:21], s[20:21]
; %bb.13059:                            ;   in Loop: Header=BB6_12355 Depth=2
	v_mov_b32_e32 v10, v52
	v_bfe_u32 v1, v52, 23, 1
	v_mov_b32_e32 v11, v53
; %bb.13060:                            ;   in Loop: Header=BB6_12355 Depth=2
	s_or_b64 exec, exec, s[20:21]
	v_lshrrev_b64 v[2:3], 20, v[10:11]
	v_cmp_gt_i32_e32 vcc, 16, v1
	v_cndmask_b32_e32 v3, 0, v3, vcc
	v_cndmask_b32_e32 v2, 7, v2, vcc
	v_cmp_eq_u32_e32 vcc, 0, v1
	v_min_i32_e32 v1, 15, v1
	v_cmp_eq_u64_e64 s[20:21], 0, v[2:3]
	v_lshlrev_b32_e32 v1, 3, v1
	v_and_b32_e32 v1, 0xf8, v1
	v_and_or_b32 v1, v2, 7, v1
	s_and_b64 s[20:21], vcc, s[20:21]
	v_cndmask_b32_e64 v1, v1, 0, s[20:21]
	v_or_b32_e32 v0, v1, v0
	buffer_store_dword v0, off, s[0:3], s33 offset:224 ; 4-byte Folded Spill
.LBB6_13061:                            ;   in Loop: Header=BB6_12355 Depth=2
	s_or_b64 exec, exec, s[88:89]
                                        ; implicit-def: $vgpr0
.LBB6_13062:                            ;   in Loop: Header=BB6_12355 Depth=2
	s_andn2_saveexec_b64 s[20:21], s[78:79]
	s_cbranch_execz .LBB6_13064
; %bb.13063:                            ;   in Loop: Header=BB6_12355 Depth=2
	v_or_b32_e32 v0, 0x7e, v0
	buffer_store_dword v0, off, s[0:3], s33 offset:224 ; 4-byte Folded Spill
.LBB6_13064:                            ;   in Loop: Header=BB6_12355 Depth=2
	s_or_b64 exec, exec, s[20:21]
                                        ; implicit-def: $vgpr1
.LBB6_13065:                            ;   in Loop: Header=BB6_12355 Depth=2
	s_andn2_saveexec_b64 s[20:21], s[76:77]
	s_cbranch_execz .LBB6_13067
; %bb.13066:                            ;   in Loop: Header=BB6_12355 Depth=2
	v_or_b32_sdwa v0, v1, s39 dst_sel:DWORD dst_unused:UNUSED_PAD src0_sel:BYTE_3 src1_sel:DWORD
	buffer_store_dword v0, off, s[0:3], s33 offset:224 ; 4-byte Folded Spill
.LBB6_13067:                            ;   in Loop: Header=BB6_12355 Depth=2
	s_or_b64 exec, exec, s[20:21]
	global_load_dwordx4 v[10:13], v[14:15], off offset:2048 glc slc
	v_mov_b32_e32 v0, 0
	s_waitcnt vmcnt(0)
	v_cmp_ne_u16_sdwa s[76:77], v10, v53 src0_sel:BYTE_0 src1_sel:DWORD
	s_and_saveexec_b64 s[20:21], s[76:77]
	s_cbranch_execz .LBB6_13073
; %bb.13068:                            ;   in Loop: Header=BB6_12355 Depth=2
	v_cmp_ne_u16_sdwa s[78:79], v10, s48 src0_sel:BYTE_0 src1_sel:DWORD
	v_bfrev_b32_e32 v0, 1
	s_and_saveexec_b64 s[76:77], s[78:79]
	s_cbranch_execz .LBB6_13072
; %bb.13069:                            ;   in Loop: Header=BB6_12355 Depth=2
	v_and_b32_e32 v1, 0x7f, v10
	v_cmp_ne_u32_e32 vcc, s39, v1
	v_mov_b32_e32 v0, 0x7f800001
	s_and_saveexec_b64 s[78:79], vcc
	s_cbranch_execz .LBB6_13071
; %bb.13070:                            ;   in Loop: Header=BB6_12355 Depth=2
	v_and_b32_e32 v0, 7, v10
	v_ffbh_u32_e32 v0, v0
	v_min_u32_e32 v0, 32, v0
	v_lshrrev_b32_e32 v2, 3, v1
	v_cmp_gt_u32_e32 vcc, 8, v1
	v_subrev_u32_e32 v1, 28, v0
	v_sub_u32_e32 v0, 29, v0
	v_cndmask_b32_e32 v2, v2, v0, vcc
	v_cndmask_b32_e32 v0, 0, v1, vcc
	v_lshlrev_b64 v[0:1], v0, v[10:11]
	v_lshlrev_b32_e32 v1, 24, v10
	v_lshlrev_b32_e32 v0, 20, v0
	v_bfrev_b32_e32 v3, 60
	v_and_b32_e32 v0, 0x700000, v0
	v_and_b32_e32 v1, 0x80000000, v1
	v_lshl_add_u32 v2, v2, 23, v3
	v_or3_b32 v0, v1, v2, v0
.LBB6_13071:                            ;   in Loop: Header=BB6_12355 Depth=2
	s_or_b64 exec, exec, s[78:79]
.LBB6_13072:                            ;   in Loop: Header=BB6_12355 Depth=2
	s_or_b64 exec, exec, s[76:77]
.LBB6_13073:                            ;   in Loop: Header=BB6_12355 Depth=2
	s_or_b64 exec, exec, s[20:21]
	v_mul_f32_e32 v1, v19, v0
	v_and_b32_e32 v52, 0x7f800000, v1
	v_cmp_ne_u64_e32 vcc, s[46:47], v[52:53]
                                        ; implicit-def: $vgpr0
                                        ; kill: killed $vgpr0
	s_and_saveexec_b64 s[20:21], vcc
	s_xor_b64 s[76:77], exec, s[20:21]
	s_cbranch_execz .LBB6_13087
; %bb.13074:                            ;   in Loop: Header=BB6_12355 Depth=2
	v_and_b32_e32 v52, 0x7fffffff, v1
	v_cmp_gt_u64_e32 vcc, s[56:57], v[52:53]
	v_and_b32_sdwa v0, v1, s48 dst_sel:DWORD dst_unused:UNUSED_PAD src0_sel:BYTE_3 src1_sel:DWORD
                                        ; implicit-def: $vgpr2
                                        ; kill: killed $vgpr2
	s_and_saveexec_b64 s[20:21], vcc
	s_xor_b64 s[78:79], exec, s[20:21]
	s_cbranch_execz .LBB6_13084
; %bb.13075:                            ;   in Loop: Header=BB6_12355 Depth=2
	v_mov_b32_e32 v2, 0
	v_cmp_ne_u32_e32 vcc, 0, v1
	buffer_store_dword v2, off, s[0:3], s33 offset:228 ; 4-byte Folded Spill
	s_and_saveexec_b64 s[88:89], vcc
	s_cbranch_execz .LBB6_13083
; %bb.13076:                            ;   in Loop: Header=BB6_12355 Depth=2
	v_and_b32_e32 v3, 0x7fffff, v1
	v_bfe_u32 v1, v1, 23, 8
	v_cmp_gt_u32_e64 s[20:21], s49, v1
	v_sub_u32_e32 v2, 0x79, v1
	v_cmp_eq_u32_e32 vcc, 0, v1
	v_cndmask_b32_e64 v2, 0, v2, s[20:21]
	v_mov_b32_e32 v5, 0x78
	v_or_b32_e32 v4, 0x800000, v3
	v_cndmask_b32_e32 v2, v2, v5, vcc
	v_cndmask_b32_e32 v52, v4, v3, vcc
	v_add_u32_e32 v3, 20, v2
	v_lshlrev_b64 v[3:4], v3, -1
	v_add_u32_e32 v5, 19, v2
	v_lshlrev_b64 v[5:6], v5, 1
	v_lshrrev_b64 v[16:17], v2, v[52:53]
	v_bfi_b32 v4, v4, 0, 0
	v_bfi_b32 v3, v3, 0, v52
	v_cmp_eq_u64_e64 s[20:21], v[3:4], v[5:6]
	v_mov_b32_e32 v18, v17
	v_mov_b32_e32 v17, v16
	s_and_saveexec_b64 s[90:91], s[20:21]
; %bb.13077:                            ;   in Loop: Header=BB6_12355 Depth=2
	v_bfe_u32 v3, v16, 20, 1
	v_add_co_u32_e64 v3, s[20:21], v16, v3
	v_add_co_u32_e64 v17, s[20:21], -1, v3
; %bb.13078:                            ;   in Loop: Header=BB6_12355 Depth=2
	s_or_b64 exec, exec, s[90:91]
	v_add_u32_e32 v1, 0xffffff81, v1
	v_mov_b32_e32 v3, 0xffffff82
	v_cndmask_b32_e32 v1, v1, v3, vcc
	v_lshrrev_b32_e32 v3, 23, v16
	v_add3_u32 v3, v2, v1, v3
	v_add_u32_e32 v2, 6, v3
	v_and_b32_e32 v1, 0xfffff, v17
	v_add_u32_e32 v52, v1, v16
	v_cmp_ne_u32_e32 vcc, 0, v2
                                        ; implicit-def: $vgpr16_vgpr17
                                        ; implicit-def: $vgpr1
	s_and_saveexec_b64 s[20:21], vcc
	s_xor_b64 s[20:21], exec, s[20:21]
; %bb.13079:                            ;   in Loop: Header=BB6_12355 Depth=2
	v_cmp_lt_u64_e32 vcc, s[58:59], v[52:53]
	v_add_u32_e32 v1, 7, v3
	v_cndmask_b32_e32 v1, v2, v1, vcc
	v_cndmask_b32_e64 v2, 0, 1, vcc
	v_lshrrev_b64 v[16:17], v2, v[52:53]
; %bb.13080:                            ;   in Loop: Header=BB6_12355 Depth=2
	s_andn2_saveexec_b64 s[20:21], s[20:21]
; %bb.13081:                            ;   in Loop: Header=BB6_12355 Depth=2
	v_mov_b32_e32 v16, v52
	v_bfe_u32 v1, v52, 23, 1
	v_mov_b32_e32 v17, v53
; %bb.13082:                            ;   in Loop: Header=BB6_12355 Depth=2
	s_or_b64 exec, exec, s[20:21]
	v_lshrrev_b64 v[2:3], 20, v[16:17]
	v_cmp_gt_i32_e32 vcc, 16, v1
	v_cndmask_b32_e32 v3, 0, v3, vcc
	v_cndmask_b32_e32 v2, 7, v2, vcc
	v_cmp_eq_u32_e32 vcc, 0, v1
	v_min_i32_e32 v1, 15, v1
	v_cmp_eq_u64_e64 s[20:21], 0, v[2:3]
	v_lshlrev_b32_e32 v1, 3, v1
	v_and_b32_e32 v1, 0xf8, v1
	v_and_or_b32 v1, v2, 7, v1
	s_and_b64 s[20:21], vcc, s[20:21]
	v_cndmask_b32_e64 v1, v1, 0, s[20:21]
	v_or_b32_e32 v0, v1, v0
	buffer_store_dword v0, off, s[0:3], s33 offset:228 ; 4-byte Folded Spill
.LBB6_13083:                            ;   in Loop: Header=BB6_12355 Depth=2
	s_or_b64 exec, exec, s[88:89]
                                        ; implicit-def: $vgpr0
.LBB6_13084:                            ;   in Loop: Header=BB6_12355 Depth=2
	s_andn2_saveexec_b64 s[20:21], s[78:79]
	s_cbranch_execz .LBB6_13086
; %bb.13085:                            ;   in Loop: Header=BB6_12355 Depth=2
	v_or_b32_e32 v0, 0x7e, v0
	buffer_store_dword v0, off, s[0:3], s33 offset:228 ; 4-byte Folded Spill
.LBB6_13086:                            ;   in Loop: Header=BB6_12355 Depth=2
	s_or_b64 exec, exec, s[20:21]
                                        ; implicit-def: $vgpr1
.LBB6_13087:                            ;   in Loop: Header=BB6_12355 Depth=2
	s_andn2_saveexec_b64 s[20:21], s[76:77]
	s_cbranch_execz .LBB6_13089
; %bb.13088:                            ;   in Loop: Header=BB6_12355 Depth=2
	v_or_b32_sdwa v0, v1, s39 dst_sel:DWORD dst_unused:UNUSED_PAD src0_sel:BYTE_3 src1_sel:DWORD
	buffer_store_dword v0, off, s[0:3], s33 offset:228 ; 4-byte Folded Spill
.LBB6_13089:                            ;   in Loop: Header=BB6_12355 Depth=2
	s_or_b64 exec, exec, s[20:21]
	v_lshrrev_b16_e32 v16, 8, v10
	v_cmp_ne_u16_e32 vcc, 0, v16
	v_mov_b32_e32 v0, 0
	s_and_saveexec_b64 s[20:21], vcc
	s_cbranch_execz .LBB6_13095
; %bb.13090:                            ;   in Loop: Header=BB6_12355 Depth=2
	v_cmp_ne_u16_e32 vcc, s48, v16
	v_bfrev_b32_e32 v0, 1
	s_and_saveexec_b64 s[76:77], vcc
	s_cbranch_execz .LBB6_13094
; %bb.13091:                            ;   in Loop: Header=BB6_12355 Depth=2
	v_and_b32_e32 v1, 0x7f, v16
	v_cmp_ne_u32_e32 vcc, s39, v1
	v_mov_b32_e32 v0, 0x7f800001
	s_and_saveexec_b64 s[78:79], vcc
	s_cbranch_execz .LBB6_13093
; %bb.13092:                            ;   in Loop: Header=BB6_12355 Depth=2
	v_and_b32_e32 v2, 7, v16
	v_ffbh_u32_e32 v0, v2
	v_min_u32_e32 v4, 32, v0
	v_subrev_u32_e32 v0, 28, v4
	v_lshrrev_b32_e32 v3, 3, v1
	v_cmp_gt_u32_e32 vcc, 8, v1
	v_lshlrev_b64 v[0:1], v0, v[16:17]
	v_sub_u32_e32 v1, 29, v4
	v_and_b32_e32 v0, 7, v0
	v_cndmask_b32_e32 v1, v3, v1, vcc
	v_cndmask_b32_e32 v0, v2, v0, vcc
	v_lshlrev_b32_e32 v2, 16, v10
	v_bfrev_b32_e32 v3, 60
	v_lshlrev_b32_e32 v0, 20, v0
	v_and_b32_e32 v2, 0x80000000, v2
	v_lshl_add_u32 v1, v1, 23, v3
	v_or3_b32 v0, v2, v1, v0
.LBB6_13093:                            ;   in Loop: Header=BB6_12355 Depth=2
	s_or_b64 exec, exec, s[78:79]
.LBB6_13094:                            ;   in Loop: Header=BB6_12355 Depth=2
	s_or_b64 exec, exec, s[76:77]
.LBB6_13095:                            ;   in Loop: Header=BB6_12355 Depth=2
	s_or_b64 exec, exec, s[20:21]
	v_mul_f32_e32 v1, v19, v0
	v_and_b32_e32 v52, 0x7f800000, v1
	v_cmp_ne_u64_e32 vcc, s[46:47], v[52:53]
                                        ; implicit-def: $vgpr0
                                        ; kill: killed $vgpr0
	s_and_saveexec_b64 s[20:21], vcc
	s_xor_b64 s[76:77], exec, s[20:21]
	s_cbranch_execz .LBB6_13109
; %bb.13096:                            ;   in Loop: Header=BB6_12355 Depth=2
	v_and_b32_e32 v52, 0x7fffffff, v1
	v_cmp_gt_u64_e32 vcc, s[56:57], v[52:53]
	v_and_b32_sdwa v0, v1, s48 dst_sel:DWORD dst_unused:UNUSED_PAD src0_sel:BYTE_3 src1_sel:DWORD
                                        ; implicit-def: $vgpr2
                                        ; kill: killed $vgpr2
	s_and_saveexec_b64 s[20:21], vcc
	s_xor_b64 s[78:79], exec, s[20:21]
	s_cbranch_execz .LBB6_13106
; %bb.13097:                            ;   in Loop: Header=BB6_12355 Depth=2
	v_mov_b32_e32 v2, 0
	v_cmp_ne_u32_e32 vcc, 0, v1
	buffer_store_dword v2, off, s[0:3], s33 offset:232 ; 4-byte Folded Spill
	s_and_saveexec_b64 s[88:89], vcc
	s_cbranch_execz .LBB6_13105
; %bb.13098:                            ;   in Loop: Header=BB6_12355 Depth=2
	v_and_b32_e32 v3, 0x7fffff, v1
	v_bfe_u32 v1, v1, 23, 8
	v_cmp_gt_u32_e64 s[20:21], s49, v1
	v_sub_u32_e32 v2, 0x79, v1
	v_cmp_eq_u32_e32 vcc, 0, v1
	v_cndmask_b32_e64 v2, 0, v2, s[20:21]
	v_mov_b32_e32 v5, 0x78
	v_or_b32_e32 v4, 0x800000, v3
	v_cndmask_b32_e32 v2, v2, v5, vcc
	v_cndmask_b32_e32 v52, v4, v3, vcc
	v_add_u32_e32 v3, 20, v2
	v_lshlrev_b64 v[3:4], v3, -1
	v_add_u32_e32 v5, 19, v2
	v_lshlrev_b64 v[5:6], v5, 1
	v_lshrrev_b64 v[16:17], v2, v[52:53]
	v_bfi_b32 v4, v4, 0, 0
	v_bfi_b32 v3, v3, 0, v52
	v_cmp_eq_u64_e64 s[20:21], v[3:4], v[5:6]
	v_mov_b32_e32 v18, v17
	v_mov_b32_e32 v17, v16
	s_and_saveexec_b64 s[90:91], s[20:21]
; %bb.13099:                            ;   in Loop: Header=BB6_12355 Depth=2
	v_bfe_u32 v3, v16, 20, 1
	v_add_co_u32_e64 v3, s[20:21], v16, v3
	v_add_co_u32_e64 v17, s[20:21], -1, v3
; %bb.13100:                            ;   in Loop: Header=BB6_12355 Depth=2
	s_or_b64 exec, exec, s[90:91]
	v_add_u32_e32 v1, 0xffffff81, v1
	v_mov_b32_e32 v3, 0xffffff82
	v_cndmask_b32_e32 v1, v1, v3, vcc
	v_lshrrev_b32_e32 v3, 23, v16
	v_add3_u32 v3, v2, v1, v3
	v_add_u32_e32 v2, 6, v3
	v_and_b32_e32 v1, 0xfffff, v17
	v_add_u32_e32 v52, v1, v16
	v_cmp_ne_u32_e32 vcc, 0, v2
                                        ; implicit-def: $vgpr16_vgpr17
                                        ; implicit-def: $vgpr1
	s_and_saveexec_b64 s[20:21], vcc
	s_xor_b64 s[20:21], exec, s[20:21]
; %bb.13101:                            ;   in Loop: Header=BB6_12355 Depth=2
	v_cmp_lt_u64_e32 vcc, s[58:59], v[52:53]
	v_add_u32_e32 v1, 7, v3
	v_cndmask_b32_e32 v1, v2, v1, vcc
	v_cndmask_b32_e64 v2, 0, 1, vcc
	v_lshrrev_b64 v[16:17], v2, v[52:53]
; %bb.13102:                            ;   in Loop: Header=BB6_12355 Depth=2
	s_andn2_saveexec_b64 s[20:21], s[20:21]
; %bb.13103:                            ;   in Loop: Header=BB6_12355 Depth=2
	v_mov_b32_e32 v16, v52
	v_bfe_u32 v1, v52, 23, 1
	v_mov_b32_e32 v17, v53
; %bb.13104:                            ;   in Loop: Header=BB6_12355 Depth=2
	s_or_b64 exec, exec, s[20:21]
	v_lshrrev_b64 v[2:3], 20, v[16:17]
	v_cmp_gt_i32_e32 vcc, 16, v1
	v_cndmask_b32_e32 v3, 0, v3, vcc
	v_cndmask_b32_e32 v2, 7, v2, vcc
	v_cmp_eq_u32_e32 vcc, 0, v1
	v_min_i32_e32 v1, 15, v1
	v_cmp_eq_u64_e64 s[20:21], 0, v[2:3]
	v_lshlrev_b32_e32 v1, 3, v1
	v_and_b32_e32 v1, 0xf8, v1
	v_and_or_b32 v1, v2, 7, v1
	s_and_b64 s[20:21], vcc, s[20:21]
	v_cndmask_b32_e64 v1, v1, 0, s[20:21]
	v_or_b32_e32 v0, v1, v0
	buffer_store_dword v0, off, s[0:3], s33 offset:232 ; 4-byte Folded Spill
.LBB6_13105:                            ;   in Loop: Header=BB6_12355 Depth=2
	s_or_b64 exec, exec, s[88:89]
                                        ; implicit-def: $vgpr0
.LBB6_13106:                            ;   in Loop: Header=BB6_12355 Depth=2
	s_andn2_saveexec_b64 s[20:21], s[78:79]
	s_cbranch_execz .LBB6_13108
; %bb.13107:                            ;   in Loop: Header=BB6_12355 Depth=2
	v_or_b32_e32 v0, 0x7e, v0
	buffer_store_dword v0, off, s[0:3], s33 offset:232 ; 4-byte Folded Spill
.LBB6_13108:                            ;   in Loop: Header=BB6_12355 Depth=2
	s_or_b64 exec, exec, s[20:21]
                                        ; implicit-def: $vgpr1
.LBB6_13109:                            ;   in Loop: Header=BB6_12355 Depth=2
	s_andn2_saveexec_b64 s[20:21], s[76:77]
	s_cbranch_execz .LBB6_13111
; %bb.13110:                            ;   in Loop: Header=BB6_12355 Depth=2
	v_or_b32_sdwa v0, v1, s39 dst_sel:DWORD dst_unused:UNUSED_PAD src0_sel:BYTE_3 src1_sel:DWORD
	buffer_store_dword v0, off, s[0:3], s33 offset:232 ; 4-byte Folded Spill
.LBB6_13111:                            ;   in Loop: Header=BB6_12355 Depth=2
	s_or_b64 exec, exec, s[20:21]
	v_lshrrev_b32_e32 v16, 16, v10
	v_cmp_ne_u16_sdwa s[76:77], v16, v53 src0_sel:BYTE_0 src1_sel:DWORD
	v_mov_b32_e32 v0, 0
	s_and_saveexec_b64 s[20:21], s[76:77]
	s_cbranch_execz .LBB6_13117
; %bb.13112:                            ;   in Loop: Header=BB6_12355 Depth=2
	v_cmp_ne_u16_sdwa s[78:79], v16, s48 src0_sel:BYTE_0 src1_sel:DWORD
	v_bfrev_b32_e32 v0, 1
	s_and_saveexec_b64 s[76:77], s[78:79]
	s_cbranch_execz .LBB6_13116
; %bb.13113:                            ;   in Loop: Header=BB6_12355 Depth=2
	v_bfe_u32 v1, v10, 16, 7
	v_cmp_ne_u32_e32 vcc, s39, v1
	v_mov_b32_e32 v0, 0x7f800001
	s_and_saveexec_b64 s[78:79], vcc
	s_cbranch_execz .LBB6_13115
; %bb.13114:                            ;   in Loop: Header=BB6_12355 Depth=2
	v_and_b32_e32 v2, 7, v16
	v_ffbh_u32_e32 v0, v2
	v_min_u32_e32 v4, 32, v0
	v_subrev_u32_e32 v0, 28, v4
	v_lshrrev_b32_e32 v3, 3, v1
	v_cmp_gt_u32_e32 vcc, 8, v1
	v_lshlrev_b64 v[0:1], v0, v[16:17]
	v_sub_u32_e32 v1, 29, v4
	v_and_b32_e32 v0, 7, v0
	v_cndmask_b32_e32 v1, v3, v1, vcc
	v_cndmask_b32_e32 v0, v2, v0, vcc
	v_lshlrev_b32_e32 v2, 24, v16
	v_bfrev_b32_e32 v3, 60
	v_lshlrev_b32_e32 v0, 20, v0
	v_and_b32_e32 v2, 0x80000000, v2
	v_lshl_add_u32 v1, v1, 23, v3
	v_or3_b32 v0, v2, v1, v0
.LBB6_13115:                            ;   in Loop: Header=BB6_12355 Depth=2
	s_or_b64 exec, exec, s[78:79]
.LBB6_13116:                            ;   in Loop: Header=BB6_12355 Depth=2
	s_or_b64 exec, exec, s[76:77]
.LBB6_13117:                            ;   in Loop: Header=BB6_12355 Depth=2
	s_or_b64 exec, exec, s[20:21]
	v_mul_f32_e32 v1, v19, v0
	v_and_b32_e32 v52, 0x7f800000, v1
	v_cmp_ne_u64_e32 vcc, s[46:47], v[52:53]
                                        ; implicit-def: $vgpr0
                                        ; kill: killed $vgpr0
	s_and_saveexec_b64 s[20:21], vcc
	s_xor_b64 s[76:77], exec, s[20:21]
	s_cbranch_execz .LBB6_13131
; %bb.13118:                            ;   in Loop: Header=BB6_12355 Depth=2
	v_and_b32_e32 v52, 0x7fffffff, v1
	v_cmp_gt_u64_e32 vcc, s[56:57], v[52:53]
	v_and_b32_sdwa v0, v1, s48 dst_sel:DWORD dst_unused:UNUSED_PAD src0_sel:BYTE_3 src1_sel:DWORD
                                        ; implicit-def: $vgpr2
                                        ; kill: killed $vgpr2
	s_and_saveexec_b64 s[20:21], vcc
	s_xor_b64 s[78:79], exec, s[20:21]
	s_cbranch_execz .LBB6_13128
; %bb.13119:                            ;   in Loop: Header=BB6_12355 Depth=2
	v_mov_b32_e32 v2, 0
	v_cmp_ne_u32_e32 vcc, 0, v1
	buffer_store_dword v2, off, s[0:3], s33 offset:236 ; 4-byte Folded Spill
	s_and_saveexec_b64 s[88:89], vcc
	s_cbranch_execz .LBB6_13127
; %bb.13120:                            ;   in Loop: Header=BB6_12355 Depth=2
	v_and_b32_e32 v3, 0x7fffff, v1
	v_bfe_u32 v1, v1, 23, 8
	v_cmp_gt_u32_e64 s[20:21], s49, v1
	v_sub_u32_e32 v2, 0x79, v1
	v_cmp_eq_u32_e32 vcc, 0, v1
	v_cndmask_b32_e64 v2, 0, v2, s[20:21]
	v_mov_b32_e32 v5, 0x78
	v_or_b32_e32 v4, 0x800000, v3
	v_cndmask_b32_e32 v2, v2, v5, vcc
	v_cndmask_b32_e32 v52, v4, v3, vcc
	v_add_u32_e32 v3, 20, v2
	v_lshlrev_b64 v[3:4], v3, -1
	v_add_u32_e32 v5, 19, v2
	v_lshlrev_b64 v[5:6], v5, 1
	v_lshrrev_b64 v[16:17], v2, v[52:53]
	v_bfi_b32 v4, v4, 0, 0
	v_bfi_b32 v3, v3, 0, v52
	v_cmp_eq_u64_e64 s[20:21], v[3:4], v[5:6]
	v_mov_b32_e32 v18, v17
	v_mov_b32_e32 v17, v16
	s_and_saveexec_b64 s[90:91], s[20:21]
; %bb.13121:                            ;   in Loop: Header=BB6_12355 Depth=2
	v_bfe_u32 v3, v16, 20, 1
	v_add_co_u32_e64 v3, s[20:21], v16, v3
	v_add_co_u32_e64 v17, s[20:21], -1, v3
; %bb.13122:                            ;   in Loop: Header=BB6_12355 Depth=2
	s_or_b64 exec, exec, s[90:91]
	v_add_u32_e32 v1, 0xffffff81, v1
	v_mov_b32_e32 v3, 0xffffff82
	v_cndmask_b32_e32 v1, v1, v3, vcc
	v_lshrrev_b32_e32 v3, 23, v16
	v_add3_u32 v3, v2, v1, v3
	v_add_u32_e32 v2, 6, v3
	v_and_b32_e32 v1, 0xfffff, v17
	v_add_u32_e32 v52, v1, v16
	v_cmp_ne_u32_e32 vcc, 0, v2
                                        ; implicit-def: $vgpr16_vgpr17
                                        ; implicit-def: $vgpr1
	s_and_saveexec_b64 s[20:21], vcc
	s_xor_b64 s[20:21], exec, s[20:21]
; %bb.13123:                            ;   in Loop: Header=BB6_12355 Depth=2
	v_cmp_lt_u64_e32 vcc, s[58:59], v[52:53]
	v_add_u32_e32 v1, 7, v3
	v_cndmask_b32_e32 v1, v2, v1, vcc
	v_cndmask_b32_e64 v2, 0, 1, vcc
	v_lshrrev_b64 v[16:17], v2, v[52:53]
; %bb.13124:                            ;   in Loop: Header=BB6_12355 Depth=2
	s_andn2_saveexec_b64 s[20:21], s[20:21]
; %bb.13125:                            ;   in Loop: Header=BB6_12355 Depth=2
	v_mov_b32_e32 v16, v52
	v_bfe_u32 v1, v52, 23, 1
	v_mov_b32_e32 v17, v53
; %bb.13126:                            ;   in Loop: Header=BB6_12355 Depth=2
	s_or_b64 exec, exec, s[20:21]
	v_lshrrev_b64 v[2:3], 20, v[16:17]
	v_cmp_gt_i32_e32 vcc, 16, v1
	v_cndmask_b32_e32 v3, 0, v3, vcc
	v_cndmask_b32_e32 v2, 7, v2, vcc
	v_cmp_eq_u32_e32 vcc, 0, v1
	v_min_i32_e32 v1, 15, v1
	v_cmp_eq_u64_e64 s[20:21], 0, v[2:3]
	v_lshlrev_b32_e32 v1, 3, v1
	v_and_b32_e32 v1, 0xf8, v1
	v_and_or_b32 v1, v2, 7, v1
	s_and_b64 s[20:21], vcc, s[20:21]
	v_cndmask_b32_e64 v1, v1, 0, s[20:21]
	v_or_b32_e32 v0, v1, v0
	buffer_store_dword v0, off, s[0:3], s33 offset:236 ; 4-byte Folded Spill
.LBB6_13127:                            ;   in Loop: Header=BB6_12355 Depth=2
	s_or_b64 exec, exec, s[88:89]
                                        ; implicit-def: $vgpr0
.LBB6_13128:                            ;   in Loop: Header=BB6_12355 Depth=2
	s_andn2_saveexec_b64 s[20:21], s[78:79]
	s_cbranch_execz .LBB6_13130
; %bb.13129:                            ;   in Loop: Header=BB6_12355 Depth=2
	v_or_b32_e32 v0, 0x7e, v0
	buffer_store_dword v0, off, s[0:3], s33 offset:236 ; 4-byte Folded Spill
.LBB6_13130:                            ;   in Loop: Header=BB6_12355 Depth=2
	s_or_b64 exec, exec, s[20:21]
                                        ; implicit-def: $vgpr1
.LBB6_13131:                            ;   in Loop: Header=BB6_12355 Depth=2
	s_andn2_saveexec_b64 s[20:21], s[76:77]
	s_cbranch_execz .LBB6_13133
; %bb.13132:                            ;   in Loop: Header=BB6_12355 Depth=2
	v_or_b32_sdwa v0, v1, s39 dst_sel:DWORD dst_unused:UNUSED_PAD src0_sel:BYTE_3 src1_sel:DWORD
	buffer_store_dword v0, off, s[0:3], s33 offset:236 ; 4-byte Folded Spill
.LBB6_13133:                            ;   in Loop: Header=BB6_12355 Depth=2
	s_or_b64 exec, exec, s[20:21]
	v_cmp_lt_u32_e32 vcc, s61, v10
	v_mov_b32_e32 v0, 0
	s_and_saveexec_b64 s[20:21], vcc
	s_cbranch_execz .LBB6_13139
; %bb.13134:                            ;   in Loop: Header=BB6_12355 Depth=2
	v_lshrrev_b32_e32 v16, 24, v10
	v_cmp_ne_u32_e32 vcc, s48, v16
	v_bfrev_b32_e32 v0, 1
	s_and_saveexec_b64 s[76:77], vcc
	s_cbranch_execz .LBB6_13138
; %bb.13135:                            ;   in Loop: Header=BB6_12355 Depth=2
	v_bfe_u32 v1, v10, 24, 7
	v_cmp_ne_u32_e32 vcc, s39, v1
	v_mov_b32_e32 v0, 0x7f800001
	s_and_saveexec_b64 s[78:79], vcc
	s_cbranch_execz .LBB6_13137
; %bb.13136:                            ;   in Loop: Header=BB6_12355 Depth=2
	v_and_b32_e32 v2, 7, v16
	v_ffbh_u32_e32 v0, v2
	v_min_u32_e32 v4, 32, v0
	v_subrev_u32_e32 v0, 28, v4
	v_lshrrev_b32_e32 v3, 3, v1
	v_cmp_gt_u32_e32 vcc, 8, v1
	v_lshlrev_b64 v[0:1], v0, v[16:17]
	v_sub_u32_e32 v1, 29, v4
	v_and_b32_e32 v0, 7, v0
	v_cndmask_b32_e32 v1, v3, v1, vcc
	v_cndmask_b32_e32 v0, v2, v0, vcc
	v_lshlrev_b32_e32 v2, 24, v16
	v_bfrev_b32_e32 v3, 60
	v_lshlrev_b32_e32 v0, 20, v0
	v_and_b32_e32 v2, 0x80000000, v2
	v_lshl_add_u32 v1, v1, 23, v3
	v_or3_b32 v0, v2, v1, v0
.LBB6_13137:                            ;   in Loop: Header=BB6_12355 Depth=2
	s_or_b64 exec, exec, s[78:79]
.LBB6_13138:                            ;   in Loop: Header=BB6_12355 Depth=2
	s_or_b64 exec, exec, s[76:77]
.LBB6_13139:                            ;   in Loop: Header=BB6_12355 Depth=2
	s_or_b64 exec, exec, s[20:21]
	v_mul_f32_e32 v1, v19, v0
	v_and_b32_e32 v52, 0x7f800000, v1
	v_cmp_ne_u64_e32 vcc, s[46:47], v[52:53]
                                        ; implicit-def: $vgpr0
                                        ; kill: killed $vgpr0
	s_and_saveexec_b64 s[20:21], vcc
	s_xor_b64 s[76:77], exec, s[20:21]
	s_cbranch_execz .LBB6_13153
; %bb.13140:                            ;   in Loop: Header=BB6_12355 Depth=2
	v_and_b32_e32 v52, 0x7fffffff, v1
	v_cmp_gt_u64_e32 vcc, s[56:57], v[52:53]
	v_and_b32_sdwa v0, v1, s48 dst_sel:DWORD dst_unused:UNUSED_PAD src0_sel:BYTE_3 src1_sel:DWORD
                                        ; implicit-def: $vgpr2
                                        ; kill: killed $vgpr2
	s_and_saveexec_b64 s[20:21], vcc
	s_xor_b64 s[78:79], exec, s[20:21]
	s_cbranch_execz .LBB6_13150
; %bb.13141:                            ;   in Loop: Header=BB6_12355 Depth=2
	v_mov_b32_e32 v2, 0
	v_cmp_ne_u32_e32 vcc, 0, v1
	buffer_store_dword v2, off, s[0:3], s33 offset:240 ; 4-byte Folded Spill
	s_and_saveexec_b64 s[88:89], vcc
	s_cbranch_execz .LBB6_13149
; %bb.13142:                            ;   in Loop: Header=BB6_12355 Depth=2
	v_and_b32_e32 v3, 0x7fffff, v1
	v_bfe_u32 v1, v1, 23, 8
	v_cmp_gt_u32_e64 s[20:21], s49, v1
	v_sub_u32_e32 v2, 0x79, v1
	v_cmp_eq_u32_e32 vcc, 0, v1
	v_cndmask_b32_e64 v2, 0, v2, s[20:21]
	v_mov_b32_e32 v5, 0x78
	v_or_b32_e32 v4, 0x800000, v3
	v_cndmask_b32_e32 v2, v2, v5, vcc
	v_cndmask_b32_e32 v52, v4, v3, vcc
	v_add_u32_e32 v3, 20, v2
	v_lshlrev_b64 v[3:4], v3, -1
	v_add_u32_e32 v5, 19, v2
	v_lshlrev_b64 v[5:6], v5, 1
	v_lshrrev_b64 v[16:17], v2, v[52:53]
	v_bfi_b32 v4, v4, 0, 0
	v_bfi_b32 v3, v3, 0, v52
	v_cmp_eq_u64_e64 s[20:21], v[3:4], v[5:6]
	v_mov_b32_e32 v18, v17
	v_mov_b32_e32 v17, v16
	s_and_saveexec_b64 s[90:91], s[20:21]
; %bb.13143:                            ;   in Loop: Header=BB6_12355 Depth=2
	v_bfe_u32 v3, v16, 20, 1
	v_add_co_u32_e64 v3, s[20:21], v16, v3
	v_add_co_u32_e64 v17, s[20:21], -1, v3
; %bb.13144:                            ;   in Loop: Header=BB6_12355 Depth=2
	s_or_b64 exec, exec, s[90:91]
	v_add_u32_e32 v1, 0xffffff81, v1
	v_mov_b32_e32 v3, 0xffffff82
	v_cndmask_b32_e32 v1, v1, v3, vcc
	v_lshrrev_b32_e32 v3, 23, v16
	v_add3_u32 v3, v2, v1, v3
	v_add_u32_e32 v2, 6, v3
	v_and_b32_e32 v1, 0xfffff, v17
	v_add_u32_e32 v52, v1, v16
	v_cmp_ne_u32_e32 vcc, 0, v2
                                        ; implicit-def: $vgpr16_vgpr17
                                        ; implicit-def: $vgpr1
	s_and_saveexec_b64 s[20:21], vcc
	s_xor_b64 s[20:21], exec, s[20:21]
; %bb.13145:                            ;   in Loop: Header=BB6_12355 Depth=2
	v_cmp_lt_u64_e32 vcc, s[58:59], v[52:53]
	v_add_u32_e32 v1, 7, v3
	v_cndmask_b32_e32 v1, v2, v1, vcc
	v_cndmask_b32_e64 v2, 0, 1, vcc
	v_lshrrev_b64 v[16:17], v2, v[52:53]
; %bb.13146:                            ;   in Loop: Header=BB6_12355 Depth=2
	s_andn2_saveexec_b64 s[20:21], s[20:21]
; %bb.13147:                            ;   in Loop: Header=BB6_12355 Depth=2
	v_mov_b32_e32 v16, v52
	v_bfe_u32 v1, v52, 23, 1
	v_mov_b32_e32 v17, v53
; %bb.13148:                            ;   in Loop: Header=BB6_12355 Depth=2
	s_or_b64 exec, exec, s[20:21]
	v_lshrrev_b64 v[2:3], 20, v[16:17]
	v_cmp_gt_i32_e32 vcc, 16, v1
	v_cndmask_b32_e32 v3, 0, v3, vcc
	v_cndmask_b32_e32 v2, 7, v2, vcc
	v_cmp_eq_u32_e32 vcc, 0, v1
	v_min_i32_e32 v1, 15, v1
	v_cmp_eq_u64_e64 s[20:21], 0, v[2:3]
	v_lshlrev_b32_e32 v1, 3, v1
	v_and_b32_e32 v1, 0xf8, v1
	v_and_or_b32 v1, v2, 7, v1
	s_and_b64 s[20:21], vcc, s[20:21]
	v_cndmask_b32_e64 v1, v1, 0, s[20:21]
	v_or_b32_e32 v0, v1, v0
	buffer_store_dword v0, off, s[0:3], s33 offset:240 ; 4-byte Folded Spill
.LBB6_13149:                            ;   in Loop: Header=BB6_12355 Depth=2
	s_or_b64 exec, exec, s[88:89]
                                        ; implicit-def: $vgpr0
.LBB6_13150:                            ;   in Loop: Header=BB6_12355 Depth=2
	s_andn2_saveexec_b64 s[20:21], s[78:79]
	s_cbranch_execz .LBB6_13152
; %bb.13151:                            ;   in Loop: Header=BB6_12355 Depth=2
	v_or_b32_e32 v0, 0x7e, v0
	buffer_store_dword v0, off, s[0:3], s33 offset:240 ; 4-byte Folded Spill
.LBB6_13152:                            ;   in Loop: Header=BB6_12355 Depth=2
	s_or_b64 exec, exec, s[20:21]
                                        ; implicit-def: $vgpr1
.LBB6_13153:                            ;   in Loop: Header=BB6_12355 Depth=2
	s_andn2_saveexec_b64 s[20:21], s[76:77]
	s_cbranch_execz .LBB6_13155
; %bb.13154:                            ;   in Loop: Header=BB6_12355 Depth=2
	v_or_b32_sdwa v0, v1, s39 dst_sel:DWORD dst_unused:UNUSED_PAD src0_sel:BYTE_3 src1_sel:DWORD
	buffer_store_dword v0, off, s[0:3], s33 offset:240 ; 4-byte Folded Spill
.LBB6_13155:                            ;   in Loop: Header=BB6_12355 Depth=2
	s_or_b64 exec, exec, s[20:21]
	v_mov_b32_e32 v52, v11
	v_cmp_ne_u16_sdwa s[76:77], v11, v53 src0_sel:BYTE_0 src1_sel:DWORD
	v_mov_b32_e32 v0, 0
	s_and_saveexec_b64 s[20:21], s[76:77]
	s_cbranch_execz .LBB6_13161
; %bb.13156:                            ;   in Loop: Header=BB6_12355 Depth=2
	v_cmp_ne_u16_sdwa s[78:79], v11, s48 src0_sel:BYTE_0 src1_sel:DWORD
	v_bfrev_b32_e32 v0, 1
	s_and_saveexec_b64 s[76:77], s[78:79]
	s_cbranch_execz .LBB6_13160
; %bb.13157:                            ;   in Loop: Header=BB6_12355 Depth=2
	v_and_b32_e32 v1, 0x7f, v11
	v_cmp_ne_u32_e32 vcc, s39, v1
	v_mov_b32_e32 v0, 0x7f800001
	s_and_saveexec_b64 s[78:79], vcc
	s_cbranch_execz .LBB6_13159
; %bb.13158:                            ;   in Loop: Header=BB6_12355 Depth=2
	v_and_b32_e32 v0, 7, v11
	v_ffbh_u32_e32 v0, v0
	v_min_u32_e32 v0, 32, v0
	v_lshrrev_b32_e32 v2, 3, v1
	v_cmp_gt_u32_e32 vcc, 8, v1
	v_subrev_u32_e32 v1, 28, v0
	v_sub_u32_e32 v0, 29, v0
	v_cndmask_b32_e32 v2, v2, v0, vcc
	v_cndmask_b32_e32 v0, 0, v1, vcc
	v_lshlrev_b64 v[0:1], v0, v[52:53]
	v_lshlrev_b32_e32 v1, 24, v52
	v_lshlrev_b32_e32 v0, 20, v0
	v_bfrev_b32_e32 v3, 60
	v_and_b32_e32 v0, 0x700000, v0
	v_and_b32_e32 v1, 0x80000000, v1
	v_lshl_add_u32 v2, v2, 23, v3
	v_or3_b32 v0, v1, v2, v0
.LBB6_13159:                            ;   in Loop: Header=BB6_12355 Depth=2
	s_or_b64 exec, exec, s[78:79]
.LBB6_13160:                            ;   in Loop: Header=BB6_12355 Depth=2
	s_or_b64 exec, exec, s[76:77]
.LBB6_13161:                            ;   in Loop: Header=BB6_12355 Depth=2
	s_or_b64 exec, exec, s[20:21]
	v_mul_f32_e32 v1, v19, v0
	v_and_b32_e32 v2, 0x7f800000, v1
	v_mov_b32_e32 v3, v53
	v_cmp_ne_u64_e32 vcc, s[46:47], v[2:3]
                                        ; implicit-def: $vgpr0
                                        ; kill: killed $vgpr0
	s_and_saveexec_b64 s[20:21], vcc
	s_xor_b64 s[76:77], exec, s[20:21]
	s_cbranch_execz .LBB6_13175
; %bb.13162:                            ;   in Loop: Header=BB6_12355 Depth=2
	v_and_b32_e32 v2, 0x7fffffff, v1
	v_mov_b32_e32 v3, v53
	v_cmp_gt_u64_e32 vcc, s[56:57], v[2:3]
	v_and_b32_sdwa v0, v1, s48 dst_sel:DWORD dst_unused:UNUSED_PAD src0_sel:BYTE_3 src1_sel:DWORD
                                        ; implicit-def: $vgpr2
                                        ; kill: killed $vgpr2
	s_and_saveexec_b64 s[20:21], vcc
	s_xor_b64 s[78:79], exec, s[20:21]
	s_cbranch_execz .LBB6_13172
; %bb.13163:                            ;   in Loop: Header=BB6_12355 Depth=2
	v_mov_b32_e32 v2, 0
	v_cmp_ne_u32_e32 vcc, 0, v1
	buffer_store_dword v2, off, s[0:3], s33 offset:244 ; 4-byte Folded Spill
	s_and_saveexec_b64 s[88:89], vcc
	s_cbranch_execz .LBB6_13171
; %bb.13164:                            ;   in Loop: Header=BB6_12355 Depth=2
	v_and_b32_e32 v3, 0x7fffff, v1
	v_bfe_u32 v1, v1, 23, 8
	v_cmp_gt_u32_e64 s[20:21], s49, v1
	v_sub_u32_e32 v2, 0x79, v1
	v_cmp_eq_u32_e32 vcc, 0, v1
	v_cndmask_b32_e64 v2, 0, v2, s[20:21]
	v_mov_b32_e32 v5, 0x78
	v_cndmask_b32_e32 v2, v2, v5, vcc
	v_add_u32_e32 v5, 20, v2
	v_or_b32_e32 v4, 0x800000, v3
	v_lshlrev_b64 v[5:6], v5, -1
	v_add_u32_e32 v7, 19, v2
	v_cndmask_b32_e32 v3, v4, v3, vcc
	v_lshlrev_b64 v[16:17], v7, 1
	v_mov_b32_e32 v4, v53
	v_bfi_b32 v6, v6, 0, 0
	v_bfi_b32 v5, v5, 0, v3
	v_cmp_eq_u64_e64 s[20:21], v[5:6], v[16:17]
	v_lshrrev_b64 v[16:17], v2, v[3:4]
	v_mov_b32_e32 v18, v17
	v_mov_b32_e32 v17, v16
	s_and_saveexec_b64 s[90:91], s[20:21]
; %bb.13165:                            ;   in Loop: Header=BB6_12355 Depth=2
	v_bfe_u32 v3, v16, 20, 1
	v_add_co_u32_e64 v3, s[20:21], v16, v3
	v_add_co_u32_e64 v17, s[20:21], -1, v3
; %bb.13166:                            ;   in Loop: Header=BB6_12355 Depth=2
	s_or_b64 exec, exec, s[90:91]
	v_add_u32_e32 v1, 0xffffff81, v1
	v_mov_b32_e32 v3, 0xffffff82
	v_cndmask_b32_e32 v1, v1, v3, vcc
	v_lshrrev_b32_e32 v3, 23, v16
	v_add3_u32 v3, v2, v1, v3
	v_add_u32_e32 v2, 6, v3
	v_and_b32_e32 v1, 0xfffff, v17
	v_add_u32_e32 v16, v1, v16
	v_mov_b32_e32 v17, v53
	v_cmp_ne_u32_e32 vcc, 0, v2
                                        ; implicit-def: $vgpr1
	s_and_saveexec_b64 s[20:21], vcc
	s_xor_b64 s[20:21], exec, s[20:21]
; %bb.13167:                            ;   in Loop: Header=BB6_12355 Depth=2
	v_cmp_lt_u64_e32 vcc, s[58:59], v[16:17]
	v_add_u32_e32 v1, 7, v3
	v_cndmask_b32_e32 v1, v2, v1, vcc
	v_cndmask_b32_e64 v2, 0, 1, vcc
	v_lshrrev_b64 v[16:17], v2, v[16:17]
; %bb.13168:                            ;   in Loop: Header=BB6_12355 Depth=2
	s_andn2_saveexec_b64 s[20:21], s[20:21]
; %bb.13169:                            ;   in Loop: Header=BB6_12355 Depth=2
	v_bfe_u32 v1, v16, 23, 1
; %bb.13170:                            ;   in Loop: Header=BB6_12355 Depth=2
	s_or_b64 exec, exec, s[20:21]
	v_lshrrev_b64 v[2:3], 20, v[16:17]
	v_cmp_gt_i32_e32 vcc, 16, v1
	v_cndmask_b32_e32 v3, 0, v3, vcc
	v_cndmask_b32_e32 v2, 7, v2, vcc
	v_cmp_eq_u32_e32 vcc, 0, v1
	v_min_i32_e32 v1, 15, v1
	v_cmp_eq_u64_e64 s[20:21], 0, v[2:3]
	v_lshlrev_b32_e32 v1, 3, v1
	v_and_b32_e32 v1, 0xf8, v1
	v_and_or_b32 v1, v2, 7, v1
	s_and_b64 s[20:21], vcc, s[20:21]
	v_cndmask_b32_e64 v1, v1, 0, s[20:21]
	v_or_b32_e32 v0, v1, v0
	buffer_store_dword v0, off, s[0:3], s33 offset:244 ; 4-byte Folded Spill
.LBB6_13171:                            ;   in Loop: Header=BB6_12355 Depth=2
	s_or_b64 exec, exec, s[88:89]
                                        ; implicit-def: $vgpr0
.LBB6_13172:                            ;   in Loop: Header=BB6_12355 Depth=2
	s_andn2_saveexec_b64 s[20:21], s[78:79]
	s_cbranch_execz .LBB6_13174
; %bb.13173:                            ;   in Loop: Header=BB6_12355 Depth=2
	v_or_b32_e32 v0, 0x7e, v0
	buffer_store_dword v0, off, s[0:3], s33 offset:244 ; 4-byte Folded Spill
.LBB6_13174:                            ;   in Loop: Header=BB6_12355 Depth=2
	s_or_b64 exec, exec, s[20:21]
                                        ; implicit-def: $vgpr1
.LBB6_13175:                            ;   in Loop: Header=BB6_12355 Depth=2
	s_andn2_saveexec_b64 s[20:21], s[76:77]
	s_cbranch_execz .LBB6_13177
; %bb.13176:                            ;   in Loop: Header=BB6_12355 Depth=2
	v_or_b32_sdwa v0, v1, s39 dst_sel:DWORD dst_unused:UNUSED_PAD src0_sel:BYTE_3 src1_sel:DWORD
	buffer_store_dword v0, off, s[0:3], s33 offset:244 ; 4-byte Folded Spill
.LBB6_13177:                            ;   in Loop: Header=BB6_12355 Depth=2
	s_or_b64 exec, exec, s[20:21]
	v_lshrrev_b16_e32 v16, 8, v52
	v_cmp_ne_u16_e32 vcc, 0, v16
	v_mov_b32_e32 v0, 0
	s_and_saveexec_b64 s[20:21], vcc
	s_cbranch_execz .LBB6_13183
; %bb.13178:                            ;   in Loop: Header=BB6_12355 Depth=2
	v_cmp_ne_u16_e32 vcc, s48, v16
	v_bfrev_b32_e32 v0, 1
	s_and_saveexec_b64 s[76:77], vcc
	s_cbranch_execz .LBB6_13182
; %bb.13179:                            ;   in Loop: Header=BB6_12355 Depth=2
	v_and_b32_e32 v1, 0x7f, v16
	v_cmp_ne_u32_e32 vcc, s39, v1
	v_mov_b32_e32 v0, 0x7f800001
	s_and_saveexec_b64 s[78:79], vcc
	s_cbranch_execz .LBB6_13181
; %bb.13180:                            ;   in Loop: Header=BB6_12355 Depth=2
	v_and_b32_e32 v2, 7, v16
	v_ffbh_u32_e32 v0, v2
	v_min_u32_e32 v4, 32, v0
	v_subrev_u32_e32 v0, 28, v4
	v_lshrrev_b32_e32 v3, 3, v1
	v_cmp_gt_u32_e32 vcc, 8, v1
	v_lshlrev_b64 v[0:1], v0, v[16:17]
	v_sub_u32_e32 v1, 29, v4
	v_and_b32_e32 v0, 7, v0
	v_cndmask_b32_e32 v1, v3, v1, vcc
	v_cndmask_b32_e32 v0, v2, v0, vcc
	v_lshlrev_b32_e32 v2, 16, v52
	v_bfrev_b32_e32 v3, 60
	v_lshlrev_b32_e32 v0, 20, v0
	v_and_b32_e32 v2, 0x80000000, v2
	v_lshl_add_u32 v1, v1, 23, v3
	v_or3_b32 v0, v2, v1, v0
.LBB6_13181:                            ;   in Loop: Header=BB6_12355 Depth=2
	s_or_b64 exec, exec, s[78:79]
.LBB6_13182:                            ;   in Loop: Header=BB6_12355 Depth=2
	s_or_b64 exec, exec, s[76:77]
.LBB6_13183:                            ;   in Loop: Header=BB6_12355 Depth=2
	s_or_b64 exec, exec, s[20:21]
	v_mul_f32_e32 v1, v19, v0
	v_and_b32_e32 v52, 0x7f800000, v1
	v_cmp_ne_u64_e32 vcc, s[46:47], v[52:53]
                                        ; implicit-def: $vgpr0
                                        ; kill: killed $vgpr0
	s_and_saveexec_b64 s[20:21], vcc
	s_xor_b64 s[76:77], exec, s[20:21]
	s_cbranch_execz .LBB6_13197
; %bb.13184:                            ;   in Loop: Header=BB6_12355 Depth=2
	v_and_b32_e32 v52, 0x7fffffff, v1
	v_cmp_gt_u64_e32 vcc, s[56:57], v[52:53]
	v_and_b32_sdwa v0, v1, s48 dst_sel:DWORD dst_unused:UNUSED_PAD src0_sel:BYTE_3 src1_sel:DWORD
                                        ; implicit-def: $vgpr2
                                        ; kill: killed $vgpr2
	s_and_saveexec_b64 s[20:21], vcc
	s_xor_b64 s[78:79], exec, s[20:21]
	s_cbranch_execz .LBB6_13194
; %bb.13185:                            ;   in Loop: Header=BB6_12355 Depth=2
	v_mov_b32_e32 v2, 0
	v_cmp_ne_u32_e32 vcc, 0, v1
	buffer_store_dword v2, off, s[0:3], s33 offset:248 ; 4-byte Folded Spill
	s_and_saveexec_b64 s[88:89], vcc
	s_cbranch_execz .LBB6_13193
; %bb.13186:                            ;   in Loop: Header=BB6_12355 Depth=2
	v_and_b32_e32 v3, 0x7fffff, v1
	v_bfe_u32 v1, v1, 23, 8
	v_cmp_gt_u32_e64 s[20:21], s49, v1
	v_sub_u32_e32 v2, 0x79, v1
	v_cmp_eq_u32_e32 vcc, 0, v1
	v_cndmask_b32_e64 v2, 0, v2, s[20:21]
	v_mov_b32_e32 v5, 0x78
	v_or_b32_e32 v4, 0x800000, v3
	v_cndmask_b32_e32 v2, v2, v5, vcc
	v_cndmask_b32_e32 v52, v4, v3, vcc
	v_add_u32_e32 v3, 20, v2
	v_lshlrev_b64 v[3:4], v3, -1
	v_add_u32_e32 v5, 19, v2
	v_lshlrev_b64 v[5:6], v5, 1
	v_lshrrev_b64 v[16:17], v2, v[52:53]
	v_bfi_b32 v4, v4, 0, 0
	v_bfi_b32 v3, v3, 0, v52
	v_cmp_eq_u64_e64 s[20:21], v[3:4], v[5:6]
	v_mov_b32_e32 v18, v17
	v_mov_b32_e32 v17, v16
	s_and_saveexec_b64 s[90:91], s[20:21]
; %bb.13187:                            ;   in Loop: Header=BB6_12355 Depth=2
	v_bfe_u32 v3, v16, 20, 1
	v_add_co_u32_e64 v3, s[20:21], v16, v3
	v_add_co_u32_e64 v17, s[20:21], -1, v3
; %bb.13188:                            ;   in Loop: Header=BB6_12355 Depth=2
	s_or_b64 exec, exec, s[90:91]
	v_add_u32_e32 v1, 0xffffff81, v1
	v_mov_b32_e32 v3, 0xffffff82
	v_cndmask_b32_e32 v1, v1, v3, vcc
	v_lshrrev_b32_e32 v3, 23, v16
	v_add3_u32 v3, v2, v1, v3
	v_add_u32_e32 v2, 6, v3
	v_and_b32_e32 v1, 0xfffff, v17
	v_add_u32_e32 v52, v1, v16
	v_cmp_ne_u32_e32 vcc, 0, v2
                                        ; implicit-def: $vgpr16_vgpr17
                                        ; implicit-def: $vgpr1
	s_and_saveexec_b64 s[20:21], vcc
	s_xor_b64 s[20:21], exec, s[20:21]
; %bb.13189:                            ;   in Loop: Header=BB6_12355 Depth=2
	v_cmp_lt_u64_e32 vcc, s[58:59], v[52:53]
	v_add_u32_e32 v1, 7, v3
	v_cndmask_b32_e32 v1, v2, v1, vcc
	v_cndmask_b32_e64 v2, 0, 1, vcc
	v_lshrrev_b64 v[16:17], v2, v[52:53]
; %bb.13190:                            ;   in Loop: Header=BB6_12355 Depth=2
	s_andn2_saveexec_b64 s[20:21], s[20:21]
; %bb.13191:                            ;   in Loop: Header=BB6_12355 Depth=2
	v_mov_b32_e32 v16, v52
	v_bfe_u32 v1, v52, 23, 1
	v_mov_b32_e32 v17, v53
; %bb.13192:                            ;   in Loop: Header=BB6_12355 Depth=2
	s_or_b64 exec, exec, s[20:21]
	v_lshrrev_b64 v[2:3], 20, v[16:17]
	v_cmp_gt_i32_e32 vcc, 16, v1
	v_cndmask_b32_e32 v3, 0, v3, vcc
	v_cndmask_b32_e32 v2, 7, v2, vcc
	v_cmp_eq_u32_e32 vcc, 0, v1
	v_min_i32_e32 v1, 15, v1
	v_cmp_eq_u64_e64 s[20:21], 0, v[2:3]
	v_lshlrev_b32_e32 v1, 3, v1
	v_and_b32_e32 v1, 0xf8, v1
	v_and_or_b32 v1, v2, 7, v1
	s_and_b64 s[20:21], vcc, s[20:21]
	v_cndmask_b32_e64 v1, v1, 0, s[20:21]
	v_or_b32_e32 v0, v1, v0
	buffer_store_dword v0, off, s[0:3], s33 offset:248 ; 4-byte Folded Spill
.LBB6_13193:                            ;   in Loop: Header=BB6_12355 Depth=2
	s_or_b64 exec, exec, s[88:89]
                                        ; implicit-def: $vgpr0
.LBB6_13194:                            ;   in Loop: Header=BB6_12355 Depth=2
	s_andn2_saveexec_b64 s[20:21], s[78:79]
	s_cbranch_execz .LBB6_13196
; %bb.13195:                            ;   in Loop: Header=BB6_12355 Depth=2
	v_or_b32_e32 v0, 0x7e, v0
	buffer_store_dword v0, off, s[0:3], s33 offset:248 ; 4-byte Folded Spill
.LBB6_13196:                            ;   in Loop: Header=BB6_12355 Depth=2
	s_or_b64 exec, exec, s[20:21]
                                        ; implicit-def: $vgpr1
.LBB6_13197:                            ;   in Loop: Header=BB6_12355 Depth=2
	s_andn2_saveexec_b64 s[20:21], s[76:77]
	s_cbranch_execz .LBB6_13199
; %bb.13198:                            ;   in Loop: Header=BB6_12355 Depth=2
	v_or_b32_sdwa v0, v1, s39 dst_sel:DWORD dst_unused:UNUSED_PAD src0_sel:BYTE_3 src1_sel:DWORD
	buffer_store_dword v0, off, s[0:3], s33 offset:248 ; 4-byte Folded Spill
.LBB6_13199:                            ;   in Loop: Header=BB6_12355 Depth=2
	s_or_b64 exec, exec, s[20:21]
	v_lshrrev_b32_e32 v16, 16, v11
	v_cmp_ne_u16_sdwa s[76:77], v16, v53 src0_sel:BYTE_0 src1_sel:DWORD
	v_mov_b32_e32 v0, 0
	s_and_saveexec_b64 s[20:21], s[76:77]
	s_cbranch_execz .LBB6_13205
; %bb.13200:                            ;   in Loop: Header=BB6_12355 Depth=2
	v_cmp_ne_u16_sdwa s[78:79], v16, s48 src0_sel:BYTE_0 src1_sel:DWORD
	v_bfrev_b32_e32 v0, 1
	s_and_saveexec_b64 s[76:77], s[78:79]
	s_cbranch_execz .LBB6_13204
; %bb.13201:                            ;   in Loop: Header=BB6_12355 Depth=2
	v_bfe_u32 v1, v11, 16, 7
	v_cmp_ne_u32_e32 vcc, s39, v1
	v_mov_b32_e32 v0, 0x7f800001
	s_and_saveexec_b64 s[78:79], vcc
	s_cbranch_execz .LBB6_13203
; %bb.13202:                            ;   in Loop: Header=BB6_12355 Depth=2
	v_and_b32_e32 v2, 7, v16
	v_ffbh_u32_e32 v0, v2
	v_min_u32_e32 v4, 32, v0
	v_subrev_u32_e32 v0, 28, v4
	v_lshrrev_b32_e32 v3, 3, v1
	v_cmp_gt_u32_e32 vcc, 8, v1
	v_lshlrev_b64 v[0:1], v0, v[16:17]
	v_sub_u32_e32 v1, 29, v4
	v_and_b32_e32 v0, 7, v0
	v_cndmask_b32_e32 v1, v3, v1, vcc
	v_cndmask_b32_e32 v0, v2, v0, vcc
	v_lshlrev_b32_e32 v2, 24, v16
	v_bfrev_b32_e32 v3, 60
	v_lshlrev_b32_e32 v0, 20, v0
	v_and_b32_e32 v2, 0x80000000, v2
	v_lshl_add_u32 v1, v1, 23, v3
	v_or3_b32 v0, v2, v1, v0
.LBB6_13203:                            ;   in Loop: Header=BB6_12355 Depth=2
	s_or_b64 exec, exec, s[78:79]
.LBB6_13204:                            ;   in Loop: Header=BB6_12355 Depth=2
	s_or_b64 exec, exec, s[76:77]
.LBB6_13205:                            ;   in Loop: Header=BB6_12355 Depth=2
	s_or_b64 exec, exec, s[20:21]
	v_mul_f32_e32 v1, v19, v0
	v_and_b32_e32 v52, 0x7f800000, v1
	v_cmp_ne_u64_e32 vcc, s[46:47], v[52:53]
                                        ; implicit-def: $vgpr0
                                        ; kill: killed $vgpr0
	s_and_saveexec_b64 s[20:21], vcc
	s_xor_b64 s[76:77], exec, s[20:21]
	s_cbranch_execz .LBB6_13219
; %bb.13206:                            ;   in Loop: Header=BB6_12355 Depth=2
	v_and_b32_e32 v52, 0x7fffffff, v1
	v_cmp_gt_u64_e32 vcc, s[56:57], v[52:53]
	v_and_b32_sdwa v0, v1, s48 dst_sel:DWORD dst_unused:UNUSED_PAD src0_sel:BYTE_3 src1_sel:DWORD
                                        ; implicit-def: $vgpr2
                                        ; kill: killed $vgpr2
	s_and_saveexec_b64 s[20:21], vcc
	s_xor_b64 s[78:79], exec, s[20:21]
	s_cbranch_execz .LBB6_13216
; %bb.13207:                            ;   in Loop: Header=BB6_12355 Depth=2
	v_mov_b32_e32 v2, 0
	v_cmp_ne_u32_e32 vcc, 0, v1
	buffer_store_dword v2, off, s[0:3], s33 offset:252 ; 4-byte Folded Spill
	s_and_saveexec_b64 s[88:89], vcc
	s_cbranch_execz .LBB6_13215
; %bb.13208:                            ;   in Loop: Header=BB6_12355 Depth=2
	v_and_b32_e32 v3, 0x7fffff, v1
	v_bfe_u32 v1, v1, 23, 8
	v_cmp_gt_u32_e64 s[20:21], s49, v1
	v_sub_u32_e32 v2, 0x79, v1
	v_cmp_eq_u32_e32 vcc, 0, v1
	v_cndmask_b32_e64 v2, 0, v2, s[20:21]
	v_mov_b32_e32 v5, 0x78
	v_or_b32_e32 v4, 0x800000, v3
	v_cndmask_b32_e32 v2, v2, v5, vcc
	v_cndmask_b32_e32 v52, v4, v3, vcc
	v_add_u32_e32 v3, 20, v2
	v_lshlrev_b64 v[3:4], v3, -1
	v_add_u32_e32 v5, 19, v2
	v_lshlrev_b64 v[5:6], v5, 1
	v_lshrrev_b64 v[16:17], v2, v[52:53]
	v_bfi_b32 v4, v4, 0, 0
	v_bfi_b32 v3, v3, 0, v52
	v_cmp_eq_u64_e64 s[20:21], v[3:4], v[5:6]
	v_mov_b32_e32 v18, v17
	v_mov_b32_e32 v17, v16
	s_and_saveexec_b64 s[90:91], s[20:21]
; %bb.13209:                            ;   in Loop: Header=BB6_12355 Depth=2
	v_bfe_u32 v3, v16, 20, 1
	v_add_co_u32_e64 v3, s[20:21], v16, v3
	v_add_co_u32_e64 v17, s[20:21], -1, v3
; %bb.13210:                            ;   in Loop: Header=BB6_12355 Depth=2
	s_or_b64 exec, exec, s[90:91]
	v_add_u32_e32 v1, 0xffffff81, v1
	v_mov_b32_e32 v3, 0xffffff82
	v_cndmask_b32_e32 v1, v1, v3, vcc
	v_lshrrev_b32_e32 v3, 23, v16
	v_add3_u32 v3, v2, v1, v3
	v_add_u32_e32 v2, 6, v3
	v_and_b32_e32 v1, 0xfffff, v17
	v_add_u32_e32 v52, v1, v16
	v_cmp_ne_u32_e32 vcc, 0, v2
                                        ; implicit-def: $vgpr16_vgpr17
                                        ; implicit-def: $vgpr1
	s_and_saveexec_b64 s[20:21], vcc
	s_xor_b64 s[20:21], exec, s[20:21]
; %bb.13211:                            ;   in Loop: Header=BB6_12355 Depth=2
	v_cmp_lt_u64_e32 vcc, s[58:59], v[52:53]
	v_add_u32_e32 v1, 7, v3
	v_cndmask_b32_e32 v1, v2, v1, vcc
	v_cndmask_b32_e64 v2, 0, 1, vcc
	v_lshrrev_b64 v[16:17], v2, v[52:53]
; %bb.13212:                            ;   in Loop: Header=BB6_12355 Depth=2
	s_andn2_saveexec_b64 s[20:21], s[20:21]
; %bb.13213:                            ;   in Loop: Header=BB6_12355 Depth=2
	v_mov_b32_e32 v16, v52
	v_bfe_u32 v1, v52, 23, 1
	v_mov_b32_e32 v17, v53
; %bb.13214:                            ;   in Loop: Header=BB6_12355 Depth=2
	s_or_b64 exec, exec, s[20:21]
	v_lshrrev_b64 v[2:3], 20, v[16:17]
	v_cmp_gt_i32_e32 vcc, 16, v1
	v_cndmask_b32_e32 v3, 0, v3, vcc
	v_cndmask_b32_e32 v2, 7, v2, vcc
	v_cmp_eq_u32_e32 vcc, 0, v1
	v_min_i32_e32 v1, 15, v1
	v_cmp_eq_u64_e64 s[20:21], 0, v[2:3]
	v_lshlrev_b32_e32 v1, 3, v1
	v_and_b32_e32 v1, 0xf8, v1
	v_and_or_b32 v1, v2, 7, v1
	s_and_b64 s[20:21], vcc, s[20:21]
	v_cndmask_b32_e64 v1, v1, 0, s[20:21]
	v_or_b32_e32 v0, v1, v0
	buffer_store_dword v0, off, s[0:3], s33 offset:252 ; 4-byte Folded Spill
.LBB6_13215:                            ;   in Loop: Header=BB6_12355 Depth=2
	s_or_b64 exec, exec, s[88:89]
                                        ; implicit-def: $vgpr0
.LBB6_13216:                            ;   in Loop: Header=BB6_12355 Depth=2
	s_andn2_saveexec_b64 s[20:21], s[78:79]
	s_cbranch_execz .LBB6_13218
; %bb.13217:                            ;   in Loop: Header=BB6_12355 Depth=2
	v_or_b32_e32 v0, 0x7e, v0
	buffer_store_dword v0, off, s[0:3], s33 offset:252 ; 4-byte Folded Spill
.LBB6_13218:                            ;   in Loop: Header=BB6_12355 Depth=2
	s_or_b64 exec, exec, s[20:21]
                                        ; implicit-def: $vgpr1
.LBB6_13219:                            ;   in Loop: Header=BB6_12355 Depth=2
	s_andn2_saveexec_b64 s[20:21], s[76:77]
	s_cbranch_execz .LBB6_13221
; %bb.13220:                            ;   in Loop: Header=BB6_12355 Depth=2
	v_or_b32_sdwa v0, v1, s39 dst_sel:DWORD dst_unused:UNUSED_PAD src0_sel:BYTE_3 src1_sel:DWORD
	buffer_store_dword v0, off, s[0:3], s33 offset:252 ; 4-byte Folded Spill
.LBB6_13221:                            ;   in Loop: Header=BB6_12355 Depth=2
	s_or_b64 exec, exec, s[20:21]
	v_cmp_lt_u64_e32 vcc, s[60:61], v[10:11]
	v_mov_b32_e32 v0, 0
	s_and_saveexec_b64 s[20:21], vcc
	s_cbranch_execz .LBB6_13227
; %bb.13222:                            ;   in Loop: Header=BB6_12355 Depth=2
	v_lshrrev_b32_e32 v10, 24, v11
	v_cmp_ne_u32_e32 vcc, s48, v10
	v_bfrev_b32_e32 v0, 1
	s_and_saveexec_b64 s[76:77], vcc
	s_cbranch_execz .LBB6_13226
; %bb.13223:                            ;   in Loop: Header=BB6_12355 Depth=2
	v_bfe_u32 v1, v11, 24, 7
	v_cmp_ne_u32_e32 vcc, s39, v1
	v_mov_b32_e32 v0, 0x7f800001
	s_and_saveexec_b64 s[78:79], vcc
	s_cbranch_execz .LBB6_13225
; %bb.13224:                            ;   in Loop: Header=BB6_12355 Depth=2
	v_and_b32_e32 v2, 7, v10
	v_ffbh_u32_e32 v0, v2
	v_min_u32_e32 v4, 32, v0
	v_subrev_u32_e32 v0, 28, v4
	v_lshrrev_b32_e32 v3, 3, v1
	v_cmp_gt_u32_e32 vcc, 8, v1
	v_lshlrev_b64 v[0:1], v0, v[10:11]
	v_sub_u32_e32 v1, 29, v4
	v_and_b32_e32 v0, 7, v0
	v_cndmask_b32_e32 v1, v3, v1, vcc
	v_cndmask_b32_e32 v0, v2, v0, vcc
	v_lshlrev_b32_e32 v2, 24, v10
	v_bfrev_b32_e32 v3, 60
	v_lshlrev_b32_e32 v0, 20, v0
	v_and_b32_e32 v2, 0x80000000, v2
	v_lshl_add_u32 v1, v1, 23, v3
	v_or3_b32 v0, v2, v1, v0
.LBB6_13225:                            ;   in Loop: Header=BB6_12355 Depth=2
	s_or_b64 exec, exec, s[78:79]
.LBB6_13226:                            ;   in Loop: Header=BB6_12355 Depth=2
	s_or_b64 exec, exec, s[76:77]
.LBB6_13227:                            ;   in Loop: Header=BB6_12355 Depth=2
	s_or_b64 exec, exec, s[20:21]
	v_mul_f32_e32 v1, v19, v0
	v_and_b32_e32 v52, 0x7f800000, v1
	v_cmp_ne_u64_e32 vcc, s[46:47], v[52:53]
                                        ; implicit-def: $vgpr0
                                        ; kill: killed $vgpr0
	s_and_saveexec_b64 s[20:21], vcc
	s_xor_b64 s[76:77], exec, s[20:21]
	s_cbranch_execz .LBB6_13241
; %bb.13228:                            ;   in Loop: Header=BB6_12355 Depth=2
	v_and_b32_e32 v52, 0x7fffffff, v1
	v_cmp_gt_u64_e32 vcc, s[56:57], v[52:53]
	v_and_b32_sdwa v0, v1, s48 dst_sel:DWORD dst_unused:UNUSED_PAD src0_sel:BYTE_3 src1_sel:DWORD
                                        ; implicit-def: $vgpr2
                                        ; kill: killed $vgpr2
	s_and_saveexec_b64 s[20:21], vcc
	s_xor_b64 s[78:79], exec, s[20:21]
	s_cbranch_execz .LBB6_13238
; %bb.13229:                            ;   in Loop: Header=BB6_12355 Depth=2
	v_mov_b32_e32 v2, 0
	v_cmp_ne_u32_e32 vcc, 0, v1
	buffer_store_dword v2, off, s[0:3], s33 offset:256 ; 4-byte Folded Spill
	s_and_saveexec_b64 s[88:89], vcc
	s_cbranch_execz .LBB6_13237
; %bb.13230:                            ;   in Loop: Header=BB6_12355 Depth=2
	v_and_b32_e32 v3, 0x7fffff, v1
	v_bfe_u32 v1, v1, 23, 8
	v_cmp_gt_u32_e64 s[20:21], s49, v1
	v_sub_u32_e32 v2, 0x79, v1
	v_cmp_eq_u32_e32 vcc, 0, v1
	v_cndmask_b32_e64 v2, 0, v2, s[20:21]
	v_mov_b32_e32 v5, 0x78
	v_or_b32_e32 v4, 0x800000, v3
	v_cndmask_b32_e32 v2, v2, v5, vcc
	v_cndmask_b32_e32 v52, v4, v3, vcc
	v_add_u32_e32 v3, 20, v2
	v_lshlrev_b64 v[3:4], v3, -1
	v_add_u32_e32 v5, 19, v2
	v_lshlrev_b64 v[5:6], v5, 1
	v_lshrrev_b64 v[10:11], v2, v[52:53]
	v_bfi_b32 v4, v4, 0, 0
	v_bfi_b32 v3, v3, 0, v52
	v_cmp_eq_u64_e64 s[20:21], v[3:4], v[5:6]
	v_mov_b32_e32 v17, v11
	v_mov_b32_e32 v16, v10
	s_and_saveexec_b64 s[90:91], s[20:21]
; %bb.13231:                            ;   in Loop: Header=BB6_12355 Depth=2
	v_bfe_u32 v3, v10, 20, 1
	v_add_co_u32_e64 v3, s[20:21], v10, v3
	v_add_co_u32_e64 v16, s[20:21], -1, v3
; %bb.13232:                            ;   in Loop: Header=BB6_12355 Depth=2
	s_or_b64 exec, exec, s[90:91]
	v_add_u32_e32 v1, 0xffffff81, v1
	v_mov_b32_e32 v3, 0xffffff82
	v_cndmask_b32_e32 v1, v1, v3, vcc
	v_lshrrev_b32_e32 v3, 23, v10
	v_add3_u32 v3, v2, v1, v3
	v_add_u32_e32 v2, 6, v3
	v_and_b32_e32 v1, 0xfffff, v16
	v_add_u32_e32 v52, v1, v10
	v_cmp_ne_u32_e32 vcc, 0, v2
                                        ; implicit-def: $vgpr10_vgpr11
                                        ; implicit-def: $vgpr1
	s_and_saveexec_b64 s[20:21], vcc
	s_xor_b64 s[20:21], exec, s[20:21]
; %bb.13233:                            ;   in Loop: Header=BB6_12355 Depth=2
	v_cmp_lt_u64_e32 vcc, s[58:59], v[52:53]
	v_add_u32_e32 v1, 7, v3
	v_cndmask_b32_e32 v1, v2, v1, vcc
	v_cndmask_b32_e64 v2, 0, 1, vcc
	v_lshrrev_b64 v[10:11], v2, v[52:53]
; %bb.13234:                            ;   in Loop: Header=BB6_12355 Depth=2
	s_andn2_saveexec_b64 s[20:21], s[20:21]
; %bb.13235:                            ;   in Loop: Header=BB6_12355 Depth=2
	v_mov_b32_e32 v10, v52
	v_bfe_u32 v1, v52, 23, 1
	v_mov_b32_e32 v11, v53
; %bb.13236:                            ;   in Loop: Header=BB6_12355 Depth=2
	s_or_b64 exec, exec, s[20:21]
	v_lshrrev_b64 v[2:3], 20, v[10:11]
	v_cmp_gt_i32_e32 vcc, 16, v1
	v_cndmask_b32_e32 v3, 0, v3, vcc
	v_cndmask_b32_e32 v2, 7, v2, vcc
	v_cmp_eq_u32_e32 vcc, 0, v1
	v_min_i32_e32 v1, 15, v1
	v_cmp_eq_u64_e64 s[20:21], 0, v[2:3]
	v_lshlrev_b32_e32 v1, 3, v1
	v_and_b32_e32 v1, 0xf8, v1
	v_and_or_b32 v1, v2, 7, v1
	s_and_b64 s[20:21], vcc, s[20:21]
	v_cndmask_b32_e64 v1, v1, 0, s[20:21]
	v_or_b32_e32 v0, v1, v0
	buffer_store_dword v0, off, s[0:3], s33 offset:256 ; 4-byte Folded Spill
.LBB6_13237:                            ;   in Loop: Header=BB6_12355 Depth=2
	s_or_b64 exec, exec, s[88:89]
                                        ; implicit-def: $vgpr0
.LBB6_13238:                            ;   in Loop: Header=BB6_12355 Depth=2
	s_andn2_saveexec_b64 s[20:21], s[78:79]
	s_cbranch_execz .LBB6_13240
; %bb.13239:                            ;   in Loop: Header=BB6_12355 Depth=2
	v_or_b32_e32 v0, 0x7e, v0
	buffer_store_dword v0, off, s[0:3], s33 offset:256 ; 4-byte Folded Spill
.LBB6_13240:                            ;   in Loop: Header=BB6_12355 Depth=2
	s_or_b64 exec, exec, s[20:21]
                                        ; implicit-def: $vgpr1
.LBB6_13241:                            ;   in Loop: Header=BB6_12355 Depth=2
	s_andn2_saveexec_b64 s[20:21], s[76:77]
	s_cbranch_execz .LBB6_13243
; %bb.13242:                            ;   in Loop: Header=BB6_12355 Depth=2
	v_or_b32_sdwa v0, v1, s39 dst_sel:DWORD dst_unused:UNUSED_PAD src0_sel:BYTE_3 src1_sel:DWORD
	buffer_store_dword v0, off, s[0:3], s33 offset:256 ; 4-byte Folded Spill
.LBB6_13243:                            ;   in Loop: Header=BB6_12355 Depth=2
	s_or_b64 exec, exec, s[20:21]
	v_cmp_ne_u16_sdwa s[76:77], v12, v53 src0_sel:BYTE_0 src1_sel:DWORD
	v_mov_b32_e32 v0, 0
	s_and_saveexec_b64 s[20:21], s[76:77]
	s_cbranch_execz .LBB6_13249
; %bb.13244:                            ;   in Loop: Header=BB6_12355 Depth=2
	v_cmp_ne_u16_sdwa s[78:79], v12, s48 src0_sel:BYTE_0 src1_sel:DWORD
	v_bfrev_b32_e32 v0, 1
	s_and_saveexec_b64 s[76:77], s[78:79]
	s_cbranch_execz .LBB6_13248
; %bb.13245:                            ;   in Loop: Header=BB6_12355 Depth=2
	v_and_b32_e32 v1, 0x7f, v12
	v_cmp_ne_u32_e32 vcc, s39, v1
	v_mov_b32_e32 v0, 0x7f800001
	s_and_saveexec_b64 s[78:79], vcc
	s_cbranch_execz .LBB6_13247
; %bb.13246:                            ;   in Loop: Header=BB6_12355 Depth=2
	v_and_b32_e32 v0, 7, v12
	v_ffbh_u32_e32 v0, v0
	v_min_u32_e32 v0, 32, v0
	v_lshrrev_b32_e32 v2, 3, v1
	v_cmp_gt_u32_e32 vcc, 8, v1
	v_subrev_u32_e32 v1, 28, v0
	v_sub_u32_e32 v0, 29, v0
	v_cndmask_b32_e32 v2, v2, v0, vcc
	v_cndmask_b32_e32 v0, 0, v1, vcc
	v_lshlrev_b64 v[0:1], v0, v[12:13]
	v_lshlrev_b32_e32 v1, 24, v12
	v_lshlrev_b32_e32 v0, 20, v0
	v_bfrev_b32_e32 v3, 60
	v_and_b32_e32 v0, 0x700000, v0
	v_and_b32_e32 v1, 0x80000000, v1
	v_lshl_add_u32 v2, v2, 23, v3
	v_or3_b32 v0, v1, v2, v0
.LBB6_13247:                            ;   in Loop: Header=BB6_12355 Depth=2
	s_or_b64 exec, exec, s[78:79]
.LBB6_13248:                            ;   in Loop: Header=BB6_12355 Depth=2
	s_or_b64 exec, exec, s[76:77]
.LBB6_13249:                            ;   in Loop: Header=BB6_12355 Depth=2
	s_or_b64 exec, exec, s[20:21]
	v_mul_f32_e32 v1, v19, v0
	v_and_b32_e32 v52, 0x7f800000, v1
	v_cmp_ne_u64_e32 vcc, s[46:47], v[52:53]
                                        ; implicit-def: $vgpr0
                                        ; kill: killed $vgpr0
	s_and_saveexec_b64 s[20:21], vcc
	s_xor_b64 s[76:77], exec, s[20:21]
	s_cbranch_execz .LBB6_13263
; %bb.13250:                            ;   in Loop: Header=BB6_12355 Depth=2
	v_and_b32_e32 v52, 0x7fffffff, v1
	v_cmp_gt_u64_e32 vcc, s[56:57], v[52:53]
	v_and_b32_sdwa v0, v1, s48 dst_sel:DWORD dst_unused:UNUSED_PAD src0_sel:BYTE_3 src1_sel:DWORD
                                        ; implicit-def: $vgpr2
                                        ; kill: killed $vgpr2
	s_and_saveexec_b64 s[20:21], vcc
	s_xor_b64 s[78:79], exec, s[20:21]
	s_cbranch_execz .LBB6_13260
; %bb.13251:                            ;   in Loop: Header=BB6_12355 Depth=2
	v_mov_b32_e32 v2, 0
	v_cmp_ne_u32_e32 vcc, 0, v1
	buffer_store_dword v2, off, s[0:3], s33 offset:260 ; 4-byte Folded Spill
	s_and_saveexec_b64 s[88:89], vcc
	s_cbranch_execz .LBB6_13259
; %bb.13252:                            ;   in Loop: Header=BB6_12355 Depth=2
	v_and_b32_e32 v3, 0x7fffff, v1
	v_bfe_u32 v1, v1, 23, 8
	v_cmp_gt_u32_e64 s[20:21], s49, v1
	v_sub_u32_e32 v2, 0x79, v1
	v_cmp_eq_u32_e32 vcc, 0, v1
	v_cndmask_b32_e64 v2, 0, v2, s[20:21]
	v_mov_b32_e32 v5, 0x78
	v_or_b32_e32 v4, 0x800000, v3
	v_cndmask_b32_e32 v2, v2, v5, vcc
	v_cndmask_b32_e32 v52, v4, v3, vcc
	v_add_u32_e32 v3, 20, v2
	v_lshlrev_b64 v[3:4], v3, -1
	v_add_u32_e32 v5, 19, v2
	v_lshlrev_b64 v[5:6], v5, 1
	v_lshrrev_b64 v[10:11], v2, v[52:53]
	v_bfi_b32 v4, v4, 0, 0
	v_bfi_b32 v3, v3, 0, v52
	v_cmp_eq_u64_e64 s[20:21], v[3:4], v[5:6]
	v_mov_b32_e32 v17, v11
	v_mov_b32_e32 v16, v10
	s_and_saveexec_b64 s[90:91], s[20:21]
; %bb.13253:                            ;   in Loop: Header=BB6_12355 Depth=2
	v_bfe_u32 v3, v10, 20, 1
	v_add_co_u32_e64 v3, s[20:21], v10, v3
	v_add_co_u32_e64 v16, s[20:21], -1, v3
; %bb.13254:                            ;   in Loop: Header=BB6_12355 Depth=2
	s_or_b64 exec, exec, s[90:91]
	v_add_u32_e32 v1, 0xffffff81, v1
	v_mov_b32_e32 v3, 0xffffff82
	v_cndmask_b32_e32 v1, v1, v3, vcc
	v_lshrrev_b32_e32 v3, 23, v10
	v_add3_u32 v3, v2, v1, v3
	v_add_u32_e32 v2, 6, v3
	v_and_b32_e32 v1, 0xfffff, v16
	v_add_u32_e32 v52, v1, v10
	v_cmp_ne_u32_e32 vcc, 0, v2
                                        ; implicit-def: $vgpr10_vgpr11
                                        ; implicit-def: $vgpr1
	s_and_saveexec_b64 s[20:21], vcc
	s_xor_b64 s[20:21], exec, s[20:21]
; %bb.13255:                            ;   in Loop: Header=BB6_12355 Depth=2
	v_cmp_lt_u64_e32 vcc, s[58:59], v[52:53]
	v_add_u32_e32 v1, 7, v3
	v_cndmask_b32_e32 v1, v2, v1, vcc
	v_cndmask_b32_e64 v2, 0, 1, vcc
	v_lshrrev_b64 v[10:11], v2, v[52:53]
; %bb.13256:                            ;   in Loop: Header=BB6_12355 Depth=2
	s_andn2_saveexec_b64 s[20:21], s[20:21]
; %bb.13257:                            ;   in Loop: Header=BB6_12355 Depth=2
	v_mov_b32_e32 v10, v52
	v_bfe_u32 v1, v52, 23, 1
	v_mov_b32_e32 v11, v53
; %bb.13258:                            ;   in Loop: Header=BB6_12355 Depth=2
	s_or_b64 exec, exec, s[20:21]
	v_lshrrev_b64 v[2:3], 20, v[10:11]
	v_cmp_gt_i32_e32 vcc, 16, v1
	v_cndmask_b32_e32 v3, 0, v3, vcc
	v_cndmask_b32_e32 v2, 7, v2, vcc
	v_cmp_eq_u32_e32 vcc, 0, v1
	v_min_i32_e32 v1, 15, v1
	v_cmp_eq_u64_e64 s[20:21], 0, v[2:3]
	v_lshlrev_b32_e32 v1, 3, v1
	v_and_b32_e32 v1, 0xf8, v1
	v_and_or_b32 v1, v2, 7, v1
	s_and_b64 s[20:21], vcc, s[20:21]
	v_cndmask_b32_e64 v1, v1, 0, s[20:21]
	v_or_b32_e32 v0, v1, v0
	buffer_store_dword v0, off, s[0:3], s33 offset:260 ; 4-byte Folded Spill
.LBB6_13259:                            ;   in Loop: Header=BB6_12355 Depth=2
	s_or_b64 exec, exec, s[88:89]
                                        ; implicit-def: $vgpr0
.LBB6_13260:                            ;   in Loop: Header=BB6_12355 Depth=2
	s_andn2_saveexec_b64 s[20:21], s[78:79]
	s_cbranch_execz .LBB6_13262
; %bb.13261:                            ;   in Loop: Header=BB6_12355 Depth=2
	v_or_b32_e32 v0, 0x7e, v0
	buffer_store_dword v0, off, s[0:3], s33 offset:260 ; 4-byte Folded Spill
.LBB6_13262:                            ;   in Loop: Header=BB6_12355 Depth=2
	s_or_b64 exec, exec, s[20:21]
                                        ; implicit-def: $vgpr1
.LBB6_13263:                            ;   in Loop: Header=BB6_12355 Depth=2
	s_andn2_saveexec_b64 s[20:21], s[76:77]
	s_cbranch_execz .LBB6_13265
; %bb.13264:                            ;   in Loop: Header=BB6_12355 Depth=2
	v_or_b32_sdwa v0, v1, s39 dst_sel:DWORD dst_unused:UNUSED_PAD src0_sel:BYTE_3 src1_sel:DWORD
	buffer_store_dword v0, off, s[0:3], s33 offset:260 ; 4-byte Folded Spill
.LBB6_13265:                            ;   in Loop: Header=BB6_12355 Depth=2
	s_or_b64 exec, exec, s[20:21]
	v_lshrrev_b16_e32 v10, 8, v12
	v_cmp_ne_u16_e32 vcc, 0, v10
	v_mov_b32_e32 v0, 0
	s_and_saveexec_b64 s[20:21], vcc
	s_cbranch_execz .LBB6_13271
; %bb.13266:                            ;   in Loop: Header=BB6_12355 Depth=2
	v_cmp_ne_u16_e32 vcc, s48, v10
	v_bfrev_b32_e32 v0, 1
	s_and_saveexec_b64 s[76:77], vcc
	s_cbranch_execz .LBB6_13270
; %bb.13267:                            ;   in Loop: Header=BB6_12355 Depth=2
	v_and_b32_e32 v1, 0x7f, v10
	v_cmp_ne_u32_e32 vcc, s39, v1
	v_mov_b32_e32 v0, 0x7f800001
	s_and_saveexec_b64 s[78:79], vcc
	s_cbranch_execz .LBB6_13269
; %bb.13268:                            ;   in Loop: Header=BB6_12355 Depth=2
	v_and_b32_e32 v2, 7, v10
	v_ffbh_u32_e32 v0, v2
	v_min_u32_e32 v4, 32, v0
	v_subrev_u32_e32 v0, 28, v4
	v_lshrrev_b32_e32 v3, 3, v1
	v_cmp_gt_u32_e32 vcc, 8, v1
	v_lshlrev_b64 v[0:1], v0, v[10:11]
	v_sub_u32_e32 v1, 29, v4
	v_and_b32_e32 v0, 7, v0
	v_cndmask_b32_e32 v1, v3, v1, vcc
	v_cndmask_b32_e32 v0, v2, v0, vcc
	v_lshlrev_b32_e32 v2, 16, v12
	v_bfrev_b32_e32 v3, 60
	v_lshlrev_b32_e32 v0, 20, v0
	v_and_b32_e32 v2, 0x80000000, v2
	v_lshl_add_u32 v1, v1, 23, v3
	v_or3_b32 v0, v2, v1, v0
.LBB6_13269:                            ;   in Loop: Header=BB6_12355 Depth=2
	s_or_b64 exec, exec, s[78:79]
.LBB6_13270:                            ;   in Loop: Header=BB6_12355 Depth=2
	s_or_b64 exec, exec, s[76:77]
.LBB6_13271:                            ;   in Loop: Header=BB6_12355 Depth=2
	s_or_b64 exec, exec, s[20:21]
	v_mul_f32_e32 v1, v19, v0
	v_and_b32_e32 v52, 0x7f800000, v1
	v_cmp_ne_u64_e32 vcc, s[46:47], v[52:53]
                                        ; implicit-def: $vgpr0
                                        ; kill: killed $vgpr0
	s_and_saveexec_b64 s[20:21], vcc
	s_xor_b64 s[76:77], exec, s[20:21]
	s_cbranch_execz .LBB6_13285
; %bb.13272:                            ;   in Loop: Header=BB6_12355 Depth=2
	v_and_b32_e32 v52, 0x7fffffff, v1
	v_cmp_gt_u64_e32 vcc, s[56:57], v[52:53]
	v_and_b32_sdwa v0, v1, s48 dst_sel:DWORD dst_unused:UNUSED_PAD src0_sel:BYTE_3 src1_sel:DWORD
                                        ; implicit-def: $vgpr2
                                        ; kill: killed $vgpr2
	s_and_saveexec_b64 s[20:21], vcc
	s_xor_b64 s[78:79], exec, s[20:21]
	s_cbranch_execz .LBB6_13282
; %bb.13273:                            ;   in Loop: Header=BB6_12355 Depth=2
	v_mov_b32_e32 v2, 0
	v_cmp_ne_u32_e32 vcc, 0, v1
	buffer_store_dword v2, off, s[0:3], s33 offset:264 ; 4-byte Folded Spill
	s_and_saveexec_b64 s[88:89], vcc
	s_cbranch_execz .LBB6_13281
; %bb.13274:                            ;   in Loop: Header=BB6_12355 Depth=2
	v_and_b32_e32 v3, 0x7fffff, v1
	v_bfe_u32 v1, v1, 23, 8
	v_cmp_gt_u32_e64 s[20:21], s49, v1
	v_sub_u32_e32 v2, 0x79, v1
	v_cmp_eq_u32_e32 vcc, 0, v1
	v_cndmask_b32_e64 v2, 0, v2, s[20:21]
	v_mov_b32_e32 v5, 0x78
	v_or_b32_e32 v4, 0x800000, v3
	v_cndmask_b32_e32 v2, v2, v5, vcc
	v_cndmask_b32_e32 v52, v4, v3, vcc
	v_add_u32_e32 v3, 20, v2
	v_lshlrev_b64 v[3:4], v3, -1
	v_add_u32_e32 v5, 19, v2
	v_lshlrev_b64 v[5:6], v5, 1
	v_lshrrev_b64 v[10:11], v2, v[52:53]
	v_bfi_b32 v4, v4, 0, 0
	v_bfi_b32 v3, v3, 0, v52
	v_cmp_eq_u64_e64 s[20:21], v[3:4], v[5:6]
	v_mov_b32_e32 v17, v11
	v_mov_b32_e32 v16, v10
	s_and_saveexec_b64 s[90:91], s[20:21]
; %bb.13275:                            ;   in Loop: Header=BB6_12355 Depth=2
	v_bfe_u32 v3, v10, 20, 1
	v_add_co_u32_e64 v3, s[20:21], v10, v3
	v_add_co_u32_e64 v16, s[20:21], -1, v3
; %bb.13276:                            ;   in Loop: Header=BB6_12355 Depth=2
	s_or_b64 exec, exec, s[90:91]
	v_add_u32_e32 v1, 0xffffff81, v1
	v_mov_b32_e32 v3, 0xffffff82
	v_cndmask_b32_e32 v1, v1, v3, vcc
	v_lshrrev_b32_e32 v3, 23, v10
	v_add3_u32 v3, v2, v1, v3
	v_add_u32_e32 v2, 6, v3
	v_and_b32_e32 v1, 0xfffff, v16
	v_add_u32_e32 v52, v1, v10
	v_cmp_ne_u32_e32 vcc, 0, v2
                                        ; implicit-def: $vgpr10_vgpr11
                                        ; implicit-def: $vgpr1
	s_and_saveexec_b64 s[20:21], vcc
	s_xor_b64 s[20:21], exec, s[20:21]
; %bb.13277:                            ;   in Loop: Header=BB6_12355 Depth=2
	v_cmp_lt_u64_e32 vcc, s[58:59], v[52:53]
	v_add_u32_e32 v1, 7, v3
	v_cndmask_b32_e32 v1, v2, v1, vcc
	v_cndmask_b32_e64 v2, 0, 1, vcc
	v_lshrrev_b64 v[10:11], v2, v[52:53]
; %bb.13278:                            ;   in Loop: Header=BB6_12355 Depth=2
	s_andn2_saveexec_b64 s[20:21], s[20:21]
; %bb.13279:                            ;   in Loop: Header=BB6_12355 Depth=2
	v_mov_b32_e32 v10, v52
	v_bfe_u32 v1, v52, 23, 1
	v_mov_b32_e32 v11, v53
; %bb.13280:                            ;   in Loop: Header=BB6_12355 Depth=2
	s_or_b64 exec, exec, s[20:21]
	v_lshrrev_b64 v[2:3], 20, v[10:11]
	v_cmp_gt_i32_e32 vcc, 16, v1
	v_cndmask_b32_e32 v3, 0, v3, vcc
	v_cndmask_b32_e32 v2, 7, v2, vcc
	v_cmp_eq_u32_e32 vcc, 0, v1
	v_min_i32_e32 v1, 15, v1
	v_cmp_eq_u64_e64 s[20:21], 0, v[2:3]
	v_lshlrev_b32_e32 v1, 3, v1
	v_and_b32_e32 v1, 0xf8, v1
	v_and_or_b32 v1, v2, 7, v1
	s_and_b64 s[20:21], vcc, s[20:21]
	v_cndmask_b32_e64 v1, v1, 0, s[20:21]
	v_or_b32_e32 v0, v1, v0
	buffer_store_dword v0, off, s[0:3], s33 offset:264 ; 4-byte Folded Spill
.LBB6_13281:                            ;   in Loop: Header=BB6_12355 Depth=2
	s_or_b64 exec, exec, s[88:89]
                                        ; implicit-def: $vgpr0
.LBB6_13282:                            ;   in Loop: Header=BB6_12355 Depth=2
	s_andn2_saveexec_b64 s[20:21], s[78:79]
	s_cbranch_execz .LBB6_13284
; %bb.13283:                            ;   in Loop: Header=BB6_12355 Depth=2
	v_or_b32_e32 v0, 0x7e, v0
	buffer_store_dword v0, off, s[0:3], s33 offset:264 ; 4-byte Folded Spill
.LBB6_13284:                            ;   in Loop: Header=BB6_12355 Depth=2
	s_or_b64 exec, exec, s[20:21]
                                        ; implicit-def: $vgpr1
.LBB6_13285:                            ;   in Loop: Header=BB6_12355 Depth=2
	s_andn2_saveexec_b64 s[20:21], s[76:77]
	s_cbranch_execz .LBB6_13287
; %bb.13286:                            ;   in Loop: Header=BB6_12355 Depth=2
	v_or_b32_sdwa v0, v1, s39 dst_sel:DWORD dst_unused:UNUSED_PAD src0_sel:BYTE_3 src1_sel:DWORD
	buffer_store_dword v0, off, s[0:3], s33 offset:264 ; 4-byte Folded Spill
.LBB6_13287:                            ;   in Loop: Header=BB6_12355 Depth=2
	s_or_b64 exec, exec, s[20:21]
	v_lshrrev_b32_e32 v10, 16, v12
	v_cmp_ne_u16_sdwa s[76:77], v10, v53 src0_sel:BYTE_0 src1_sel:DWORD
	v_mov_b32_e32 v0, 0
	s_and_saveexec_b64 s[20:21], s[76:77]
	s_cbranch_execz .LBB6_13293
; %bb.13288:                            ;   in Loop: Header=BB6_12355 Depth=2
	v_cmp_ne_u16_sdwa s[78:79], v10, s48 src0_sel:BYTE_0 src1_sel:DWORD
	v_bfrev_b32_e32 v0, 1
	s_and_saveexec_b64 s[76:77], s[78:79]
	s_cbranch_execz .LBB6_13292
; %bb.13289:                            ;   in Loop: Header=BB6_12355 Depth=2
	v_bfe_u32 v1, v12, 16, 7
	v_cmp_ne_u32_e32 vcc, s39, v1
	v_mov_b32_e32 v0, 0x7f800001
	s_and_saveexec_b64 s[78:79], vcc
	s_cbranch_execz .LBB6_13291
; %bb.13290:                            ;   in Loop: Header=BB6_12355 Depth=2
	v_and_b32_e32 v2, 7, v10
	v_ffbh_u32_e32 v0, v2
	v_min_u32_e32 v4, 32, v0
	v_subrev_u32_e32 v0, 28, v4
	v_lshrrev_b32_e32 v3, 3, v1
	v_cmp_gt_u32_e32 vcc, 8, v1
	v_lshlrev_b64 v[0:1], v0, v[10:11]
	v_sub_u32_e32 v1, 29, v4
	v_and_b32_e32 v0, 7, v0
	v_cndmask_b32_e32 v1, v3, v1, vcc
	v_cndmask_b32_e32 v0, v2, v0, vcc
	v_lshlrev_b32_e32 v2, 24, v10
	v_bfrev_b32_e32 v3, 60
	v_lshlrev_b32_e32 v0, 20, v0
	v_and_b32_e32 v2, 0x80000000, v2
	v_lshl_add_u32 v1, v1, 23, v3
	v_or3_b32 v0, v2, v1, v0
.LBB6_13291:                            ;   in Loop: Header=BB6_12355 Depth=2
	s_or_b64 exec, exec, s[78:79]
.LBB6_13292:                            ;   in Loop: Header=BB6_12355 Depth=2
	s_or_b64 exec, exec, s[76:77]
.LBB6_13293:                            ;   in Loop: Header=BB6_12355 Depth=2
	s_or_b64 exec, exec, s[20:21]
	v_mul_f32_e32 v1, v19, v0
	v_and_b32_e32 v52, 0x7f800000, v1
	v_cmp_ne_u64_e32 vcc, s[46:47], v[52:53]
                                        ; implicit-def: $vgpr0
                                        ; kill: killed $vgpr0
	s_and_saveexec_b64 s[20:21], vcc
	s_xor_b64 s[76:77], exec, s[20:21]
	s_cbranch_execz .LBB6_13307
; %bb.13294:                            ;   in Loop: Header=BB6_12355 Depth=2
	v_and_b32_e32 v52, 0x7fffffff, v1
	v_cmp_gt_u64_e32 vcc, s[56:57], v[52:53]
	v_and_b32_sdwa v0, v1, s48 dst_sel:DWORD dst_unused:UNUSED_PAD src0_sel:BYTE_3 src1_sel:DWORD
                                        ; implicit-def: $vgpr2
                                        ; kill: killed $vgpr2
	s_and_saveexec_b64 s[20:21], vcc
	s_xor_b64 s[78:79], exec, s[20:21]
	s_cbranch_execz .LBB6_13304
; %bb.13295:                            ;   in Loop: Header=BB6_12355 Depth=2
	v_mov_b32_e32 v2, 0
	v_cmp_ne_u32_e32 vcc, 0, v1
	buffer_store_dword v2, off, s[0:3], s33 offset:268 ; 4-byte Folded Spill
	s_and_saveexec_b64 s[88:89], vcc
	s_cbranch_execz .LBB6_13303
; %bb.13296:                            ;   in Loop: Header=BB6_12355 Depth=2
	v_and_b32_e32 v3, 0x7fffff, v1
	v_bfe_u32 v1, v1, 23, 8
	v_cmp_gt_u32_e64 s[20:21], s49, v1
	v_sub_u32_e32 v2, 0x79, v1
	v_cmp_eq_u32_e32 vcc, 0, v1
	v_cndmask_b32_e64 v2, 0, v2, s[20:21]
	v_mov_b32_e32 v5, 0x78
	v_or_b32_e32 v4, 0x800000, v3
	v_cndmask_b32_e32 v2, v2, v5, vcc
	v_cndmask_b32_e32 v52, v4, v3, vcc
	v_add_u32_e32 v3, 20, v2
	v_lshlrev_b64 v[3:4], v3, -1
	v_add_u32_e32 v5, 19, v2
	v_lshlrev_b64 v[5:6], v5, 1
	v_lshrrev_b64 v[10:11], v2, v[52:53]
	v_bfi_b32 v4, v4, 0, 0
	v_bfi_b32 v3, v3, 0, v52
	v_cmp_eq_u64_e64 s[20:21], v[3:4], v[5:6]
	v_mov_b32_e32 v17, v11
	v_mov_b32_e32 v16, v10
	s_and_saveexec_b64 s[90:91], s[20:21]
; %bb.13297:                            ;   in Loop: Header=BB6_12355 Depth=2
	v_bfe_u32 v3, v10, 20, 1
	v_add_co_u32_e64 v3, s[20:21], v10, v3
	v_add_co_u32_e64 v16, s[20:21], -1, v3
; %bb.13298:                            ;   in Loop: Header=BB6_12355 Depth=2
	s_or_b64 exec, exec, s[90:91]
	v_add_u32_e32 v1, 0xffffff81, v1
	v_mov_b32_e32 v3, 0xffffff82
	v_cndmask_b32_e32 v1, v1, v3, vcc
	v_lshrrev_b32_e32 v3, 23, v10
	v_add3_u32 v3, v2, v1, v3
	v_add_u32_e32 v2, 6, v3
	v_and_b32_e32 v1, 0xfffff, v16
	v_add_u32_e32 v52, v1, v10
	v_cmp_ne_u32_e32 vcc, 0, v2
                                        ; implicit-def: $vgpr10_vgpr11
                                        ; implicit-def: $vgpr1
	s_and_saveexec_b64 s[20:21], vcc
	s_xor_b64 s[20:21], exec, s[20:21]
; %bb.13299:                            ;   in Loop: Header=BB6_12355 Depth=2
	v_cmp_lt_u64_e32 vcc, s[58:59], v[52:53]
	v_add_u32_e32 v1, 7, v3
	v_cndmask_b32_e32 v1, v2, v1, vcc
	v_cndmask_b32_e64 v2, 0, 1, vcc
	v_lshrrev_b64 v[10:11], v2, v[52:53]
; %bb.13300:                            ;   in Loop: Header=BB6_12355 Depth=2
	s_andn2_saveexec_b64 s[20:21], s[20:21]
; %bb.13301:                            ;   in Loop: Header=BB6_12355 Depth=2
	v_mov_b32_e32 v10, v52
	v_bfe_u32 v1, v52, 23, 1
	v_mov_b32_e32 v11, v53
; %bb.13302:                            ;   in Loop: Header=BB6_12355 Depth=2
	s_or_b64 exec, exec, s[20:21]
	v_lshrrev_b64 v[2:3], 20, v[10:11]
	v_cmp_gt_i32_e32 vcc, 16, v1
	v_cndmask_b32_e32 v3, 0, v3, vcc
	v_cndmask_b32_e32 v2, 7, v2, vcc
	v_cmp_eq_u32_e32 vcc, 0, v1
	v_min_i32_e32 v1, 15, v1
	v_cmp_eq_u64_e64 s[20:21], 0, v[2:3]
	v_lshlrev_b32_e32 v1, 3, v1
	v_and_b32_e32 v1, 0xf8, v1
	v_and_or_b32 v1, v2, 7, v1
	s_and_b64 s[20:21], vcc, s[20:21]
	v_cndmask_b32_e64 v1, v1, 0, s[20:21]
	v_or_b32_e32 v0, v1, v0
	buffer_store_dword v0, off, s[0:3], s33 offset:268 ; 4-byte Folded Spill
.LBB6_13303:                            ;   in Loop: Header=BB6_12355 Depth=2
	s_or_b64 exec, exec, s[88:89]
                                        ; implicit-def: $vgpr0
.LBB6_13304:                            ;   in Loop: Header=BB6_12355 Depth=2
	s_andn2_saveexec_b64 s[20:21], s[78:79]
	s_cbranch_execz .LBB6_13306
; %bb.13305:                            ;   in Loop: Header=BB6_12355 Depth=2
	v_or_b32_e32 v0, 0x7e, v0
	buffer_store_dword v0, off, s[0:3], s33 offset:268 ; 4-byte Folded Spill
.LBB6_13306:                            ;   in Loop: Header=BB6_12355 Depth=2
	s_or_b64 exec, exec, s[20:21]
                                        ; implicit-def: $vgpr1
.LBB6_13307:                            ;   in Loop: Header=BB6_12355 Depth=2
	s_andn2_saveexec_b64 s[20:21], s[76:77]
	s_cbranch_execz .LBB6_13309
; %bb.13308:                            ;   in Loop: Header=BB6_12355 Depth=2
	v_or_b32_sdwa v0, v1, s39 dst_sel:DWORD dst_unused:UNUSED_PAD src0_sel:BYTE_3 src1_sel:DWORD
	buffer_store_dword v0, off, s[0:3], s33 offset:268 ; 4-byte Folded Spill
.LBB6_13309:                            ;   in Loop: Header=BB6_12355 Depth=2
	s_or_b64 exec, exec, s[20:21]
	v_cmp_lt_u32_e32 vcc, s61, v12
	v_mov_b32_e32 v0, 0
	s_and_saveexec_b64 s[20:21], vcc
	s_cbranch_execz .LBB6_13315
; %bb.13310:                            ;   in Loop: Header=BB6_12355 Depth=2
	v_lshrrev_b32_e32 v10, 24, v12
	v_cmp_ne_u32_e32 vcc, s48, v10
	v_bfrev_b32_e32 v0, 1
	s_and_saveexec_b64 s[76:77], vcc
	s_cbranch_execz .LBB6_13314
; %bb.13311:                            ;   in Loop: Header=BB6_12355 Depth=2
	v_bfe_u32 v1, v12, 24, 7
	v_cmp_ne_u32_e32 vcc, s39, v1
	v_mov_b32_e32 v0, 0x7f800001
	s_and_saveexec_b64 s[78:79], vcc
	s_cbranch_execz .LBB6_13313
; %bb.13312:                            ;   in Loop: Header=BB6_12355 Depth=2
	v_and_b32_e32 v2, 7, v10
	v_ffbh_u32_e32 v0, v2
	v_min_u32_e32 v4, 32, v0
	v_subrev_u32_e32 v0, 28, v4
	v_lshrrev_b32_e32 v3, 3, v1
	v_cmp_gt_u32_e32 vcc, 8, v1
	v_lshlrev_b64 v[0:1], v0, v[10:11]
	v_sub_u32_e32 v1, 29, v4
	v_and_b32_e32 v0, 7, v0
	v_cndmask_b32_e32 v1, v3, v1, vcc
	v_cndmask_b32_e32 v0, v2, v0, vcc
	v_lshlrev_b32_e32 v2, 24, v10
	v_bfrev_b32_e32 v3, 60
	v_lshlrev_b32_e32 v0, 20, v0
	v_and_b32_e32 v2, 0x80000000, v2
	v_lshl_add_u32 v1, v1, 23, v3
	v_or3_b32 v0, v2, v1, v0
.LBB6_13313:                            ;   in Loop: Header=BB6_12355 Depth=2
	s_or_b64 exec, exec, s[78:79]
.LBB6_13314:                            ;   in Loop: Header=BB6_12355 Depth=2
	s_or_b64 exec, exec, s[76:77]
.LBB6_13315:                            ;   in Loop: Header=BB6_12355 Depth=2
	s_or_b64 exec, exec, s[20:21]
	v_mul_f32_e32 v1, v19, v0
	v_and_b32_e32 v52, 0x7f800000, v1
	v_cmp_ne_u64_e32 vcc, s[46:47], v[52:53]
                                        ; implicit-def: $vgpr0
                                        ; kill: killed $vgpr0
	s_and_saveexec_b64 s[20:21], vcc
	s_xor_b64 s[76:77], exec, s[20:21]
	s_cbranch_execz .LBB6_13329
; %bb.13316:                            ;   in Loop: Header=BB6_12355 Depth=2
	v_and_b32_e32 v52, 0x7fffffff, v1
	v_cmp_gt_u64_e32 vcc, s[56:57], v[52:53]
	v_and_b32_sdwa v0, v1, s48 dst_sel:DWORD dst_unused:UNUSED_PAD src0_sel:BYTE_3 src1_sel:DWORD
                                        ; implicit-def: $vgpr2
                                        ; kill: killed $vgpr2
	s_and_saveexec_b64 s[20:21], vcc
	s_xor_b64 s[78:79], exec, s[20:21]
	s_cbranch_execz .LBB6_13326
; %bb.13317:                            ;   in Loop: Header=BB6_12355 Depth=2
	v_mov_b32_e32 v2, 0
	v_cmp_ne_u32_e32 vcc, 0, v1
	buffer_store_dword v2, off, s[0:3], s33 offset:272 ; 4-byte Folded Spill
	s_and_saveexec_b64 s[88:89], vcc
	s_cbranch_execz .LBB6_13325
; %bb.13318:                            ;   in Loop: Header=BB6_12355 Depth=2
	v_and_b32_e32 v3, 0x7fffff, v1
	v_bfe_u32 v1, v1, 23, 8
	v_cmp_gt_u32_e64 s[20:21], s49, v1
	v_sub_u32_e32 v2, 0x79, v1
	v_cmp_eq_u32_e32 vcc, 0, v1
	v_cndmask_b32_e64 v2, 0, v2, s[20:21]
	v_mov_b32_e32 v5, 0x78
	v_or_b32_e32 v4, 0x800000, v3
	v_cndmask_b32_e32 v2, v2, v5, vcc
	v_cndmask_b32_e32 v52, v4, v3, vcc
	v_add_u32_e32 v3, 20, v2
	v_lshlrev_b64 v[3:4], v3, -1
	v_add_u32_e32 v5, 19, v2
	v_lshlrev_b64 v[5:6], v5, 1
	v_lshrrev_b64 v[10:11], v2, v[52:53]
	v_bfi_b32 v4, v4, 0, 0
	v_bfi_b32 v3, v3, 0, v52
	v_cmp_eq_u64_e64 s[20:21], v[3:4], v[5:6]
	v_mov_b32_e32 v17, v11
	v_mov_b32_e32 v16, v10
	s_and_saveexec_b64 s[90:91], s[20:21]
; %bb.13319:                            ;   in Loop: Header=BB6_12355 Depth=2
	v_bfe_u32 v3, v10, 20, 1
	v_add_co_u32_e64 v3, s[20:21], v10, v3
	v_add_co_u32_e64 v16, s[20:21], -1, v3
; %bb.13320:                            ;   in Loop: Header=BB6_12355 Depth=2
	s_or_b64 exec, exec, s[90:91]
	v_add_u32_e32 v1, 0xffffff81, v1
	v_mov_b32_e32 v3, 0xffffff82
	v_cndmask_b32_e32 v1, v1, v3, vcc
	v_lshrrev_b32_e32 v3, 23, v10
	v_add3_u32 v3, v2, v1, v3
	v_add_u32_e32 v2, 6, v3
	v_and_b32_e32 v1, 0xfffff, v16
	v_add_u32_e32 v52, v1, v10
	v_cmp_ne_u32_e32 vcc, 0, v2
                                        ; implicit-def: $vgpr10_vgpr11
                                        ; implicit-def: $vgpr1
	s_and_saveexec_b64 s[20:21], vcc
	s_xor_b64 s[20:21], exec, s[20:21]
; %bb.13321:                            ;   in Loop: Header=BB6_12355 Depth=2
	v_cmp_lt_u64_e32 vcc, s[58:59], v[52:53]
	v_add_u32_e32 v1, 7, v3
	v_cndmask_b32_e32 v1, v2, v1, vcc
	v_cndmask_b32_e64 v2, 0, 1, vcc
	v_lshrrev_b64 v[10:11], v2, v[52:53]
; %bb.13322:                            ;   in Loop: Header=BB6_12355 Depth=2
	s_andn2_saveexec_b64 s[20:21], s[20:21]
; %bb.13323:                            ;   in Loop: Header=BB6_12355 Depth=2
	v_mov_b32_e32 v10, v52
	v_bfe_u32 v1, v52, 23, 1
	v_mov_b32_e32 v11, v53
; %bb.13324:                            ;   in Loop: Header=BB6_12355 Depth=2
	s_or_b64 exec, exec, s[20:21]
	v_lshrrev_b64 v[2:3], 20, v[10:11]
	v_cmp_gt_i32_e32 vcc, 16, v1
	v_cndmask_b32_e32 v3, 0, v3, vcc
	v_cndmask_b32_e32 v2, 7, v2, vcc
	v_cmp_eq_u32_e32 vcc, 0, v1
	v_min_i32_e32 v1, 15, v1
	v_cmp_eq_u64_e64 s[20:21], 0, v[2:3]
	v_lshlrev_b32_e32 v1, 3, v1
	v_and_b32_e32 v1, 0xf8, v1
	v_and_or_b32 v1, v2, 7, v1
	s_and_b64 s[20:21], vcc, s[20:21]
	v_cndmask_b32_e64 v1, v1, 0, s[20:21]
	v_or_b32_e32 v0, v1, v0
	buffer_store_dword v0, off, s[0:3], s33 offset:272 ; 4-byte Folded Spill
.LBB6_13325:                            ;   in Loop: Header=BB6_12355 Depth=2
	s_or_b64 exec, exec, s[88:89]
                                        ; implicit-def: $vgpr0
.LBB6_13326:                            ;   in Loop: Header=BB6_12355 Depth=2
	s_andn2_saveexec_b64 s[20:21], s[78:79]
	s_cbranch_execz .LBB6_13328
; %bb.13327:                            ;   in Loop: Header=BB6_12355 Depth=2
	v_or_b32_e32 v0, 0x7e, v0
	buffer_store_dword v0, off, s[0:3], s33 offset:272 ; 4-byte Folded Spill
.LBB6_13328:                            ;   in Loop: Header=BB6_12355 Depth=2
	s_or_b64 exec, exec, s[20:21]
                                        ; implicit-def: $vgpr1
.LBB6_13329:                            ;   in Loop: Header=BB6_12355 Depth=2
	s_andn2_saveexec_b64 s[20:21], s[76:77]
	s_cbranch_execz .LBB6_13331
; %bb.13330:                            ;   in Loop: Header=BB6_12355 Depth=2
	v_or_b32_sdwa v0, v1, s39 dst_sel:DWORD dst_unused:UNUSED_PAD src0_sel:BYTE_3 src1_sel:DWORD
	buffer_store_dword v0, off, s[0:3], s33 offset:272 ; 4-byte Folded Spill
.LBB6_13331:                            ;   in Loop: Header=BB6_12355 Depth=2
	s_or_b64 exec, exec, s[20:21]
	v_mov_b32_e32 v52, v13
	v_cmp_ne_u16_sdwa s[76:77], v13, v53 src0_sel:BYTE_0 src1_sel:DWORD
	v_mov_b32_e32 v0, 0
	s_and_saveexec_b64 s[20:21], s[76:77]
	s_cbranch_execz .LBB6_13337
; %bb.13332:                            ;   in Loop: Header=BB6_12355 Depth=2
	v_cmp_ne_u16_sdwa s[78:79], v13, s48 src0_sel:BYTE_0 src1_sel:DWORD
	v_bfrev_b32_e32 v0, 1
	s_and_saveexec_b64 s[76:77], s[78:79]
	s_cbranch_execz .LBB6_13336
; %bb.13333:                            ;   in Loop: Header=BB6_12355 Depth=2
	v_and_b32_e32 v1, 0x7f, v13
	v_cmp_ne_u32_e32 vcc, s39, v1
	v_mov_b32_e32 v0, 0x7f800001
	s_and_saveexec_b64 s[78:79], vcc
	s_cbranch_execz .LBB6_13335
; %bb.13334:                            ;   in Loop: Header=BB6_12355 Depth=2
	v_and_b32_e32 v0, 7, v13
	v_ffbh_u32_e32 v0, v0
	v_min_u32_e32 v0, 32, v0
	v_lshrrev_b32_e32 v2, 3, v1
	v_cmp_gt_u32_e32 vcc, 8, v1
	v_subrev_u32_e32 v1, 28, v0
	v_sub_u32_e32 v0, 29, v0
	v_cndmask_b32_e32 v2, v2, v0, vcc
	v_cndmask_b32_e32 v0, 0, v1, vcc
	v_lshlrev_b64 v[0:1], v0, v[52:53]
	v_lshlrev_b32_e32 v1, 24, v52
	v_lshlrev_b32_e32 v0, 20, v0
	v_bfrev_b32_e32 v3, 60
	v_and_b32_e32 v0, 0x700000, v0
	v_and_b32_e32 v1, 0x80000000, v1
	v_lshl_add_u32 v2, v2, 23, v3
	v_or3_b32 v0, v1, v2, v0
.LBB6_13335:                            ;   in Loop: Header=BB6_12355 Depth=2
	s_or_b64 exec, exec, s[78:79]
.LBB6_13336:                            ;   in Loop: Header=BB6_12355 Depth=2
	s_or_b64 exec, exec, s[76:77]
.LBB6_13337:                            ;   in Loop: Header=BB6_12355 Depth=2
	s_or_b64 exec, exec, s[20:21]
	v_mul_f32_e32 v1, v19, v0
	v_and_b32_e32 v2, 0x7f800000, v1
	v_mov_b32_e32 v3, v53
	v_cmp_ne_u64_e32 vcc, s[46:47], v[2:3]
                                        ; implicit-def: $vgpr0
                                        ; kill: killed $vgpr0
	s_and_saveexec_b64 s[20:21], vcc
	s_xor_b64 s[76:77], exec, s[20:21]
	s_cbranch_execz .LBB6_13351
; %bb.13338:                            ;   in Loop: Header=BB6_12355 Depth=2
	v_and_b32_e32 v2, 0x7fffffff, v1
	v_mov_b32_e32 v3, v53
	v_cmp_gt_u64_e32 vcc, s[56:57], v[2:3]
	v_and_b32_sdwa v0, v1, s48 dst_sel:DWORD dst_unused:UNUSED_PAD src0_sel:BYTE_3 src1_sel:DWORD
                                        ; implicit-def: $vgpr2
                                        ; kill: killed $vgpr2
	s_and_saveexec_b64 s[20:21], vcc
	s_xor_b64 s[78:79], exec, s[20:21]
	s_cbranch_execz .LBB6_13348
; %bb.13339:                            ;   in Loop: Header=BB6_12355 Depth=2
	v_mov_b32_e32 v2, 0
	v_cmp_ne_u32_e32 vcc, 0, v1
	buffer_store_dword v2, off, s[0:3], s33 offset:276 ; 4-byte Folded Spill
	s_and_saveexec_b64 s[88:89], vcc
	s_cbranch_execz .LBB6_13347
; %bb.13340:                            ;   in Loop: Header=BB6_12355 Depth=2
	v_and_b32_e32 v3, 0x7fffff, v1
	v_bfe_u32 v1, v1, 23, 8
	v_cmp_gt_u32_e64 s[20:21], s49, v1
	v_sub_u32_e32 v2, 0x79, v1
	v_cmp_eq_u32_e32 vcc, 0, v1
	v_cndmask_b32_e64 v2, 0, v2, s[20:21]
	v_mov_b32_e32 v5, 0x78
	v_cndmask_b32_e32 v2, v2, v5, vcc
	v_add_u32_e32 v5, 20, v2
	v_or_b32_e32 v4, 0x800000, v3
	v_lshlrev_b64 v[5:6], v5, -1
	v_add_u32_e32 v7, 19, v2
	v_cndmask_b32_e32 v3, v4, v3, vcc
	v_lshlrev_b64 v[10:11], v7, 1
	v_mov_b32_e32 v4, v53
	v_bfi_b32 v6, v6, 0, 0
	v_bfi_b32 v5, v5, 0, v3
	v_cmp_eq_u64_e64 s[20:21], v[5:6], v[10:11]
	v_lshrrev_b64 v[10:11], v2, v[3:4]
	v_mov_b32_e32 v17, v11
	v_mov_b32_e32 v16, v10
	s_and_saveexec_b64 s[90:91], s[20:21]
; %bb.13341:                            ;   in Loop: Header=BB6_12355 Depth=2
	v_bfe_u32 v3, v10, 20, 1
	v_add_co_u32_e64 v3, s[20:21], v10, v3
	v_add_co_u32_e64 v16, s[20:21], -1, v3
; %bb.13342:                            ;   in Loop: Header=BB6_12355 Depth=2
	s_or_b64 exec, exec, s[90:91]
	v_add_u32_e32 v1, 0xffffff81, v1
	v_mov_b32_e32 v3, 0xffffff82
	v_cndmask_b32_e32 v1, v1, v3, vcc
	v_lshrrev_b32_e32 v3, 23, v10
	v_add3_u32 v3, v2, v1, v3
	v_add_u32_e32 v2, 6, v3
	v_and_b32_e32 v1, 0xfffff, v16
	v_add_u32_e32 v10, v1, v10
	v_mov_b32_e32 v11, v53
	v_cmp_ne_u32_e32 vcc, 0, v2
                                        ; implicit-def: $vgpr1
	s_and_saveexec_b64 s[20:21], vcc
	s_xor_b64 s[20:21], exec, s[20:21]
; %bb.13343:                            ;   in Loop: Header=BB6_12355 Depth=2
	v_cmp_lt_u64_e32 vcc, s[58:59], v[10:11]
	v_add_u32_e32 v1, 7, v3
	v_cndmask_b32_e32 v1, v2, v1, vcc
	v_cndmask_b32_e64 v2, 0, 1, vcc
	v_lshrrev_b64 v[10:11], v2, v[10:11]
; %bb.13344:                            ;   in Loop: Header=BB6_12355 Depth=2
	s_andn2_saveexec_b64 s[20:21], s[20:21]
; %bb.13345:                            ;   in Loop: Header=BB6_12355 Depth=2
	v_bfe_u32 v1, v10, 23, 1
; %bb.13346:                            ;   in Loop: Header=BB6_12355 Depth=2
	s_or_b64 exec, exec, s[20:21]
	v_lshrrev_b64 v[2:3], 20, v[10:11]
	v_cmp_gt_i32_e32 vcc, 16, v1
	v_cndmask_b32_e32 v3, 0, v3, vcc
	v_cndmask_b32_e32 v2, 7, v2, vcc
	v_cmp_eq_u32_e32 vcc, 0, v1
	v_min_i32_e32 v1, 15, v1
	v_cmp_eq_u64_e64 s[20:21], 0, v[2:3]
	v_lshlrev_b32_e32 v1, 3, v1
	v_and_b32_e32 v1, 0xf8, v1
	v_and_or_b32 v1, v2, 7, v1
	s_and_b64 s[20:21], vcc, s[20:21]
	v_cndmask_b32_e64 v1, v1, 0, s[20:21]
	v_or_b32_e32 v0, v1, v0
	buffer_store_dword v0, off, s[0:3], s33 offset:276 ; 4-byte Folded Spill
.LBB6_13347:                            ;   in Loop: Header=BB6_12355 Depth=2
	s_or_b64 exec, exec, s[88:89]
                                        ; implicit-def: $vgpr0
.LBB6_13348:                            ;   in Loop: Header=BB6_12355 Depth=2
	s_andn2_saveexec_b64 s[20:21], s[78:79]
	s_cbranch_execz .LBB6_13350
; %bb.13349:                            ;   in Loop: Header=BB6_12355 Depth=2
	v_or_b32_e32 v0, 0x7e, v0
	buffer_store_dword v0, off, s[0:3], s33 offset:276 ; 4-byte Folded Spill
.LBB6_13350:                            ;   in Loop: Header=BB6_12355 Depth=2
	s_or_b64 exec, exec, s[20:21]
                                        ; implicit-def: $vgpr1
.LBB6_13351:                            ;   in Loop: Header=BB6_12355 Depth=2
	s_andn2_saveexec_b64 s[20:21], s[76:77]
	s_cbranch_execz .LBB6_13353
; %bb.13352:                            ;   in Loop: Header=BB6_12355 Depth=2
	v_or_b32_sdwa v0, v1, s39 dst_sel:DWORD dst_unused:UNUSED_PAD src0_sel:BYTE_3 src1_sel:DWORD
	buffer_store_dword v0, off, s[0:3], s33 offset:276 ; 4-byte Folded Spill
.LBB6_13353:                            ;   in Loop: Header=BB6_12355 Depth=2
	s_or_b64 exec, exec, s[20:21]
	v_lshrrev_b16_e32 v10, 8, v52
	v_cmp_ne_u16_e32 vcc, 0, v10
	v_mov_b32_e32 v0, 0
	s_and_saveexec_b64 s[20:21], vcc
	s_cbranch_execz .LBB6_13359
; %bb.13354:                            ;   in Loop: Header=BB6_12355 Depth=2
	v_cmp_ne_u16_e32 vcc, s48, v10
	v_bfrev_b32_e32 v0, 1
	s_and_saveexec_b64 s[76:77], vcc
	s_cbranch_execz .LBB6_13358
; %bb.13355:                            ;   in Loop: Header=BB6_12355 Depth=2
	v_and_b32_e32 v1, 0x7f, v10
	v_cmp_ne_u32_e32 vcc, s39, v1
	v_mov_b32_e32 v0, 0x7f800001
	s_and_saveexec_b64 s[78:79], vcc
	s_cbranch_execz .LBB6_13357
; %bb.13356:                            ;   in Loop: Header=BB6_12355 Depth=2
	v_and_b32_e32 v2, 7, v10
	v_ffbh_u32_e32 v0, v2
	v_min_u32_e32 v4, 32, v0
	v_subrev_u32_e32 v0, 28, v4
	v_lshrrev_b32_e32 v3, 3, v1
	v_cmp_gt_u32_e32 vcc, 8, v1
	v_lshlrev_b64 v[0:1], v0, v[10:11]
	v_sub_u32_e32 v1, 29, v4
	v_and_b32_e32 v0, 7, v0
	v_cndmask_b32_e32 v1, v3, v1, vcc
	v_cndmask_b32_e32 v0, v2, v0, vcc
	v_lshlrev_b32_e32 v2, 16, v52
	v_bfrev_b32_e32 v3, 60
	v_lshlrev_b32_e32 v0, 20, v0
	v_and_b32_e32 v2, 0x80000000, v2
	v_lshl_add_u32 v1, v1, 23, v3
	v_or3_b32 v0, v2, v1, v0
.LBB6_13357:                            ;   in Loop: Header=BB6_12355 Depth=2
	s_or_b64 exec, exec, s[78:79]
.LBB6_13358:                            ;   in Loop: Header=BB6_12355 Depth=2
	s_or_b64 exec, exec, s[76:77]
.LBB6_13359:                            ;   in Loop: Header=BB6_12355 Depth=2
	s_or_b64 exec, exec, s[20:21]
	v_mul_f32_e32 v1, v19, v0
	v_and_b32_e32 v52, 0x7f800000, v1
	v_cmp_ne_u64_e32 vcc, s[46:47], v[52:53]
                                        ; implicit-def: $vgpr0
                                        ; kill: killed $vgpr0
	s_and_saveexec_b64 s[20:21], vcc
	s_xor_b64 s[76:77], exec, s[20:21]
	s_cbranch_execz .LBB6_13373
; %bb.13360:                            ;   in Loop: Header=BB6_12355 Depth=2
	v_and_b32_e32 v52, 0x7fffffff, v1
	v_cmp_gt_u64_e32 vcc, s[56:57], v[52:53]
	v_and_b32_sdwa v0, v1, s48 dst_sel:DWORD dst_unused:UNUSED_PAD src0_sel:BYTE_3 src1_sel:DWORD
                                        ; implicit-def: $vgpr2
                                        ; kill: killed $vgpr2
	s_and_saveexec_b64 s[20:21], vcc
	s_xor_b64 s[78:79], exec, s[20:21]
	s_cbranch_execz .LBB6_13370
; %bb.13361:                            ;   in Loop: Header=BB6_12355 Depth=2
	v_mov_b32_e32 v2, 0
	v_cmp_ne_u32_e32 vcc, 0, v1
	buffer_store_dword v2, off, s[0:3], s33 offset:280 ; 4-byte Folded Spill
	s_and_saveexec_b64 s[88:89], vcc
	s_cbranch_execz .LBB6_13369
; %bb.13362:                            ;   in Loop: Header=BB6_12355 Depth=2
	v_and_b32_e32 v3, 0x7fffff, v1
	v_bfe_u32 v1, v1, 23, 8
	v_cmp_gt_u32_e64 s[20:21], s49, v1
	v_sub_u32_e32 v2, 0x79, v1
	v_cmp_eq_u32_e32 vcc, 0, v1
	v_cndmask_b32_e64 v2, 0, v2, s[20:21]
	v_mov_b32_e32 v5, 0x78
	v_or_b32_e32 v4, 0x800000, v3
	v_cndmask_b32_e32 v2, v2, v5, vcc
	v_cndmask_b32_e32 v52, v4, v3, vcc
	v_add_u32_e32 v3, 20, v2
	v_lshlrev_b64 v[3:4], v3, -1
	v_add_u32_e32 v5, 19, v2
	v_lshlrev_b64 v[5:6], v5, 1
	v_lshrrev_b64 v[10:11], v2, v[52:53]
	v_bfi_b32 v4, v4, 0, 0
	v_bfi_b32 v3, v3, 0, v52
	v_cmp_eq_u64_e64 s[20:21], v[3:4], v[5:6]
	v_mov_b32_e32 v17, v11
	v_mov_b32_e32 v16, v10
	s_and_saveexec_b64 s[90:91], s[20:21]
; %bb.13363:                            ;   in Loop: Header=BB6_12355 Depth=2
	v_bfe_u32 v3, v10, 20, 1
	v_add_co_u32_e64 v3, s[20:21], v10, v3
	v_add_co_u32_e64 v16, s[20:21], -1, v3
; %bb.13364:                            ;   in Loop: Header=BB6_12355 Depth=2
	s_or_b64 exec, exec, s[90:91]
	v_add_u32_e32 v1, 0xffffff81, v1
	v_mov_b32_e32 v3, 0xffffff82
	v_cndmask_b32_e32 v1, v1, v3, vcc
	v_lshrrev_b32_e32 v3, 23, v10
	v_add3_u32 v3, v2, v1, v3
	v_add_u32_e32 v2, 6, v3
	v_and_b32_e32 v1, 0xfffff, v16
	v_add_u32_e32 v52, v1, v10
	v_cmp_ne_u32_e32 vcc, 0, v2
                                        ; implicit-def: $vgpr10_vgpr11
                                        ; implicit-def: $vgpr1
	s_and_saveexec_b64 s[20:21], vcc
	s_xor_b64 s[20:21], exec, s[20:21]
; %bb.13365:                            ;   in Loop: Header=BB6_12355 Depth=2
	v_cmp_lt_u64_e32 vcc, s[58:59], v[52:53]
	v_add_u32_e32 v1, 7, v3
	v_cndmask_b32_e32 v1, v2, v1, vcc
	v_cndmask_b32_e64 v2, 0, 1, vcc
	v_lshrrev_b64 v[10:11], v2, v[52:53]
; %bb.13366:                            ;   in Loop: Header=BB6_12355 Depth=2
	s_andn2_saveexec_b64 s[20:21], s[20:21]
; %bb.13367:                            ;   in Loop: Header=BB6_12355 Depth=2
	v_mov_b32_e32 v10, v52
	v_bfe_u32 v1, v52, 23, 1
	v_mov_b32_e32 v11, v53
; %bb.13368:                            ;   in Loop: Header=BB6_12355 Depth=2
	s_or_b64 exec, exec, s[20:21]
	v_lshrrev_b64 v[2:3], 20, v[10:11]
	v_cmp_gt_i32_e32 vcc, 16, v1
	v_cndmask_b32_e32 v3, 0, v3, vcc
	v_cndmask_b32_e32 v2, 7, v2, vcc
	v_cmp_eq_u32_e32 vcc, 0, v1
	v_min_i32_e32 v1, 15, v1
	v_cmp_eq_u64_e64 s[20:21], 0, v[2:3]
	v_lshlrev_b32_e32 v1, 3, v1
	v_and_b32_e32 v1, 0xf8, v1
	v_and_or_b32 v1, v2, 7, v1
	s_and_b64 s[20:21], vcc, s[20:21]
	v_cndmask_b32_e64 v1, v1, 0, s[20:21]
	v_or_b32_e32 v0, v1, v0
	buffer_store_dword v0, off, s[0:3], s33 offset:280 ; 4-byte Folded Spill
.LBB6_13369:                            ;   in Loop: Header=BB6_12355 Depth=2
	s_or_b64 exec, exec, s[88:89]
                                        ; implicit-def: $vgpr0
.LBB6_13370:                            ;   in Loop: Header=BB6_12355 Depth=2
	s_andn2_saveexec_b64 s[20:21], s[78:79]
	s_cbranch_execz .LBB6_13372
; %bb.13371:                            ;   in Loop: Header=BB6_12355 Depth=2
	v_or_b32_e32 v0, 0x7e, v0
	buffer_store_dword v0, off, s[0:3], s33 offset:280 ; 4-byte Folded Spill
.LBB6_13372:                            ;   in Loop: Header=BB6_12355 Depth=2
	s_or_b64 exec, exec, s[20:21]
                                        ; implicit-def: $vgpr1
.LBB6_13373:                            ;   in Loop: Header=BB6_12355 Depth=2
	s_andn2_saveexec_b64 s[20:21], s[76:77]
	s_cbranch_execz .LBB6_13375
; %bb.13374:                            ;   in Loop: Header=BB6_12355 Depth=2
	v_or_b32_sdwa v0, v1, s39 dst_sel:DWORD dst_unused:UNUSED_PAD src0_sel:BYTE_3 src1_sel:DWORD
	buffer_store_dword v0, off, s[0:3], s33 offset:280 ; 4-byte Folded Spill
.LBB6_13375:                            ;   in Loop: Header=BB6_12355 Depth=2
	s_or_b64 exec, exec, s[20:21]
	v_lshrrev_b32_e32 v10, 16, v13
	v_cmp_ne_u16_sdwa s[76:77], v10, v53 src0_sel:BYTE_0 src1_sel:DWORD
	v_mov_b32_e32 v0, 0
	s_and_saveexec_b64 s[20:21], s[76:77]
	s_cbranch_execz .LBB6_13381
; %bb.13376:                            ;   in Loop: Header=BB6_12355 Depth=2
	v_cmp_ne_u16_sdwa s[78:79], v10, s48 src0_sel:BYTE_0 src1_sel:DWORD
	v_bfrev_b32_e32 v0, 1
	s_and_saveexec_b64 s[76:77], s[78:79]
	s_cbranch_execz .LBB6_13380
; %bb.13377:                            ;   in Loop: Header=BB6_12355 Depth=2
	v_bfe_u32 v1, v13, 16, 7
	v_cmp_ne_u32_e32 vcc, s39, v1
	v_mov_b32_e32 v0, 0x7f800001
	s_and_saveexec_b64 s[78:79], vcc
	s_cbranch_execz .LBB6_13379
; %bb.13378:                            ;   in Loop: Header=BB6_12355 Depth=2
	v_and_b32_e32 v2, 7, v10
	v_ffbh_u32_e32 v0, v2
	v_min_u32_e32 v4, 32, v0
	v_subrev_u32_e32 v0, 28, v4
	v_lshrrev_b32_e32 v3, 3, v1
	v_cmp_gt_u32_e32 vcc, 8, v1
	v_lshlrev_b64 v[0:1], v0, v[10:11]
	v_sub_u32_e32 v1, 29, v4
	v_and_b32_e32 v0, 7, v0
	v_cndmask_b32_e32 v1, v3, v1, vcc
	v_cndmask_b32_e32 v0, v2, v0, vcc
	v_lshlrev_b32_e32 v2, 24, v10
	v_bfrev_b32_e32 v3, 60
	v_lshlrev_b32_e32 v0, 20, v0
	v_and_b32_e32 v2, 0x80000000, v2
	v_lshl_add_u32 v1, v1, 23, v3
	v_or3_b32 v0, v2, v1, v0
.LBB6_13379:                            ;   in Loop: Header=BB6_12355 Depth=2
	s_or_b64 exec, exec, s[78:79]
.LBB6_13380:                            ;   in Loop: Header=BB6_12355 Depth=2
	s_or_b64 exec, exec, s[76:77]
.LBB6_13381:                            ;   in Loop: Header=BB6_12355 Depth=2
	s_or_b64 exec, exec, s[20:21]
	v_mul_f32_e32 v1, v19, v0
	v_and_b32_e32 v52, 0x7f800000, v1
	v_cmp_ne_u64_e32 vcc, s[46:47], v[52:53]
                                        ; implicit-def: $vgpr0
                                        ; kill: killed $vgpr0
	s_and_saveexec_b64 s[20:21], vcc
	s_xor_b64 s[76:77], exec, s[20:21]
	s_cbranch_execz .LBB6_13395
; %bb.13382:                            ;   in Loop: Header=BB6_12355 Depth=2
	v_and_b32_e32 v52, 0x7fffffff, v1
	v_cmp_gt_u64_e32 vcc, s[56:57], v[52:53]
	v_and_b32_sdwa v0, v1, s48 dst_sel:DWORD dst_unused:UNUSED_PAD src0_sel:BYTE_3 src1_sel:DWORD
                                        ; implicit-def: $vgpr2
                                        ; kill: killed $vgpr2
	s_and_saveexec_b64 s[20:21], vcc
	s_xor_b64 s[78:79], exec, s[20:21]
	s_cbranch_execz .LBB6_13392
; %bb.13383:                            ;   in Loop: Header=BB6_12355 Depth=2
	v_mov_b32_e32 v2, 0
	v_cmp_ne_u32_e32 vcc, 0, v1
	buffer_store_dword v2, off, s[0:3], s33 offset:284 ; 4-byte Folded Spill
	s_and_saveexec_b64 s[88:89], vcc
	s_cbranch_execz .LBB6_13391
; %bb.13384:                            ;   in Loop: Header=BB6_12355 Depth=2
	v_and_b32_e32 v3, 0x7fffff, v1
	v_bfe_u32 v1, v1, 23, 8
	v_cmp_gt_u32_e64 s[20:21], s49, v1
	v_sub_u32_e32 v2, 0x79, v1
	v_cmp_eq_u32_e32 vcc, 0, v1
	v_cndmask_b32_e64 v2, 0, v2, s[20:21]
	v_mov_b32_e32 v5, 0x78
	v_or_b32_e32 v4, 0x800000, v3
	v_cndmask_b32_e32 v2, v2, v5, vcc
	v_cndmask_b32_e32 v52, v4, v3, vcc
	v_add_u32_e32 v3, 20, v2
	v_lshlrev_b64 v[3:4], v3, -1
	v_add_u32_e32 v5, 19, v2
	v_lshlrev_b64 v[5:6], v5, 1
	v_lshrrev_b64 v[10:11], v2, v[52:53]
	v_bfi_b32 v4, v4, 0, 0
	v_bfi_b32 v3, v3, 0, v52
	v_cmp_eq_u64_e64 s[20:21], v[3:4], v[5:6]
	v_mov_b32_e32 v17, v11
	v_mov_b32_e32 v16, v10
	s_and_saveexec_b64 s[90:91], s[20:21]
; %bb.13385:                            ;   in Loop: Header=BB6_12355 Depth=2
	v_bfe_u32 v3, v10, 20, 1
	v_add_co_u32_e64 v3, s[20:21], v10, v3
	v_add_co_u32_e64 v16, s[20:21], -1, v3
; %bb.13386:                            ;   in Loop: Header=BB6_12355 Depth=2
	s_or_b64 exec, exec, s[90:91]
	v_add_u32_e32 v1, 0xffffff81, v1
	v_mov_b32_e32 v3, 0xffffff82
	v_cndmask_b32_e32 v1, v1, v3, vcc
	v_lshrrev_b32_e32 v3, 23, v10
	v_add3_u32 v3, v2, v1, v3
	v_add_u32_e32 v2, 6, v3
	v_and_b32_e32 v1, 0xfffff, v16
	v_add_u32_e32 v52, v1, v10
	v_cmp_ne_u32_e32 vcc, 0, v2
                                        ; implicit-def: $vgpr10_vgpr11
                                        ; implicit-def: $vgpr1
	s_and_saveexec_b64 s[20:21], vcc
	s_xor_b64 s[20:21], exec, s[20:21]
; %bb.13387:                            ;   in Loop: Header=BB6_12355 Depth=2
	v_cmp_lt_u64_e32 vcc, s[58:59], v[52:53]
	v_add_u32_e32 v1, 7, v3
	v_cndmask_b32_e32 v1, v2, v1, vcc
	v_cndmask_b32_e64 v2, 0, 1, vcc
	v_lshrrev_b64 v[10:11], v2, v[52:53]
; %bb.13388:                            ;   in Loop: Header=BB6_12355 Depth=2
	s_andn2_saveexec_b64 s[20:21], s[20:21]
; %bb.13389:                            ;   in Loop: Header=BB6_12355 Depth=2
	v_mov_b32_e32 v10, v52
	v_bfe_u32 v1, v52, 23, 1
	v_mov_b32_e32 v11, v53
; %bb.13390:                            ;   in Loop: Header=BB6_12355 Depth=2
	s_or_b64 exec, exec, s[20:21]
	v_lshrrev_b64 v[2:3], 20, v[10:11]
	v_cmp_gt_i32_e32 vcc, 16, v1
	v_cndmask_b32_e32 v3, 0, v3, vcc
	v_cndmask_b32_e32 v2, 7, v2, vcc
	v_cmp_eq_u32_e32 vcc, 0, v1
	v_min_i32_e32 v1, 15, v1
	v_cmp_eq_u64_e64 s[20:21], 0, v[2:3]
	v_lshlrev_b32_e32 v1, 3, v1
	v_and_b32_e32 v1, 0xf8, v1
	v_and_or_b32 v1, v2, 7, v1
	s_and_b64 s[20:21], vcc, s[20:21]
	v_cndmask_b32_e64 v1, v1, 0, s[20:21]
	v_or_b32_e32 v0, v1, v0
	buffer_store_dword v0, off, s[0:3], s33 offset:284 ; 4-byte Folded Spill
.LBB6_13391:                            ;   in Loop: Header=BB6_12355 Depth=2
	s_or_b64 exec, exec, s[88:89]
                                        ; implicit-def: $vgpr0
.LBB6_13392:                            ;   in Loop: Header=BB6_12355 Depth=2
	s_andn2_saveexec_b64 s[20:21], s[78:79]
	s_cbranch_execz .LBB6_13394
; %bb.13393:                            ;   in Loop: Header=BB6_12355 Depth=2
	v_or_b32_e32 v0, 0x7e, v0
	buffer_store_dword v0, off, s[0:3], s33 offset:284 ; 4-byte Folded Spill
.LBB6_13394:                            ;   in Loop: Header=BB6_12355 Depth=2
	s_or_b64 exec, exec, s[20:21]
                                        ; implicit-def: $vgpr1
.LBB6_13395:                            ;   in Loop: Header=BB6_12355 Depth=2
	s_andn2_saveexec_b64 s[20:21], s[76:77]
	s_cbranch_execz .LBB6_13397
; %bb.13396:                            ;   in Loop: Header=BB6_12355 Depth=2
	v_or_b32_sdwa v0, v1, s39 dst_sel:DWORD dst_unused:UNUSED_PAD src0_sel:BYTE_3 src1_sel:DWORD
	buffer_store_dword v0, off, s[0:3], s33 offset:284 ; 4-byte Folded Spill
.LBB6_13397:                            ;   in Loop: Header=BB6_12355 Depth=2
	s_or_b64 exec, exec, s[20:21]
	v_cmp_lt_u64_e32 vcc, s[60:61], v[12:13]
	v_mov_b32_e32 v0, 0
	s_and_saveexec_b64 s[20:21], vcc
	s_cbranch_execz .LBB6_13403
; %bb.13398:                            ;   in Loop: Header=BB6_12355 Depth=2
	v_lshrrev_b32_e32 v10, 24, v13
	v_cmp_ne_u32_e32 vcc, s48, v10
	v_bfrev_b32_e32 v0, 1
	s_and_saveexec_b64 s[76:77], vcc
	s_cbranch_execz .LBB6_13402
; %bb.13399:                            ;   in Loop: Header=BB6_12355 Depth=2
	v_bfe_u32 v1, v13, 24, 7
	v_cmp_ne_u32_e32 vcc, s39, v1
	v_mov_b32_e32 v0, 0x7f800001
	s_and_saveexec_b64 s[78:79], vcc
	s_cbranch_execz .LBB6_13401
; %bb.13400:                            ;   in Loop: Header=BB6_12355 Depth=2
	v_and_b32_e32 v2, 7, v10
	v_ffbh_u32_e32 v0, v2
	v_min_u32_e32 v4, 32, v0
	v_subrev_u32_e32 v0, 28, v4
	v_lshrrev_b32_e32 v3, 3, v1
	v_cmp_gt_u32_e32 vcc, 8, v1
	v_lshlrev_b64 v[0:1], v0, v[10:11]
	v_sub_u32_e32 v1, 29, v4
	v_and_b32_e32 v0, 7, v0
	v_cndmask_b32_e32 v1, v3, v1, vcc
	v_cndmask_b32_e32 v0, v2, v0, vcc
	v_lshlrev_b32_e32 v2, 24, v10
	v_bfrev_b32_e32 v3, 60
	v_lshlrev_b32_e32 v0, 20, v0
	v_and_b32_e32 v2, 0x80000000, v2
	v_lshl_add_u32 v1, v1, 23, v3
	v_or3_b32 v0, v2, v1, v0
.LBB6_13401:                            ;   in Loop: Header=BB6_12355 Depth=2
	s_or_b64 exec, exec, s[78:79]
.LBB6_13402:                            ;   in Loop: Header=BB6_12355 Depth=2
	s_or_b64 exec, exec, s[76:77]
.LBB6_13403:                            ;   in Loop: Header=BB6_12355 Depth=2
	s_or_b64 exec, exec, s[20:21]
	v_mul_f32_e32 v1, v19, v0
	v_and_b32_e32 v52, 0x7f800000, v1
	v_cmp_ne_u64_e32 vcc, s[46:47], v[52:53]
                                        ; implicit-def: $vgpr0
                                        ; kill: killed $vgpr0
	s_and_saveexec_b64 s[20:21], vcc
	s_xor_b64 s[76:77], exec, s[20:21]
	s_cbranch_execz .LBB6_13417
; %bb.13404:                            ;   in Loop: Header=BB6_12355 Depth=2
	v_and_b32_e32 v52, 0x7fffffff, v1
	v_cmp_gt_u64_e32 vcc, s[56:57], v[52:53]
	v_and_b32_sdwa v0, v1, s48 dst_sel:DWORD dst_unused:UNUSED_PAD src0_sel:BYTE_3 src1_sel:DWORD
                                        ; implicit-def: $vgpr2
                                        ; kill: killed $vgpr2
	s_and_saveexec_b64 s[20:21], vcc
	s_xor_b64 s[78:79], exec, s[20:21]
	s_cbranch_execz .LBB6_13414
; %bb.13405:                            ;   in Loop: Header=BB6_12355 Depth=2
	v_mov_b32_e32 v2, 0
	v_cmp_ne_u32_e32 vcc, 0, v1
	buffer_store_dword v2, off, s[0:3], s33 offset:288 ; 4-byte Folded Spill
	s_and_saveexec_b64 s[88:89], vcc
	s_cbranch_execz .LBB6_13413
; %bb.13406:                            ;   in Loop: Header=BB6_12355 Depth=2
	v_and_b32_e32 v3, 0x7fffff, v1
	v_bfe_u32 v1, v1, 23, 8
	v_cmp_gt_u32_e64 s[20:21], s49, v1
	v_sub_u32_e32 v2, 0x79, v1
	v_cmp_eq_u32_e32 vcc, 0, v1
	v_cndmask_b32_e64 v2, 0, v2, s[20:21]
	v_mov_b32_e32 v5, 0x78
	v_or_b32_e32 v4, 0x800000, v3
	v_cndmask_b32_e32 v2, v2, v5, vcc
	v_cndmask_b32_e32 v52, v4, v3, vcc
	v_add_u32_e32 v3, 20, v2
	v_lshlrev_b64 v[3:4], v3, -1
	v_add_u32_e32 v5, 19, v2
	v_lshlrev_b64 v[5:6], v5, 1
	v_lshrrev_b64 v[10:11], v2, v[52:53]
	v_bfi_b32 v4, v4, 0, 0
	v_bfi_b32 v3, v3, 0, v52
	v_cmp_eq_u64_e64 s[20:21], v[3:4], v[5:6]
	v_mov_b32_e32 v12, v11
	v_mov_b32_e32 v11, v10
	s_and_saveexec_b64 s[90:91], s[20:21]
; %bb.13407:                            ;   in Loop: Header=BB6_12355 Depth=2
	v_bfe_u32 v3, v10, 20, 1
	v_add_co_u32_e64 v3, s[20:21], v10, v3
	v_add_co_u32_e64 v11, s[20:21], -1, v3
; %bb.13408:                            ;   in Loop: Header=BB6_12355 Depth=2
	s_or_b64 exec, exec, s[90:91]
	v_add_u32_e32 v1, 0xffffff81, v1
	v_mov_b32_e32 v3, 0xffffff82
	v_cndmask_b32_e32 v1, v1, v3, vcc
	v_lshrrev_b32_e32 v3, 23, v10
	v_add3_u32 v3, v2, v1, v3
	v_add_u32_e32 v2, 6, v3
	v_and_b32_e32 v1, 0xfffff, v11
	v_add_u32_e32 v52, v1, v10
	v_cmp_ne_u32_e32 vcc, 0, v2
                                        ; implicit-def: $vgpr10_vgpr11
                                        ; implicit-def: $vgpr1
	s_and_saveexec_b64 s[20:21], vcc
	s_xor_b64 s[20:21], exec, s[20:21]
; %bb.13409:                            ;   in Loop: Header=BB6_12355 Depth=2
	v_cmp_lt_u64_e32 vcc, s[58:59], v[52:53]
	v_add_u32_e32 v1, 7, v3
	v_cndmask_b32_e32 v1, v2, v1, vcc
	v_cndmask_b32_e64 v2, 0, 1, vcc
	v_lshrrev_b64 v[10:11], v2, v[52:53]
; %bb.13410:                            ;   in Loop: Header=BB6_12355 Depth=2
	s_andn2_saveexec_b64 s[20:21], s[20:21]
; %bb.13411:                            ;   in Loop: Header=BB6_12355 Depth=2
	v_mov_b32_e32 v10, v52
	v_bfe_u32 v1, v52, 23, 1
	v_mov_b32_e32 v11, v53
; %bb.13412:                            ;   in Loop: Header=BB6_12355 Depth=2
	s_or_b64 exec, exec, s[20:21]
	v_lshrrev_b64 v[2:3], 20, v[10:11]
	v_cmp_gt_i32_e32 vcc, 16, v1
	v_cndmask_b32_e32 v3, 0, v3, vcc
	v_cndmask_b32_e32 v2, 7, v2, vcc
	v_cmp_eq_u32_e32 vcc, 0, v1
	v_min_i32_e32 v1, 15, v1
	v_cmp_eq_u64_e64 s[20:21], 0, v[2:3]
	v_lshlrev_b32_e32 v1, 3, v1
	v_and_b32_e32 v1, 0xf8, v1
	v_and_or_b32 v1, v2, 7, v1
	s_and_b64 s[20:21], vcc, s[20:21]
	v_cndmask_b32_e64 v1, v1, 0, s[20:21]
	v_or_b32_e32 v0, v1, v0
	buffer_store_dword v0, off, s[0:3], s33 offset:288 ; 4-byte Folded Spill
.LBB6_13413:                            ;   in Loop: Header=BB6_12355 Depth=2
	s_or_b64 exec, exec, s[88:89]
                                        ; implicit-def: $vgpr0
.LBB6_13414:                            ;   in Loop: Header=BB6_12355 Depth=2
	s_andn2_saveexec_b64 s[20:21], s[78:79]
	s_cbranch_execz .LBB6_13416
; %bb.13415:                            ;   in Loop: Header=BB6_12355 Depth=2
	v_or_b32_e32 v0, 0x7e, v0
	buffer_store_dword v0, off, s[0:3], s33 offset:288 ; 4-byte Folded Spill
.LBB6_13416:                            ;   in Loop: Header=BB6_12355 Depth=2
	s_or_b64 exec, exec, s[20:21]
                                        ; implicit-def: $vgpr1
.LBB6_13417:                            ;   in Loop: Header=BB6_12355 Depth=2
	s_andn2_saveexec_b64 s[20:21], s[76:77]
	s_cbranch_execz .LBB6_13419
; %bb.13418:                            ;   in Loop: Header=BB6_12355 Depth=2
	v_or_b32_sdwa v0, v1, s39 dst_sel:DWORD dst_unused:UNUSED_PAD src0_sel:BYTE_3 src1_sel:DWORD
	buffer_store_dword v0, off, s[0:3], s33 offset:288 ; 4-byte Folded Spill
.LBB6_13419:                            ;   in Loop: Header=BB6_12355 Depth=2
	s_or_b64 exec, exec, s[20:21]
	global_load_dwordx4 v[10:13], v[14:15], off offset:3072 glc slc
	v_mov_b32_e32 v0, 0
	s_waitcnt vmcnt(0)
	v_cmp_ne_u16_sdwa s[76:77], v10, v53 src0_sel:BYTE_0 src1_sel:DWORD
	s_and_saveexec_b64 s[20:21], s[76:77]
	s_cbranch_execz .LBB6_13425
; %bb.13420:                            ;   in Loop: Header=BB6_12355 Depth=2
	v_cmp_ne_u16_sdwa s[78:79], v10, s48 src0_sel:BYTE_0 src1_sel:DWORD
	v_bfrev_b32_e32 v0, 1
	s_and_saveexec_b64 s[76:77], s[78:79]
	s_cbranch_execz .LBB6_13424
; %bb.13421:                            ;   in Loop: Header=BB6_12355 Depth=2
	v_and_b32_e32 v1, 0x7f, v10
	v_cmp_ne_u32_e32 vcc, s39, v1
	v_mov_b32_e32 v0, 0x7f800001
	s_and_saveexec_b64 s[78:79], vcc
	s_cbranch_execz .LBB6_13423
; %bb.13422:                            ;   in Loop: Header=BB6_12355 Depth=2
	v_and_b32_e32 v0, 7, v10
	v_ffbh_u32_e32 v0, v0
	v_min_u32_e32 v0, 32, v0
	v_lshrrev_b32_e32 v2, 3, v1
	v_cmp_gt_u32_e32 vcc, 8, v1
	v_subrev_u32_e32 v1, 28, v0
	v_sub_u32_e32 v0, 29, v0
	v_cndmask_b32_e32 v2, v2, v0, vcc
	v_cndmask_b32_e32 v0, 0, v1, vcc
	v_lshlrev_b64 v[0:1], v0, v[10:11]
	v_lshlrev_b32_e32 v1, 24, v10
	v_lshlrev_b32_e32 v0, 20, v0
	v_bfrev_b32_e32 v3, 60
	v_and_b32_e32 v0, 0x700000, v0
	v_and_b32_e32 v1, 0x80000000, v1
	v_lshl_add_u32 v2, v2, 23, v3
	v_or3_b32 v0, v1, v2, v0
.LBB6_13423:                            ;   in Loop: Header=BB6_12355 Depth=2
	s_or_b64 exec, exec, s[78:79]
.LBB6_13424:                            ;   in Loop: Header=BB6_12355 Depth=2
	s_or_b64 exec, exec, s[76:77]
.LBB6_13425:                            ;   in Loop: Header=BB6_12355 Depth=2
	s_or_b64 exec, exec, s[20:21]
	v_mul_f32_e32 v1, v19, v0
	v_and_b32_e32 v52, 0x7f800000, v1
	v_cmp_ne_u64_e32 vcc, s[46:47], v[52:53]
                                        ; implicit-def: $vgpr0
                                        ; kill: killed $vgpr0
	s_and_saveexec_b64 s[20:21], vcc
	s_xor_b64 s[76:77], exec, s[20:21]
	s_cbranch_execz .LBB6_13439
; %bb.13426:                            ;   in Loop: Header=BB6_12355 Depth=2
	v_and_b32_e32 v52, 0x7fffffff, v1
	v_cmp_gt_u64_e32 vcc, s[56:57], v[52:53]
	v_and_b32_sdwa v0, v1, s48 dst_sel:DWORD dst_unused:UNUSED_PAD src0_sel:BYTE_3 src1_sel:DWORD
                                        ; implicit-def: $vgpr2
                                        ; kill: killed $vgpr2
	s_and_saveexec_b64 s[20:21], vcc
	s_xor_b64 s[78:79], exec, s[20:21]
	s_cbranch_execz .LBB6_13436
; %bb.13427:                            ;   in Loop: Header=BB6_12355 Depth=2
	v_mov_b32_e32 v2, 0
	v_cmp_ne_u32_e32 vcc, 0, v1
	buffer_store_dword v2, off, s[0:3], s33 offset:292 ; 4-byte Folded Spill
	s_and_saveexec_b64 s[88:89], vcc
	s_cbranch_execz .LBB6_13435
; %bb.13428:                            ;   in Loop: Header=BB6_12355 Depth=2
	v_and_b32_e32 v3, 0x7fffff, v1
	v_bfe_u32 v1, v1, 23, 8
	v_cmp_gt_u32_e64 s[20:21], s49, v1
	v_sub_u32_e32 v2, 0x79, v1
	v_cmp_eq_u32_e32 vcc, 0, v1
	v_cndmask_b32_e64 v2, 0, v2, s[20:21]
	v_mov_b32_e32 v5, 0x78
	v_or_b32_e32 v4, 0x800000, v3
	v_cndmask_b32_e32 v2, v2, v5, vcc
	v_cndmask_b32_e32 v52, v4, v3, vcc
	v_add_u32_e32 v3, 20, v2
	v_lshlrev_b64 v[3:4], v3, -1
	v_add_u32_e32 v5, 19, v2
	v_lshlrev_b64 v[5:6], v5, 1
	v_lshrrev_b64 v[16:17], v2, v[52:53]
	v_bfi_b32 v4, v4, 0, 0
	v_bfi_b32 v3, v3, 0, v52
	v_cmp_eq_u64_e64 s[20:21], v[3:4], v[5:6]
	v_mov_b32_e32 v18, v17
	v_mov_b32_e32 v17, v16
	s_and_saveexec_b64 s[90:91], s[20:21]
; %bb.13429:                            ;   in Loop: Header=BB6_12355 Depth=2
	v_bfe_u32 v3, v16, 20, 1
	v_add_co_u32_e64 v3, s[20:21], v16, v3
	v_add_co_u32_e64 v17, s[20:21], -1, v3
; %bb.13430:                            ;   in Loop: Header=BB6_12355 Depth=2
	s_or_b64 exec, exec, s[90:91]
	v_add_u32_e32 v1, 0xffffff81, v1
	v_mov_b32_e32 v3, 0xffffff82
	v_cndmask_b32_e32 v1, v1, v3, vcc
	v_lshrrev_b32_e32 v3, 23, v16
	v_add3_u32 v3, v2, v1, v3
	v_add_u32_e32 v2, 6, v3
	v_and_b32_e32 v1, 0xfffff, v17
	v_add_u32_e32 v52, v1, v16
	v_cmp_ne_u32_e32 vcc, 0, v2
                                        ; implicit-def: $vgpr16_vgpr17
                                        ; implicit-def: $vgpr1
	s_and_saveexec_b64 s[20:21], vcc
	s_xor_b64 s[20:21], exec, s[20:21]
; %bb.13431:                            ;   in Loop: Header=BB6_12355 Depth=2
	v_cmp_lt_u64_e32 vcc, s[58:59], v[52:53]
	v_add_u32_e32 v1, 7, v3
	v_cndmask_b32_e32 v1, v2, v1, vcc
	v_cndmask_b32_e64 v2, 0, 1, vcc
	v_lshrrev_b64 v[16:17], v2, v[52:53]
; %bb.13432:                            ;   in Loop: Header=BB6_12355 Depth=2
	s_andn2_saveexec_b64 s[20:21], s[20:21]
; %bb.13433:                            ;   in Loop: Header=BB6_12355 Depth=2
	v_mov_b32_e32 v16, v52
	v_bfe_u32 v1, v52, 23, 1
	v_mov_b32_e32 v17, v53
; %bb.13434:                            ;   in Loop: Header=BB6_12355 Depth=2
	s_or_b64 exec, exec, s[20:21]
	v_lshrrev_b64 v[2:3], 20, v[16:17]
	v_cmp_gt_i32_e32 vcc, 16, v1
	v_cndmask_b32_e32 v3, 0, v3, vcc
	v_cndmask_b32_e32 v2, 7, v2, vcc
	v_cmp_eq_u32_e32 vcc, 0, v1
	v_min_i32_e32 v1, 15, v1
	v_cmp_eq_u64_e64 s[20:21], 0, v[2:3]
	v_lshlrev_b32_e32 v1, 3, v1
	v_and_b32_e32 v1, 0xf8, v1
	v_and_or_b32 v1, v2, 7, v1
	s_and_b64 s[20:21], vcc, s[20:21]
	v_cndmask_b32_e64 v1, v1, 0, s[20:21]
	v_or_b32_e32 v0, v1, v0
	buffer_store_dword v0, off, s[0:3], s33 offset:292 ; 4-byte Folded Spill
.LBB6_13435:                            ;   in Loop: Header=BB6_12355 Depth=2
	s_or_b64 exec, exec, s[88:89]
                                        ; implicit-def: $vgpr0
.LBB6_13436:                            ;   in Loop: Header=BB6_12355 Depth=2
	s_andn2_saveexec_b64 s[20:21], s[78:79]
	s_cbranch_execz .LBB6_13438
; %bb.13437:                            ;   in Loop: Header=BB6_12355 Depth=2
	v_or_b32_e32 v0, 0x7e, v0
	buffer_store_dword v0, off, s[0:3], s33 offset:292 ; 4-byte Folded Spill
.LBB6_13438:                            ;   in Loop: Header=BB6_12355 Depth=2
	s_or_b64 exec, exec, s[20:21]
                                        ; implicit-def: $vgpr1
.LBB6_13439:                            ;   in Loop: Header=BB6_12355 Depth=2
	s_andn2_saveexec_b64 s[20:21], s[76:77]
	s_cbranch_execz .LBB6_13441
; %bb.13440:                            ;   in Loop: Header=BB6_12355 Depth=2
	v_or_b32_sdwa v0, v1, s39 dst_sel:DWORD dst_unused:UNUSED_PAD src0_sel:BYTE_3 src1_sel:DWORD
	buffer_store_dword v0, off, s[0:3], s33 offset:292 ; 4-byte Folded Spill
.LBB6_13441:                            ;   in Loop: Header=BB6_12355 Depth=2
	s_or_b64 exec, exec, s[20:21]
	v_lshrrev_b16_e32 v16, 8, v10
	v_cmp_ne_u16_e32 vcc, 0, v16
	v_mov_b32_e32 v0, 0
	s_and_saveexec_b64 s[20:21], vcc
	s_cbranch_execz .LBB6_13447
; %bb.13442:                            ;   in Loop: Header=BB6_12355 Depth=2
	v_cmp_ne_u16_e32 vcc, s48, v16
	v_bfrev_b32_e32 v0, 1
	s_and_saveexec_b64 s[76:77], vcc
	s_cbranch_execz .LBB6_13446
; %bb.13443:                            ;   in Loop: Header=BB6_12355 Depth=2
	v_and_b32_e32 v1, 0x7f, v16
	v_cmp_ne_u32_e32 vcc, s39, v1
	v_mov_b32_e32 v0, 0x7f800001
	s_and_saveexec_b64 s[78:79], vcc
	s_cbranch_execz .LBB6_13445
; %bb.13444:                            ;   in Loop: Header=BB6_12355 Depth=2
	v_and_b32_e32 v2, 7, v16
	v_ffbh_u32_e32 v0, v2
	v_min_u32_e32 v4, 32, v0
	v_subrev_u32_e32 v0, 28, v4
	v_lshrrev_b32_e32 v3, 3, v1
	v_cmp_gt_u32_e32 vcc, 8, v1
	v_lshlrev_b64 v[0:1], v0, v[16:17]
	v_sub_u32_e32 v1, 29, v4
	v_and_b32_e32 v0, 7, v0
	v_cndmask_b32_e32 v1, v3, v1, vcc
	v_cndmask_b32_e32 v0, v2, v0, vcc
	v_lshlrev_b32_e32 v2, 16, v10
	v_bfrev_b32_e32 v3, 60
	v_lshlrev_b32_e32 v0, 20, v0
	v_and_b32_e32 v2, 0x80000000, v2
	v_lshl_add_u32 v1, v1, 23, v3
	v_or3_b32 v0, v2, v1, v0
.LBB6_13445:                            ;   in Loop: Header=BB6_12355 Depth=2
	s_or_b64 exec, exec, s[78:79]
.LBB6_13446:                            ;   in Loop: Header=BB6_12355 Depth=2
	s_or_b64 exec, exec, s[76:77]
.LBB6_13447:                            ;   in Loop: Header=BB6_12355 Depth=2
	s_or_b64 exec, exec, s[20:21]
	v_mul_f32_e32 v1, v19, v0
	v_and_b32_e32 v52, 0x7f800000, v1
	v_cmp_ne_u64_e32 vcc, s[46:47], v[52:53]
                                        ; implicit-def: $vgpr0
                                        ; kill: killed $vgpr0
	s_and_saveexec_b64 s[20:21], vcc
	s_xor_b64 s[76:77], exec, s[20:21]
	s_cbranch_execz .LBB6_13461
; %bb.13448:                            ;   in Loop: Header=BB6_12355 Depth=2
	v_and_b32_e32 v52, 0x7fffffff, v1
	v_cmp_gt_u64_e32 vcc, s[56:57], v[52:53]
	v_and_b32_sdwa v0, v1, s48 dst_sel:DWORD dst_unused:UNUSED_PAD src0_sel:BYTE_3 src1_sel:DWORD
                                        ; implicit-def: $vgpr2
                                        ; kill: killed $vgpr2
	s_and_saveexec_b64 s[20:21], vcc
	s_xor_b64 s[78:79], exec, s[20:21]
	s_cbranch_execz .LBB6_13458
; %bb.13449:                            ;   in Loop: Header=BB6_12355 Depth=2
	v_mov_b32_e32 v2, 0
	v_cmp_ne_u32_e32 vcc, 0, v1
	buffer_store_dword v2, off, s[0:3], s33 offset:296 ; 4-byte Folded Spill
	s_and_saveexec_b64 s[88:89], vcc
	s_cbranch_execz .LBB6_13457
; %bb.13450:                            ;   in Loop: Header=BB6_12355 Depth=2
	v_and_b32_e32 v3, 0x7fffff, v1
	v_bfe_u32 v1, v1, 23, 8
	v_cmp_gt_u32_e64 s[20:21], s49, v1
	v_sub_u32_e32 v2, 0x79, v1
	v_cmp_eq_u32_e32 vcc, 0, v1
	v_cndmask_b32_e64 v2, 0, v2, s[20:21]
	v_mov_b32_e32 v5, 0x78
	v_or_b32_e32 v4, 0x800000, v3
	v_cndmask_b32_e32 v2, v2, v5, vcc
	v_cndmask_b32_e32 v52, v4, v3, vcc
	v_add_u32_e32 v3, 20, v2
	v_lshlrev_b64 v[3:4], v3, -1
	v_add_u32_e32 v5, 19, v2
	v_lshlrev_b64 v[5:6], v5, 1
	v_lshrrev_b64 v[16:17], v2, v[52:53]
	v_bfi_b32 v4, v4, 0, 0
	v_bfi_b32 v3, v3, 0, v52
	v_cmp_eq_u64_e64 s[20:21], v[3:4], v[5:6]
	v_mov_b32_e32 v18, v17
	v_mov_b32_e32 v17, v16
	s_and_saveexec_b64 s[90:91], s[20:21]
; %bb.13451:                            ;   in Loop: Header=BB6_12355 Depth=2
	v_bfe_u32 v3, v16, 20, 1
	v_add_co_u32_e64 v3, s[20:21], v16, v3
	v_add_co_u32_e64 v17, s[20:21], -1, v3
; %bb.13452:                            ;   in Loop: Header=BB6_12355 Depth=2
	s_or_b64 exec, exec, s[90:91]
	v_add_u32_e32 v1, 0xffffff81, v1
	v_mov_b32_e32 v3, 0xffffff82
	v_cndmask_b32_e32 v1, v1, v3, vcc
	v_lshrrev_b32_e32 v3, 23, v16
	v_add3_u32 v3, v2, v1, v3
	v_add_u32_e32 v2, 6, v3
	v_and_b32_e32 v1, 0xfffff, v17
	v_add_u32_e32 v52, v1, v16
	v_cmp_ne_u32_e32 vcc, 0, v2
                                        ; implicit-def: $vgpr16_vgpr17
                                        ; implicit-def: $vgpr1
	s_and_saveexec_b64 s[20:21], vcc
	s_xor_b64 s[20:21], exec, s[20:21]
; %bb.13453:                            ;   in Loop: Header=BB6_12355 Depth=2
	v_cmp_lt_u64_e32 vcc, s[58:59], v[52:53]
	v_add_u32_e32 v1, 7, v3
	v_cndmask_b32_e32 v1, v2, v1, vcc
	v_cndmask_b32_e64 v2, 0, 1, vcc
	v_lshrrev_b64 v[16:17], v2, v[52:53]
; %bb.13454:                            ;   in Loop: Header=BB6_12355 Depth=2
	s_andn2_saveexec_b64 s[20:21], s[20:21]
; %bb.13455:                            ;   in Loop: Header=BB6_12355 Depth=2
	v_mov_b32_e32 v16, v52
	v_bfe_u32 v1, v52, 23, 1
	v_mov_b32_e32 v17, v53
; %bb.13456:                            ;   in Loop: Header=BB6_12355 Depth=2
	s_or_b64 exec, exec, s[20:21]
	v_lshrrev_b64 v[2:3], 20, v[16:17]
	v_cmp_gt_i32_e32 vcc, 16, v1
	v_cndmask_b32_e32 v3, 0, v3, vcc
	v_cndmask_b32_e32 v2, 7, v2, vcc
	v_cmp_eq_u32_e32 vcc, 0, v1
	v_min_i32_e32 v1, 15, v1
	v_cmp_eq_u64_e64 s[20:21], 0, v[2:3]
	v_lshlrev_b32_e32 v1, 3, v1
	v_and_b32_e32 v1, 0xf8, v1
	v_and_or_b32 v1, v2, 7, v1
	s_and_b64 s[20:21], vcc, s[20:21]
	v_cndmask_b32_e64 v1, v1, 0, s[20:21]
	v_or_b32_e32 v0, v1, v0
	buffer_store_dword v0, off, s[0:3], s33 offset:296 ; 4-byte Folded Spill
.LBB6_13457:                            ;   in Loop: Header=BB6_12355 Depth=2
	s_or_b64 exec, exec, s[88:89]
                                        ; implicit-def: $vgpr0
.LBB6_13458:                            ;   in Loop: Header=BB6_12355 Depth=2
	s_andn2_saveexec_b64 s[20:21], s[78:79]
	s_cbranch_execz .LBB6_13460
; %bb.13459:                            ;   in Loop: Header=BB6_12355 Depth=2
	v_or_b32_e32 v0, 0x7e, v0
	buffer_store_dword v0, off, s[0:3], s33 offset:296 ; 4-byte Folded Spill
.LBB6_13460:                            ;   in Loop: Header=BB6_12355 Depth=2
	s_or_b64 exec, exec, s[20:21]
                                        ; implicit-def: $vgpr1
.LBB6_13461:                            ;   in Loop: Header=BB6_12355 Depth=2
	s_andn2_saveexec_b64 s[20:21], s[76:77]
	s_cbranch_execz .LBB6_13463
; %bb.13462:                            ;   in Loop: Header=BB6_12355 Depth=2
	v_or_b32_sdwa v0, v1, s39 dst_sel:DWORD dst_unused:UNUSED_PAD src0_sel:BYTE_3 src1_sel:DWORD
	buffer_store_dword v0, off, s[0:3], s33 offset:296 ; 4-byte Folded Spill
.LBB6_13463:                            ;   in Loop: Header=BB6_12355 Depth=2
	s_or_b64 exec, exec, s[20:21]
	v_lshrrev_b32_e32 v16, 16, v10
	v_cmp_ne_u16_sdwa s[76:77], v16, v53 src0_sel:BYTE_0 src1_sel:DWORD
	v_mov_b32_e32 v0, 0
	s_and_saveexec_b64 s[20:21], s[76:77]
	s_cbranch_execz .LBB6_13469
; %bb.13464:                            ;   in Loop: Header=BB6_12355 Depth=2
	v_cmp_ne_u16_sdwa s[78:79], v16, s48 src0_sel:BYTE_0 src1_sel:DWORD
	v_bfrev_b32_e32 v0, 1
	s_and_saveexec_b64 s[76:77], s[78:79]
	s_cbranch_execz .LBB6_13468
; %bb.13465:                            ;   in Loop: Header=BB6_12355 Depth=2
	v_bfe_u32 v1, v10, 16, 7
	v_cmp_ne_u32_e32 vcc, s39, v1
	v_mov_b32_e32 v0, 0x7f800001
	s_and_saveexec_b64 s[78:79], vcc
	s_cbranch_execz .LBB6_13467
; %bb.13466:                            ;   in Loop: Header=BB6_12355 Depth=2
	v_and_b32_e32 v2, 7, v16
	v_ffbh_u32_e32 v0, v2
	v_min_u32_e32 v4, 32, v0
	v_subrev_u32_e32 v0, 28, v4
	v_lshrrev_b32_e32 v3, 3, v1
	v_cmp_gt_u32_e32 vcc, 8, v1
	v_lshlrev_b64 v[0:1], v0, v[16:17]
	v_sub_u32_e32 v1, 29, v4
	v_and_b32_e32 v0, 7, v0
	v_cndmask_b32_e32 v1, v3, v1, vcc
	v_cndmask_b32_e32 v0, v2, v0, vcc
	v_lshlrev_b32_e32 v2, 24, v16
	v_bfrev_b32_e32 v3, 60
	v_lshlrev_b32_e32 v0, 20, v0
	v_and_b32_e32 v2, 0x80000000, v2
	v_lshl_add_u32 v1, v1, 23, v3
	v_or3_b32 v0, v2, v1, v0
.LBB6_13467:                            ;   in Loop: Header=BB6_12355 Depth=2
	s_or_b64 exec, exec, s[78:79]
.LBB6_13468:                            ;   in Loop: Header=BB6_12355 Depth=2
	s_or_b64 exec, exec, s[76:77]
.LBB6_13469:                            ;   in Loop: Header=BB6_12355 Depth=2
	s_or_b64 exec, exec, s[20:21]
	v_mul_f32_e32 v1, v19, v0
	v_and_b32_e32 v52, 0x7f800000, v1
	v_cmp_ne_u64_e32 vcc, s[46:47], v[52:53]
                                        ; implicit-def: $vgpr0
                                        ; kill: killed $vgpr0
	s_and_saveexec_b64 s[20:21], vcc
	s_xor_b64 s[76:77], exec, s[20:21]
	s_cbranch_execz .LBB6_13483
; %bb.13470:                            ;   in Loop: Header=BB6_12355 Depth=2
	v_and_b32_e32 v52, 0x7fffffff, v1
	v_cmp_gt_u64_e32 vcc, s[56:57], v[52:53]
	v_and_b32_sdwa v0, v1, s48 dst_sel:DWORD dst_unused:UNUSED_PAD src0_sel:BYTE_3 src1_sel:DWORD
                                        ; implicit-def: $vgpr2
                                        ; kill: killed $vgpr2
	s_and_saveexec_b64 s[20:21], vcc
	s_xor_b64 s[78:79], exec, s[20:21]
	s_cbranch_execz .LBB6_13480
; %bb.13471:                            ;   in Loop: Header=BB6_12355 Depth=2
	v_mov_b32_e32 v2, 0
	v_cmp_ne_u32_e32 vcc, 0, v1
	buffer_store_dword v2, off, s[0:3], s33 offset:300 ; 4-byte Folded Spill
	s_and_saveexec_b64 s[88:89], vcc
	s_cbranch_execz .LBB6_13479
; %bb.13472:                            ;   in Loop: Header=BB6_12355 Depth=2
	v_and_b32_e32 v3, 0x7fffff, v1
	v_bfe_u32 v1, v1, 23, 8
	v_cmp_gt_u32_e64 s[20:21], s49, v1
	v_sub_u32_e32 v2, 0x79, v1
	v_cmp_eq_u32_e32 vcc, 0, v1
	v_cndmask_b32_e64 v2, 0, v2, s[20:21]
	v_mov_b32_e32 v5, 0x78
	v_or_b32_e32 v4, 0x800000, v3
	v_cndmask_b32_e32 v2, v2, v5, vcc
	v_cndmask_b32_e32 v52, v4, v3, vcc
	v_add_u32_e32 v3, 20, v2
	v_lshlrev_b64 v[3:4], v3, -1
	v_add_u32_e32 v5, 19, v2
	v_lshlrev_b64 v[5:6], v5, 1
	v_lshrrev_b64 v[16:17], v2, v[52:53]
	v_bfi_b32 v4, v4, 0, 0
	v_bfi_b32 v3, v3, 0, v52
	v_cmp_eq_u64_e64 s[20:21], v[3:4], v[5:6]
	v_mov_b32_e32 v18, v17
	v_mov_b32_e32 v17, v16
	s_and_saveexec_b64 s[90:91], s[20:21]
; %bb.13473:                            ;   in Loop: Header=BB6_12355 Depth=2
	v_bfe_u32 v3, v16, 20, 1
	v_add_co_u32_e64 v3, s[20:21], v16, v3
	v_add_co_u32_e64 v17, s[20:21], -1, v3
; %bb.13474:                            ;   in Loop: Header=BB6_12355 Depth=2
	s_or_b64 exec, exec, s[90:91]
	v_add_u32_e32 v1, 0xffffff81, v1
	v_mov_b32_e32 v3, 0xffffff82
	v_cndmask_b32_e32 v1, v1, v3, vcc
	v_lshrrev_b32_e32 v3, 23, v16
	v_add3_u32 v3, v2, v1, v3
	v_add_u32_e32 v2, 6, v3
	v_and_b32_e32 v1, 0xfffff, v17
	v_add_u32_e32 v52, v1, v16
	v_cmp_ne_u32_e32 vcc, 0, v2
                                        ; implicit-def: $vgpr16_vgpr17
                                        ; implicit-def: $vgpr1
	s_and_saveexec_b64 s[20:21], vcc
	s_xor_b64 s[20:21], exec, s[20:21]
; %bb.13475:                            ;   in Loop: Header=BB6_12355 Depth=2
	v_cmp_lt_u64_e32 vcc, s[58:59], v[52:53]
	v_add_u32_e32 v1, 7, v3
	v_cndmask_b32_e32 v1, v2, v1, vcc
	v_cndmask_b32_e64 v2, 0, 1, vcc
	v_lshrrev_b64 v[16:17], v2, v[52:53]
; %bb.13476:                            ;   in Loop: Header=BB6_12355 Depth=2
	s_andn2_saveexec_b64 s[20:21], s[20:21]
; %bb.13477:                            ;   in Loop: Header=BB6_12355 Depth=2
	v_mov_b32_e32 v16, v52
	v_bfe_u32 v1, v52, 23, 1
	v_mov_b32_e32 v17, v53
; %bb.13478:                            ;   in Loop: Header=BB6_12355 Depth=2
	s_or_b64 exec, exec, s[20:21]
	v_lshrrev_b64 v[2:3], 20, v[16:17]
	v_cmp_gt_i32_e32 vcc, 16, v1
	v_cndmask_b32_e32 v3, 0, v3, vcc
	v_cndmask_b32_e32 v2, 7, v2, vcc
	v_cmp_eq_u32_e32 vcc, 0, v1
	v_min_i32_e32 v1, 15, v1
	v_cmp_eq_u64_e64 s[20:21], 0, v[2:3]
	v_lshlrev_b32_e32 v1, 3, v1
	v_and_b32_e32 v1, 0xf8, v1
	v_and_or_b32 v1, v2, 7, v1
	s_and_b64 s[20:21], vcc, s[20:21]
	v_cndmask_b32_e64 v1, v1, 0, s[20:21]
	v_or_b32_e32 v0, v1, v0
	buffer_store_dword v0, off, s[0:3], s33 offset:300 ; 4-byte Folded Spill
.LBB6_13479:                            ;   in Loop: Header=BB6_12355 Depth=2
	s_or_b64 exec, exec, s[88:89]
                                        ; implicit-def: $vgpr0
.LBB6_13480:                            ;   in Loop: Header=BB6_12355 Depth=2
	s_andn2_saveexec_b64 s[20:21], s[78:79]
	s_cbranch_execz .LBB6_13482
; %bb.13481:                            ;   in Loop: Header=BB6_12355 Depth=2
	v_or_b32_e32 v0, 0x7e, v0
	buffer_store_dword v0, off, s[0:3], s33 offset:300 ; 4-byte Folded Spill
.LBB6_13482:                            ;   in Loop: Header=BB6_12355 Depth=2
	s_or_b64 exec, exec, s[20:21]
                                        ; implicit-def: $vgpr1
.LBB6_13483:                            ;   in Loop: Header=BB6_12355 Depth=2
	s_andn2_saveexec_b64 s[20:21], s[76:77]
	s_cbranch_execz .LBB6_13485
; %bb.13484:                            ;   in Loop: Header=BB6_12355 Depth=2
	v_or_b32_sdwa v0, v1, s39 dst_sel:DWORD dst_unused:UNUSED_PAD src0_sel:BYTE_3 src1_sel:DWORD
	buffer_store_dword v0, off, s[0:3], s33 offset:300 ; 4-byte Folded Spill
.LBB6_13485:                            ;   in Loop: Header=BB6_12355 Depth=2
	s_or_b64 exec, exec, s[20:21]
	v_cmp_lt_u32_e32 vcc, s61, v10
	v_mov_b32_e32 v0, 0
	s_and_saveexec_b64 s[20:21], vcc
	s_cbranch_execz .LBB6_13491
; %bb.13486:                            ;   in Loop: Header=BB6_12355 Depth=2
	v_lshrrev_b32_e32 v16, 24, v10
	v_cmp_ne_u32_e32 vcc, s48, v16
	v_bfrev_b32_e32 v0, 1
	s_and_saveexec_b64 s[76:77], vcc
	s_cbranch_execz .LBB6_13490
; %bb.13487:                            ;   in Loop: Header=BB6_12355 Depth=2
	v_bfe_u32 v1, v10, 24, 7
	v_cmp_ne_u32_e32 vcc, s39, v1
	v_mov_b32_e32 v0, 0x7f800001
	s_and_saveexec_b64 s[78:79], vcc
	s_cbranch_execz .LBB6_13489
; %bb.13488:                            ;   in Loop: Header=BB6_12355 Depth=2
	v_and_b32_e32 v2, 7, v16
	v_ffbh_u32_e32 v0, v2
	v_min_u32_e32 v4, 32, v0
	v_subrev_u32_e32 v0, 28, v4
	v_lshrrev_b32_e32 v3, 3, v1
	v_cmp_gt_u32_e32 vcc, 8, v1
	v_lshlrev_b64 v[0:1], v0, v[16:17]
	v_sub_u32_e32 v1, 29, v4
	v_and_b32_e32 v0, 7, v0
	v_cndmask_b32_e32 v1, v3, v1, vcc
	v_cndmask_b32_e32 v0, v2, v0, vcc
	v_lshlrev_b32_e32 v2, 24, v16
	v_bfrev_b32_e32 v3, 60
	v_lshlrev_b32_e32 v0, 20, v0
	v_and_b32_e32 v2, 0x80000000, v2
	v_lshl_add_u32 v1, v1, 23, v3
	v_or3_b32 v0, v2, v1, v0
.LBB6_13489:                            ;   in Loop: Header=BB6_12355 Depth=2
	s_or_b64 exec, exec, s[78:79]
.LBB6_13490:                            ;   in Loop: Header=BB6_12355 Depth=2
	s_or_b64 exec, exec, s[76:77]
.LBB6_13491:                            ;   in Loop: Header=BB6_12355 Depth=2
	s_or_b64 exec, exec, s[20:21]
	v_mul_f32_e32 v1, v19, v0
	v_and_b32_e32 v52, 0x7f800000, v1
	v_cmp_ne_u64_e32 vcc, s[46:47], v[52:53]
                                        ; implicit-def: $vgpr0
                                        ; kill: killed $vgpr0
	s_and_saveexec_b64 s[20:21], vcc
	s_xor_b64 s[76:77], exec, s[20:21]
	s_cbranch_execz .LBB6_13505
; %bb.13492:                            ;   in Loop: Header=BB6_12355 Depth=2
	v_and_b32_e32 v52, 0x7fffffff, v1
	v_cmp_gt_u64_e32 vcc, s[56:57], v[52:53]
	v_and_b32_sdwa v0, v1, s48 dst_sel:DWORD dst_unused:UNUSED_PAD src0_sel:BYTE_3 src1_sel:DWORD
                                        ; implicit-def: $vgpr2
                                        ; kill: killed $vgpr2
	s_and_saveexec_b64 s[20:21], vcc
	s_xor_b64 s[78:79], exec, s[20:21]
	s_cbranch_execz .LBB6_13502
; %bb.13493:                            ;   in Loop: Header=BB6_12355 Depth=2
	v_mov_b32_e32 v2, 0
	v_cmp_ne_u32_e32 vcc, 0, v1
	buffer_store_dword v2, off, s[0:3], s33 offset:304 ; 4-byte Folded Spill
	s_and_saveexec_b64 s[88:89], vcc
	s_cbranch_execz .LBB6_13501
; %bb.13494:                            ;   in Loop: Header=BB6_12355 Depth=2
	v_and_b32_e32 v3, 0x7fffff, v1
	v_bfe_u32 v1, v1, 23, 8
	v_cmp_gt_u32_e64 s[20:21], s49, v1
	v_sub_u32_e32 v2, 0x79, v1
	v_cmp_eq_u32_e32 vcc, 0, v1
	v_cndmask_b32_e64 v2, 0, v2, s[20:21]
	v_mov_b32_e32 v5, 0x78
	v_or_b32_e32 v4, 0x800000, v3
	v_cndmask_b32_e32 v2, v2, v5, vcc
	v_cndmask_b32_e32 v52, v4, v3, vcc
	v_add_u32_e32 v3, 20, v2
	v_lshlrev_b64 v[3:4], v3, -1
	v_add_u32_e32 v5, 19, v2
	v_lshlrev_b64 v[5:6], v5, 1
	v_lshrrev_b64 v[16:17], v2, v[52:53]
	v_bfi_b32 v4, v4, 0, 0
	v_bfi_b32 v3, v3, 0, v52
	v_cmp_eq_u64_e64 s[20:21], v[3:4], v[5:6]
	v_mov_b32_e32 v18, v17
	v_mov_b32_e32 v17, v16
	s_and_saveexec_b64 s[90:91], s[20:21]
; %bb.13495:                            ;   in Loop: Header=BB6_12355 Depth=2
	v_bfe_u32 v3, v16, 20, 1
	v_add_co_u32_e64 v3, s[20:21], v16, v3
	v_add_co_u32_e64 v17, s[20:21], -1, v3
; %bb.13496:                            ;   in Loop: Header=BB6_12355 Depth=2
	s_or_b64 exec, exec, s[90:91]
	v_add_u32_e32 v1, 0xffffff81, v1
	v_mov_b32_e32 v3, 0xffffff82
	v_cndmask_b32_e32 v1, v1, v3, vcc
	v_lshrrev_b32_e32 v3, 23, v16
	v_add3_u32 v3, v2, v1, v3
	v_add_u32_e32 v2, 6, v3
	v_and_b32_e32 v1, 0xfffff, v17
	v_add_u32_e32 v52, v1, v16
	v_cmp_ne_u32_e32 vcc, 0, v2
                                        ; implicit-def: $vgpr16_vgpr17
                                        ; implicit-def: $vgpr1
	s_and_saveexec_b64 s[20:21], vcc
	s_xor_b64 s[20:21], exec, s[20:21]
; %bb.13497:                            ;   in Loop: Header=BB6_12355 Depth=2
	v_cmp_lt_u64_e32 vcc, s[58:59], v[52:53]
	v_add_u32_e32 v1, 7, v3
	v_cndmask_b32_e32 v1, v2, v1, vcc
	v_cndmask_b32_e64 v2, 0, 1, vcc
	v_lshrrev_b64 v[16:17], v2, v[52:53]
; %bb.13498:                            ;   in Loop: Header=BB6_12355 Depth=2
	s_andn2_saveexec_b64 s[20:21], s[20:21]
; %bb.13499:                            ;   in Loop: Header=BB6_12355 Depth=2
	v_mov_b32_e32 v16, v52
	v_bfe_u32 v1, v52, 23, 1
	v_mov_b32_e32 v17, v53
; %bb.13500:                            ;   in Loop: Header=BB6_12355 Depth=2
	s_or_b64 exec, exec, s[20:21]
	v_lshrrev_b64 v[2:3], 20, v[16:17]
	v_cmp_gt_i32_e32 vcc, 16, v1
	v_cndmask_b32_e32 v3, 0, v3, vcc
	v_cndmask_b32_e32 v2, 7, v2, vcc
	v_cmp_eq_u32_e32 vcc, 0, v1
	v_min_i32_e32 v1, 15, v1
	v_cmp_eq_u64_e64 s[20:21], 0, v[2:3]
	v_lshlrev_b32_e32 v1, 3, v1
	v_and_b32_e32 v1, 0xf8, v1
	v_and_or_b32 v1, v2, 7, v1
	s_and_b64 s[20:21], vcc, s[20:21]
	v_cndmask_b32_e64 v1, v1, 0, s[20:21]
	v_or_b32_e32 v0, v1, v0
	buffer_store_dword v0, off, s[0:3], s33 offset:304 ; 4-byte Folded Spill
.LBB6_13501:                            ;   in Loop: Header=BB6_12355 Depth=2
	s_or_b64 exec, exec, s[88:89]
                                        ; implicit-def: $vgpr0
.LBB6_13502:                            ;   in Loop: Header=BB6_12355 Depth=2
	s_andn2_saveexec_b64 s[20:21], s[78:79]
	s_cbranch_execz .LBB6_13504
; %bb.13503:                            ;   in Loop: Header=BB6_12355 Depth=2
	v_or_b32_e32 v0, 0x7e, v0
	buffer_store_dword v0, off, s[0:3], s33 offset:304 ; 4-byte Folded Spill
.LBB6_13504:                            ;   in Loop: Header=BB6_12355 Depth=2
	s_or_b64 exec, exec, s[20:21]
                                        ; implicit-def: $vgpr1
.LBB6_13505:                            ;   in Loop: Header=BB6_12355 Depth=2
	s_andn2_saveexec_b64 s[20:21], s[76:77]
	s_cbranch_execz .LBB6_13507
; %bb.13506:                            ;   in Loop: Header=BB6_12355 Depth=2
	v_or_b32_sdwa v0, v1, s39 dst_sel:DWORD dst_unused:UNUSED_PAD src0_sel:BYTE_3 src1_sel:DWORD
	buffer_store_dword v0, off, s[0:3], s33 offset:304 ; 4-byte Folded Spill
.LBB6_13507:                            ;   in Loop: Header=BB6_12355 Depth=2
	s_or_b64 exec, exec, s[20:21]
	v_mov_b32_e32 v52, v11
	v_cmp_ne_u16_sdwa s[76:77], v11, v53 src0_sel:BYTE_0 src1_sel:DWORD
	v_mov_b32_e32 v0, 0
	s_and_saveexec_b64 s[20:21], s[76:77]
	s_cbranch_execz .LBB6_13513
; %bb.13508:                            ;   in Loop: Header=BB6_12355 Depth=2
	v_cmp_ne_u16_sdwa s[78:79], v11, s48 src0_sel:BYTE_0 src1_sel:DWORD
	v_bfrev_b32_e32 v0, 1
	s_and_saveexec_b64 s[76:77], s[78:79]
	s_cbranch_execz .LBB6_13512
; %bb.13509:                            ;   in Loop: Header=BB6_12355 Depth=2
	v_and_b32_e32 v1, 0x7f, v11
	v_cmp_ne_u32_e32 vcc, s39, v1
	v_mov_b32_e32 v0, 0x7f800001
	s_and_saveexec_b64 s[78:79], vcc
	s_cbranch_execz .LBB6_13511
; %bb.13510:                            ;   in Loop: Header=BB6_12355 Depth=2
	v_and_b32_e32 v0, 7, v11
	v_ffbh_u32_e32 v0, v0
	v_min_u32_e32 v0, 32, v0
	v_lshrrev_b32_e32 v2, 3, v1
	v_cmp_gt_u32_e32 vcc, 8, v1
	v_subrev_u32_e32 v1, 28, v0
	v_sub_u32_e32 v0, 29, v0
	v_cndmask_b32_e32 v2, v2, v0, vcc
	v_cndmask_b32_e32 v0, 0, v1, vcc
	v_lshlrev_b64 v[0:1], v0, v[52:53]
	v_lshlrev_b32_e32 v1, 24, v52
	v_lshlrev_b32_e32 v0, 20, v0
	v_bfrev_b32_e32 v3, 60
	v_and_b32_e32 v0, 0x700000, v0
	v_and_b32_e32 v1, 0x80000000, v1
	v_lshl_add_u32 v2, v2, 23, v3
	v_or3_b32 v0, v1, v2, v0
.LBB6_13511:                            ;   in Loop: Header=BB6_12355 Depth=2
	s_or_b64 exec, exec, s[78:79]
.LBB6_13512:                            ;   in Loop: Header=BB6_12355 Depth=2
	s_or_b64 exec, exec, s[76:77]
.LBB6_13513:                            ;   in Loop: Header=BB6_12355 Depth=2
	s_or_b64 exec, exec, s[20:21]
	v_mul_f32_e32 v1, v19, v0
	v_and_b32_e32 v2, 0x7f800000, v1
	v_mov_b32_e32 v3, v53
	v_cmp_ne_u64_e32 vcc, s[46:47], v[2:3]
                                        ; implicit-def: $vgpr0
                                        ; kill: killed $vgpr0
	s_and_saveexec_b64 s[20:21], vcc
	s_xor_b64 s[76:77], exec, s[20:21]
	s_cbranch_execz .LBB6_13527
; %bb.13514:                            ;   in Loop: Header=BB6_12355 Depth=2
	v_and_b32_e32 v2, 0x7fffffff, v1
	v_mov_b32_e32 v3, v53
	v_cmp_gt_u64_e32 vcc, s[56:57], v[2:3]
	v_and_b32_sdwa v0, v1, s48 dst_sel:DWORD dst_unused:UNUSED_PAD src0_sel:BYTE_3 src1_sel:DWORD
                                        ; implicit-def: $vgpr2
                                        ; kill: killed $vgpr2
	s_and_saveexec_b64 s[20:21], vcc
	s_xor_b64 s[78:79], exec, s[20:21]
	s_cbranch_execz .LBB6_13524
; %bb.13515:                            ;   in Loop: Header=BB6_12355 Depth=2
	v_mov_b32_e32 v2, 0
	v_cmp_ne_u32_e32 vcc, 0, v1
	buffer_store_dword v2, off, s[0:3], s33 offset:308 ; 4-byte Folded Spill
	s_and_saveexec_b64 s[88:89], vcc
	s_cbranch_execz .LBB6_13523
; %bb.13516:                            ;   in Loop: Header=BB6_12355 Depth=2
	v_and_b32_e32 v3, 0x7fffff, v1
	v_bfe_u32 v1, v1, 23, 8
	v_cmp_gt_u32_e64 s[20:21], s49, v1
	v_sub_u32_e32 v2, 0x79, v1
	v_cmp_eq_u32_e32 vcc, 0, v1
	v_cndmask_b32_e64 v2, 0, v2, s[20:21]
	v_mov_b32_e32 v5, 0x78
	v_cndmask_b32_e32 v2, v2, v5, vcc
	v_add_u32_e32 v5, 20, v2
	v_or_b32_e32 v4, 0x800000, v3
	v_lshlrev_b64 v[5:6], v5, -1
	v_add_u32_e32 v7, 19, v2
	v_cndmask_b32_e32 v3, v4, v3, vcc
	v_lshlrev_b64 v[16:17], v7, 1
	v_mov_b32_e32 v4, v53
	v_bfi_b32 v6, v6, 0, 0
	v_bfi_b32 v5, v5, 0, v3
	v_cmp_eq_u64_e64 s[20:21], v[5:6], v[16:17]
	v_lshrrev_b64 v[16:17], v2, v[3:4]
	v_mov_b32_e32 v18, v17
	v_mov_b32_e32 v17, v16
	s_and_saveexec_b64 s[90:91], s[20:21]
; %bb.13517:                            ;   in Loop: Header=BB6_12355 Depth=2
	v_bfe_u32 v3, v16, 20, 1
	v_add_co_u32_e64 v3, s[20:21], v16, v3
	v_add_co_u32_e64 v17, s[20:21], -1, v3
; %bb.13518:                            ;   in Loop: Header=BB6_12355 Depth=2
	s_or_b64 exec, exec, s[90:91]
	v_add_u32_e32 v1, 0xffffff81, v1
	v_mov_b32_e32 v3, 0xffffff82
	v_cndmask_b32_e32 v1, v1, v3, vcc
	v_lshrrev_b32_e32 v3, 23, v16
	v_add3_u32 v3, v2, v1, v3
	v_add_u32_e32 v2, 6, v3
	v_and_b32_e32 v1, 0xfffff, v17
	v_add_u32_e32 v16, v1, v16
	v_mov_b32_e32 v17, v53
	v_cmp_ne_u32_e32 vcc, 0, v2
                                        ; implicit-def: $vgpr1
	s_and_saveexec_b64 s[20:21], vcc
	s_xor_b64 s[20:21], exec, s[20:21]
; %bb.13519:                            ;   in Loop: Header=BB6_12355 Depth=2
	v_cmp_lt_u64_e32 vcc, s[58:59], v[16:17]
	v_add_u32_e32 v1, 7, v3
	v_cndmask_b32_e32 v1, v2, v1, vcc
	v_cndmask_b32_e64 v2, 0, 1, vcc
	v_lshrrev_b64 v[16:17], v2, v[16:17]
; %bb.13520:                            ;   in Loop: Header=BB6_12355 Depth=2
	s_andn2_saveexec_b64 s[20:21], s[20:21]
; %bb.13521:                            ;   in Loop: Header=BB6_12355 Depth=2
	v_bfe_u32 v1, v16, 23, 1
; %bb.13522:                            ;   in Loop: Header=BB6_12355 Depth=2
	s_or_b64 exec, exec, s[20:21]
	v_lshrrev_b64 v[2:3], 20, v[16:17]
	v_cmp_gt_i32_e32 vcc, 16, v1
	v_cndmask_b32_e32 v3, 0, v3, vcc
	v_cndmask_b32_e32 v2, 7, v2, vcc
	v_cmp_eq_u32_e32 vcc, 0, v1
	v_min_i32_e32 v1, 15, v1
	v_cmp_eq_u64_e64 s[20:21], 0, v[2:3]
	v_lshlrev_b32_e32 v1, 3, v1
	v_and_b32_e32 v1, 0xf8, v1
	v_and_or_b32 v1, v2, 7, v1
	s_and_b64 s[20:21], vcc, s[20:21]
	v_cndmask_b32_e64 v1, v1, 0, s[20:21]
	v_or_b32_e32 v0, v1, v0
	buffer_store_dword v0, off, s[0:3], s33 offset:308 ; 4-byte Folded Spill
.LBB6_13523:                            ;   in Loop: Header=BB6_12355 Depth=2
	s_or_b64 exec, exec, s[88:89]
                                        ; implicit-def: $vgpr0
.LBB6_13524:                            ;   in Loop: Header=BB6_12355 Depth=2
	s_andn2_saveexec_b64 s[20:21], s[78:79]
	s_cbranch_execz .LBB6_13526
; %bb.13525:                            ;   in Loop: Header=BB6_12355 Depth=2
	v_or_b32_e32 v0, 0x7e, v0
	buffer_store_dword v0, off, s[0:3], s33 offset:308 ; 4-byte Folded Spill
.LBB6_13526:                            ;   in Loop: Header=BB6_12355 Depth=2
	s_or_b64 exec, exec, s[20:21]
                                        ; implicit-def: $vgpr1
.LBB6_13527:                            ;   in Loop: Header=BB6_12355 Depth=2
	s_andn2_saveexec_b64 s[20:21], s[76:77]
	s_cbranch_execz .LBB6_13529
; %bb.13528:                            ;   in Loop: Header=BB6_12355 Depth=2
	v_or_b32_sdwa v0, v1, s39 dst_sel:DWORD dst_unused:UNUSED_PAD src0_sel:BYTE_3 src1_sel:DWORD
	buffer_store_dword v0, off, s[0:3], s33 offset:308 ; 4-byte Folded Spill
.LBB6_13529:                            ;   in Loop: Header=BB6_12355 Depth=2
	s_or_b64 exec, exec, s[20:21]
	v_lshrrev_b16_e32 v16, 8, v52
	v_cmp_ne_u16_e32 vcc, 0, v16
	v_mov_b32_e32 v0, 0
	s_and_saveexec_b64 s[20:21], vcc
	s_cbranch_execz .LBB6_13535
; %bb.13530:                            ;   in Loop: Header=BB6_12355 Depth=2
	v_cmp_ne_u16_e32 vcc, s48, v16
	v_bfrev_b32_e32 v0, 1
	s_and_saveexec_b64 s[76:77], vcc
	s_cbranch_execz .LBB6_13534
; %bb.13531:                            ;   in Loop: Header=BB6_12355 Depth=2
	v_and_b32_e32 v1, 0x7f, v16
	v_cmp_ne_u32_e32 vcc, s39, v1
	v_mov_b32_e32 v0, 0x7f800001
	s_and_saveexec_b64 s[78:79], vcc
	s_cbranch_execz .LBB6_13533
; %bb.13532:                            ;   in Loop: Header=BB6_12355 Depth=2
	v_and_b32_e32 v2, 7, v16
	v_ffbh_u32_e32 v0, v2
	v_min_u32_e32 v4, 32, v0
	v_subrev_u32_e32 v0, 28, v4
	v_lshrrev_b32_e32 v3, 3, v1
	v_cmp_gt_u32_e32 vcc, 8, v1
	v_lshlrev_b64 v[0:1], v0, v[16:17]
	v_sub_u32_e32 v1, 29, v4
	v_and_b32_e32 v0, 7, v0
	v_cndmask_b32_e32 v1, v3, v1, vcc
	v_cndmask_b32_e32 v0, v2, v0, vcc
	v_lshlrev_b32_e32 v2, 16, v52
	v_bfrev_b32_e32 v3, 60
	v_lshlrev_b32_e32 v0, 20, v0
	v_and_b32_e32 v2, 0x80000000, v2
	v_lshl_add_u32 v1, v1, 23, v3
	v_or3_b32 v0, v2, v1, v0
.LBB6_13533:                            ;   in Loop: Header=BB6_12355 Depth=2
	s_or_b64 exec, exec, s[78:79]
.LBB6_13534:                            ;   in Loop: Header=BB6_12355 Depth=2
	s_or_b64 exec, exec, s[76:77]
.LBB6_13535:                            ;   in Loop: Header=BB6_12355 Depth=2
	s_or_b64 exec, exec, s[20:21]
	v_mul_f32_e32 v1, v19, v0
	v_and_b32_e32 v52, 0x7f800000, v1
	v_cmp_ne_u64_e32 vcc, s[46:47], v[52:53]
                                        ; implicit-def: $vgpr0
                                        ; kill: killed $vgpr0
	s_and_saveexec_b64 s[20:21], vcc
	s_xor_b64 s[76:77], exec, s[20:21]
	s_cbranch_execz .LBB6_13549
; %bb.13536:                            ;   in Loop: Header=BB6_12355 Depth=2
	v_and_b32_e32 v52, 0x7fffffff, v1
	v_cmp_gt_u64_e32 vcc, s[56:57], v[52:53]
	v_and_b32_sdwa v0, v1, s48 dst_sel:DWORD dst_unused:UNUSED_PAD src0_sel:BYTE_3 src1_sel:DWORD
                                        ; implicit-def: $vgpr2
                                        ; kill: killed $vgpr2
	s_and_saveexec_b64 s[20:21], vcc
	s_xor_b64 s[78:79], exec, s[20:21]
	s_cbranch_execz .LBB6_13546
; %bb.13537:                            ;   in Loop: Header=BB6_12355 Depth=2
	v_mov_b32_e32 v2, 0
	v_cmp_ne_u32_e32 vcc, 0, v1
	buffer_store_dword v2, off, s[0:3], s33 offset:312 ; 4-byte Folded Spill
	s_and_saveexec_b64 s[88:89], vcc
	s_cbranch_execz .LBB6_13545
; %bb.13538:                            ;   in Loop: Header=BB6_12355 Depth=2
	v_and_b32_e32 v3, 0x7fffff, v1
	v_bfe_u32 v1, v1, 23, 8
	v_cmp_gt_u32_e64 s[20:21], s49, v1
	v_sub_u32_e32 v2, 0x79, v1
	v_cmp_eq_u32_e32 vcc, 0, v1
	v_cndmask_b32_e64 v2, 0, v2, s[20:21]
	v_mov_b32_e32 v5, 0x78
	v_or_b32_e32 v4, 0x800000, v3
	v_cndmask_b32_e32 v2, v2, v5, vcc
	v_cndmask_b32_e32 v52, v4, v3, vcc
	v_add_u32_e32 v3, 20, v2
	v_lshlrev_b64 v[3:4], v3, -1
	v_add_u32_e32 v5, 19, v2
	v_lshlrev_b64 v[5:6], v5, 1
	v_lshrrev_b64 v[16:17], v2, v[52:53]
	v_bfi_b32 v4, v4, 0, 0
	v_bfi_b32 v3, v3, 0, v52
	v_cmp_eq_u64_e64 s[20:21], v[3:4], v[5:6]
	v_mov_b32_e32 v18, v17
	v_mov_b32_e32 v17, v16
	s_and_saveexec_b64 s[90:91], s[20:21]
; %bb.13539:                            ;   in Loop: Header=BB6_12355 Depth=2
	v_bfe_u32 v3, v16, 20, 1
	v_add_co_u32_e64 v3, s[20:21], v16, v3
	v_add_co_u32_e64 v17, s[20:21], -1, v3
; %bb.13540:                            ;   in Loop: Header=BB6_12355 Depth=2
	s_or_b64 exec, exec, s[90:91]
	v_add_u32_e32 v1, 0xffffff81, v1
	v_mov_b32_e32 v3, 0xffffff82
	v_cndmask_b32_e32 v1, v1, v3, vcc
	v_lshrrev_b32_e32 v3, 23, v16
	v_add3_u32 v3, v2, v1, v3
	v_add_u32_e32 v2, 6, v3
	v_and_b32_e32 v1, 0xfffff, v17
	v_add_u32_e32 v52, v1, v16
	v_cmp_ne_u32_e32 vcc, 0, v2
                                        ; implicit-def: $vgpr16_vgpr17
                                        ; implicit-def: $vgpr1
	s_and_saveexec_b64 s[20:21], vcc
	s_xor_b64 s[20:21], exec, s[20:21]
; %bb.13541:                            ;   in Loop: Header=BB6_12355 Depth=2
	v_cmp_lt_u64_e32 vcc, s[58:59], v[52:53]
	v_add_u32_e32 v1, 7, v3
	v_cndmask_b32_e32 v1, v2, v1, vcc
	v_cndmask_b32_e64 v2, 0, 1, vcc
	v_lshrrev_b64 v[16:17], v2, v[52:53]
; %bb.13542:                            ;   in Loop: Header=BB6_12355 Depth=2
	s_andn2_saveexec_b64 s[20:21], s[20:21]
; %bb.13543:                            ;   in Loop: Header=BB6_12355 Depth=2
	v_mov_b32_e32 v16, v52
	v_bfe_u32 v1, v52, 23, 1
	v_mov_b32_e32 v17, v53
; %bb.13544:                            ;   in Loop: Header=BB6_12355 Depth=2
	s_or_b64 exec, exec, s[20:21]
	v_lshrrev_b64 v[2:3], 20, v[16:17]
	v_cmp_gt_i32_e32 vcc, 16, v1
	v_cndmask_b32_e32 v3, 0, v3, vcc
	v_cndmask_b32_e32 v2, 7, v2, vcc
	v_cmp_eq_u32_e32 vcc, 0, v1
	v_min_i32_e32 v1, 15, v1
	v_cmp_eq_u64_e64 s[20:21], 0, v[2:3]
	v_lshlrev_b32_e32 v1, 3, v1
	v_and_b32_e32 v1, 0xf8, v1
	v_and_or_b32 v1, v2, 7, v1
	s_and_b64 s[20:21], vcc, s[20:21]
	v_cndmask_b32_e64 v1, v1, 0, s[20:21]
	v_or_b32_e32 v0, v1, v0
	buffer_store_dword v0, off, s[0:3], s33 offset:312 ; 4-byte Folded Spill
.LBB6_13545:                            ;   in Loop: Header=BB6_12355 Depth=2
	s_or_b64 exec, exec, s[88:89]
                                        ; implicit-def: $vgpr0
.LBB6_13546:                            ;   in Loop: Header=BB6_12355 Depth=2
	s_andn2_saveexec_b64 s[20:21], s[78:79]
	s_cbranch_execz .LBB6_13548
; %bb.13547:                            ;   in Loop: Header=BB6_12355 Depth=2
	v_or_b32_e32 v0, 0x7e, v0
	buffer_store_dword v0, off, s[0:3], s33 offset:312 ; 4-byte Folded Spill
.LBB6_13548:                            ;   in Loop: Header=BB6_12355 Depth=2
	s_or_b64 exec, exec, s[20:21]
                                        ; implicit-def: $vgpr1
.LBB6_13549:                            ;   in Loop: Header=BB6_12355 Depth=2
	s_andn2_saveexec_b64 s[20:21], s[76:77]
	s_cbranch_execz .LBB6_13551
; %bb.13550:                            ;   in Loop: Header=BB6_12355 Depth=2
	v_or_b32_sdwa v0, v1, s39 dst_sel:DWORD dst_unused:UNUSED_PAD src0_sel:BYTE_3 src1_sel:DWORD
	buffer_store_dword v0, off, s[0:3], s33 offset:312 ; 4-byte Folded Spill
.LBB6_13551:                            ;   in Loop: Header=BB6_12355 Depth=2
	s_or_b64 exec, exec, s[20:21]
	v_lshrrev_b32_e32 v16, 16, v11
	v_cmp_ne_u16_sdwa s[76:77], v16, v53 src0_sel:BYTE_0 src1_sel:DWORD
	v_mov_b32_e32 v0, 0
	s_and_saveexec_b64 s[20:21], s[76:77]
	s_cbranch_execz .LBB6_13557
; %bb.13552:                            ;   in Loop: Header=BB6_12355 Depth=2
	v_cmp_ne_u16_sdwa s[78:79], v16, s48 src0_sel:BYTE_0 src1_sel:DWORD
	v_bfrev_b32_e32 v0, 1
	s_and_saveexec_b64 s[76:77], s[78:79]
	s_cbranch_execz .LBB6_13556
; %bb.13553:                            ;   in Loop: Header=BB6_12355 Depth=2
	v_bfe_u32 v1, v11, 16, 7
	v_cmp_ne_u32_e32 vcc, s39, v1
	v_mov_b32_e32 v0, 0x7f800001
	s_and_saveexec_b64 s[78:79], vcc
	s_cbranch_execz .LBB6_13555
; %bb.13554:                            ;   in Loop: Header=BB6_12355 Depth=2
	v_and_b32_e32 v2, 7, v16
	v_ffbh_u32_e32 v0, v2
	v_min_u32_e32 v4, 32, v0
	v_subrev_u32_e32 v0, 28, v4
	v_lshrrev_b32_e32 v3, 3, v1
	v_cmp_gt_u32_e32 vcc, 8, v1
	v_lshlrev_b64 v[0:1], v0, v[16:17]
	v_sub_u32_e32 v1, 29, v4
	v_and_b32_e32 v0, 7, v0
	v_cndmask_b32_e32 v1, v3, v1, vcc
	v_cndmask_b32_e32 v0, v2, v0, vcc
	v_lshlrev_b32_e32 v2, 24, v16
	v_bfrev_b32_e32 v3, 60
	v_lshlrev_b32_e32 v0, 20, v0
	v_and_b32_e32 v2, 0x80000000, v2
	v_lshl_add_u32 v1, v1, 23, v3
	v_or3_b32 v0, v2, v1, v0
.LBB6_13555:                            ;   in Loop: Header=BB6_12355 Depth=2
	s_or_b64 exec, exec, s[78:79]
.LBB6_13556:                            ;   in Loop: Header=BB6_12355 Depth=2
	s_or_b64 exec, exec, s[76:77]
.LBB6_13557:                            ;   in Loop: Header=BB6_12355 Depth=2
	s_or_b64 exec, exec, s[20:21]
	v_mul_f32_e32 v1, v19, v0
	v_and_b32_e32 v52, 0x7f800000, v1
	v_cmp_ne_u64_e32 vcc, s[46:47], v[52:53]
                                        ; implicit-def: $vgpr0
                                        ; kill: killed $vgpr0
	s_and_saveexec_b64 s[20:21], vcc
	s_xor_b64 s[76:77], exec, s[20:21]
	s_cbranch_execz .LBB6_13571
; %bb.13558:                            ;   in Loop: Header=BB6_12355 Depth=2
	v_and_b32_e32 v52, 0x7fffffff, v1
	v_cmp_gt_u64_e32 vcc, s[56:57], v[52:53]
	v_and_b32_sdwa v0, v1, s48 dst_sel:DWORD dst_unused:UNUSED_PAD src0_sel:BYTE_3 src1_sel:DWORD
                                        ; implicit-def: $vgpr2
                                        ; kill: killed $vgpr2
	s_and_saveexec_b64 s[20:21], vcc
	s_xor_b64 s[78:79], exec, s[20:21]
	s_cbranch_execz .LBB6_13568
; %bb.13559:                            ;   in Loop: Header=BB6_12355 Depth=2
	v_mov_b32_e32 v2, 0
	v_cmp_ne_u32_e32 vcc, 0, v1
	buffer_store_dword v2, off, s[0:3], s33 offset:316 ; 4-byte Folded Spill
	s_and_saveexec_b64 s[88:89], vcc
	s_cbranch_execz .LBB6_13567
; %bb.13560:                            ;   in Loop: Header=BB6_12355 Depth=2
	v_and_b32_e32 v3, 0x7fffff, v1
	v_bfe_u32 v1, v1, 23, 8
	v_cmp_gt_u32_e64 s[20:21], s49, v1
	v_sub_u32_e32 v2, 0x79, v1
	v_cmp_eq_u32_e32 vcc, 0, v1
	v_cndmask_b32_e64 v2, 0, v2, s[20:21]
	v_mov_b32_e32 v5, 0x78
	v_or_b32_e32 v4, 0x800000, v3
	v_cndmask_b32_e32 v2, v2, v5, vcc
	v_cndmask_b32_e32 v52, v4, v3, vcc
	v_add_u32_e32 v3, 20, v2
	v_lshlrev_b64 v[3:4], v3, -1
	v_add_u32_e32 v5, 19, v2
	v_lshlrev_b64 v[5:6], v5, 1
	v_lshrrev_b64 v[16:17], v2, v[52:53]
	v_bfi_b32 v4, v4, 0, 0
	v_bfi_b32 v3, v3, 0, v52
	v_cmp_eq_u64_e64 s[20:21], v[3:4], v[5:6]
	v_mov_b32_e32 v18, v17
	v_mov_b32_e32 v17, v16
	s_and_saveexec_b64 s[90:91], s[20:21]
; %bb.13561:                            ;   in Loop: Header=BB6_12355 Depth=2
	v_bfe_u32 v3, v16, 20, 1
	v_add_co_u32_e64 v3, s[20:21], v16, v3
	v_add_co_u32_e64 v17, s[20:21], -1, v3
; %bb.13562:                            ;   in Loop: Header=BB6_12355 Depth=2
	s_or_b64 exec, exec, s[90:91]
	v_add_u32_e32 v1, 0xffffff81, v1
	v_mov_b32_e32 v3, 0xffffff82
	v_cndmask_b32_e32 v1, v1, v3, vcc
	v_lshrrev_b32_e32 v3, 23, v16
	v_add3_u32 v3, v2, v1, v3
	v_add_u32_e32 v2, 6, v3
	v_and_b32_e32 v1, 0xfffff, v17
	v_add_u32_e32 v52, v1, v16
	v_cmp_ne_u32_e32 vcc, 0, v2
                                        ; implicit-def: $vgpr16_vgpr17
                                        ; implicit-def: $vgpr1
	s_and_saveexec_b64 s[20:21], vcc
	s_xor_b64 s[20:21], exec, s[20:21]
; %bb.13563:                            ;   in Loop: Header=BB6_12355 Depth=2
	v_cmp_lt_u64_e32 vcc, s[58:59], v[52:53]
	v_add_u32_e32 v1, 7, v3
	v_cndmask_b32_e32 v1, v2, v1, vcc
	v_cndmask_b32_e64 v2, 0, 1, vcc
	v_lshrrev_b64 v[16:17], v2, v[52:53]
; %bb.13564:                            ;   in Loop: Header=BB6_12355 Depth=2
	s_andn2_saveexec_b64 s[20:21], s[20:21]
; %bb.13565:                            ;   in Loop: Header=BB6_12355 Depth=2
	v_mov_b32_e32 v16, v52
	v_bfe_u32 v1, v52, 23, 1
	v_mov_b32_e32 v17, v53
; %bb.13566:                            ;   in Loop: Header=BB6_12355 Depth=2
	s_or_b64 exec, exec, s[20:21]
	v_lshrrev_b64 v[2:3], 20, v[16:17]
	v_cmp_gt_i32_e32 vcc, 16, v1
	v_cndmask_b32_e32 v3, 0, v3, vcc
	v_cndmask_b32_e32 v2, 7, v2, vcc
	v_cmp_eq_u32_e32 vcc, 0, v1
	v_min_i32_e32 v1, 15, v1
	v_cmp_eq_u64_e64 s[20:21], 0, v[2:3]
	v_lshlrev_b32_e32 v1, 3, v1
	v_and_b32_e32 v1, 0xf8, v1
	v_and_or_b32 v1, v2, 7, v1
	s_and_b64 s[20:21], vcc, s[20:21]
	v_cndmask_b32_e64 v1, v1, 0, s[20:21]
	v_or_b32_e32 v0, v1, v0
	buffer_store_dword v0, off, s[0:3], s33 offset:316 ; 4-byte Folded Spill
.LBB6_13567:                            ;   in Loop: Header=BB6_12355 Depth=2
	s_or_b64 exec, exec, s[88:89]
                                        ; implicit-def: $vgpr0
.LBB6_13568:                            ;   in Loop: Header=BB6_12355 Depth=2
	s_andn2_saveexec_b64 s[20:21], s[78:79]
	s_cbranch_execz .LBB6_13570
; %bb.13569:                            ;   in Loop: Header=BB6_12355 Depth=2
	v_or_b32_e32 v0, 0x7e, v0
	buffer_store_dword v0, off, s[0:3], s33 offset:316 ; 4-byte Folded Spill
.LBB6_13570:                            ;   in Loop: Header=BB6_12355 Depth=2
	s_or_b64 exec, exec, s[20:21]
                                        ; implicit-def: $vgpr1
.LBB6_13571:                            ;   in Loop: Header=BB6_12355 Depth=2
	s_andn2_saveexec_b64 s[20:21], s[76:77]
	s_cbranch_execz .LBB6_13573
; %bb.13572:                            ;   in Loop: Header=BB6_12355 Depth=2
	v_or_b32_sdwa v0, v1, s39 dst_sel:DWORD dst_unused:UNUSED_PAD src0_sel:BYTE_3 src1_sel:DWORD
	buffer_store_dword v0, off, s[0:3], s33 offset:316 ; 4-byte Folded Spill
.LBB6_13573:                            ;   in Loop: Header=BB6_12355 Depth=2
	s_or_b64 exec, exec, s[20:21]
	v_cmp_lt_u64_e32 vcc, s[60:61], v[10:11]
	v_mov_b32_e32 v0, 0
	s_and_saveexec_b64 s[20:21], vcc
	s_cbranch_execz .LBB6_13579
; %bb.13574:                            ;   in Loop: Header=BB6_12355 Depth=2
	v_lshrrev_b32_e32 v10, 24, v11
	v_cmp_ne_u32_e32 vcc, s48, v10
	v_bfrev_b32_e32 v0, 1
	s_and_saveexec_b64 s[76:77], vcc
	s_cbranch_execz .LBB6_13578
; %bb.13575:                            ;   in Loop: Header=BB6_12355 Depth=2
	v_bfe_u32 v1, v11, 24, 7
	v_cmp_ne_u32_e32 vcc, s39, v1
	v_mov_b32_e32 v0, 0x7f800001
	s_and_saveexec_b64 s[78:79], vcc
	s_cbranch_execz .LBB6_13577
; %bb.13576:                            ;   in Loop: Header=BB6_12355 Depth=2
	v_and_b32_e32 v2, 7, v10
	v_ffbh_u32_e32 v0, v2
	v_min_u32_e32 v4, 32, v0
	v_subrev_u32_e32 v0, 28, v4
	v_lshrrev_b32_e32 v3, 3, v1
	v_cmp_gt_u32_e32 vcc, 8, v1
	v_lshlrev_b64 v[0:1], v0, v[10:11]
	v_sub_u32_e32 v1, 29, v4
	v_and_b32_e32 v0, 7, v0
	v_cndmask_b32_e32 v1, v3, v1, vcc
	v_cndmask_b32_e32 v0, v2, v0, vcc
	v_lshlrev_b32_e32 v2, 24, v10
	v_bfrev_b32_e32 v3, 60
	v_lshlrev_b32_e32 v0, 20, v0
	v_and_b32_e32 v2, 0x80000000, v2
	v_lshl_add_u32 v1, v1, 23, v3
	v_or3_b32 v0, v2, v1, v0
.LBB6_13577:                            ;   in Loop: Header=BB6_12355 Depth=2
	s_or_b64 exec, exec, s[78:79]
.LBB6_13578:                            ;   in Loop: Header=BB6_12355 Depth=2
	s_or_b64 exec, exec, s[76:77]
.LBB6_13579:                            ;   in Loop: Header=BB6_12355 Depth=2
	s_or_b64 exec, exec, s[20:21]
	v_mul_f32_e32 v1, v19, v0
	v_and_b32_e32 v52, 0x7f800000, v1
	v_cmp_ne_u64_e32 vcc, s[46:47], v[52:53]
                                        ; implicit-def: $vgpr0
                                        ; kill: killed $vgpr0
	s_and_saveexec_b64 s[20:21], vcc
	s_xor_b64 s[76:77], exec, s[20:21]
	s_cbranch_execz .LBB6_13593
; %bb.13580:                            ;   in Loop: Header=BB6_12355 Depth=2
	v_and_b32_e32 v52, 0x7fffffff, v1
	v_cmp_gt_u64_e32 vcc, s[56:57], v[52:53]
	v_and_b32_sdwa v0, v1, s48 dst_sel:DWORD dst_unused:UNUSED_PAD src0_sel:BYTE_3 src1_sel:DWORD
                                        ; implicit-def: $vgpr2
                                        ; kill: killed $vgpr2
	s_and_saveexec_b64 s[20:21], vcc
	s_xor_b64 s[78:79], exec, s[20:21]
	s_cbranch_execz .LBB6_13590
; %bb.13581:                            ;   in Loop: Header=BB6_12355 Depth=2
	v_mov_b32_e32 v2, 0
	v_cmp_ne_u32_e32 vcc, 0, v1
	buffer_store_dword v2, off, s[0:3], s33 offset:324 ; 4-byte Folded Spill
	s_and_saveexec_b64 s[88:89], vcc
	s_cbranch_execz .LBB6_13589
; %bb.13582:                            ;   in Loop: Header=BB6_12355 Depth=2
	v_and_b32_e32 v3, 0x7fffff, v1
	v_bfe_u32 v1, v1, 23, 8
	v_cmp_gt_u32_e64 s[20:21], s49, v1
	v_sub_u32_e32 v2, 0x79, v1
	v_cmp_eq_u32_e32 vcc, 0, v1
	v_cndmask_b32_e64 v2, 0, v2, s[20:21]
	v_mov_b32_e32 v5, 0x78
	v_or_b32_e32 v4, 0x800000, v3
	v_cndmask_b32_e32 v2, v2, v5, vcc
	v_cndmask_b32_e32 v52, v4, v3, vcc
	v_add_u32_e32 v3, 20, v2
	v_lshlrev_b64 v[3:4], v3, -1
	v_add_u32_e32 v5, 19, v2
	v_lshlrev_b64 v[5:6], v5, 1
	v_lshrrev_b64 v[10:11], v2, v[52:53]
	v_bfi_b32 v4, v4, 0, 0
	v_bfi_b32 v3, v3, 0, v52
	v_cmp_eq_u64_e64 s[20:21], v[3:4], v[5:6]
	v_mov_b32_e32 v17, v11
	v_mov_b32_e32 v16, v10
	s_and_saveexec_b64 s[90:91], s[20:21]
; %bb.13583:                            ;   in Loop: Header=BB6_12355 Depth=2
	v_bfe_u32 v3, v10, 20, 1
	v_add_co_u32_e64 v3, s[20:21], v10, v3
	v_add_co_u32_e64 v16, s[20:21], -1, v3
; %bb.13584:                            ;   in Loop: Header=BB6_12355 Depth=2
	s_or_b64 exec, exec, s[90:91]
	v_add_u32_e32 v1, 0xffffff81, v1
	v_mov_b32_e32 v3, 0xffffff82
	v_cndmask_b32_e32 v1, v1, v3, vcc
	v_lshrrev_b32_e32 v3, 23, v10
	v_add3_u32 v3, v2, v1, v3
	v_add_u32_e32 v2, 6, v3
	v_and_b32_e32 v1, 0xfffff, v16
	v_add_u32_e32 v52, v1, v10
	v_cmp_ne_u32_e32 vcc, 0, v2
                                        ; implicit-def: $vgpr10_vgpr11
                                        ; implicit-def: $vgpr1
	s_and_saveexec_b64 s[20:21], vcc
	s_xor_b64 s[20:21], exec, s[20:21]
; %bb.13585:                            ;   in Loop: Header=BB6_12355 Depth=2
	v_cmp_lt_u64_e32 vcc, s[58:59], v[52:53]
	v_add_u32_e32 v1, 7, v3
	v_cndmask_b32_e32 v1, v2, v1, vcc
	v_cndmask_b32_e64 v2, 0, 1, vcc
	v_lshrrev_b64 v[10:11], v2, v[52:53]
; %bb.13586:                            ;   in Loop: Header=BB6_12355 Depth=2
	s_andn2_saveexec_b64 s[20:21], s[20:21]
; %bb.13587:                            ;   in Loop: Header=BB6_12355 Depth=2
	v_mov_b32_e32 v10, v52
	v_bfe_u32 v1, v52, 23, 1
	v_mov_b32_e32 v11, v53
; %bb.13588:                            ;   in Loop: Header=BB6_12355 Depth=2
	s_or_b64 exec, exec, s[20:21]
	v_lshrrev_b64 v[2:3], 20, v[10:11]
	v_cmp_gt_i32_e32 vcc, 16, v1
	v_cndmask_b32_e32 v3, 0, v3, vcc
	v_cndmask_b32_e32 v2, 7, v2, vcc
	v_cmp_eq_u32_e32 vcc, 0, v1
	v_min_i32_e32 v1, 15, v1
	v_cmp_eq_u64_e64 s[20:21], 0, v[2:3]
	v_lshlrev_b32_e32 v1, 3, v1
	v_and_b32_e32 v1, 0xf8, v1
	v_and_or_b32 v1, v2, 7, v1
	s_and_b64 s[20:21], vcc, s[20:21]
	v_cndmask_b32_e64 v1, v1, 0, s[20:21]
	v_or_b32_e32 v0, v1, v0
	buffer_store_dword v0, off, s[0:3], s33 offset:324 ; 4-byte Folded Spill
.LBB6_13589:                            ;   in Loop: Header=BB6_12355 Depth=2
	s_or_b64 exec, exec, s[88:89]
                                        ; implicit-def: $vgpr0
.LBB6_13590:                            ;   in Loop: Header=BB6_12355 Depth=2
	s_andn2_saveexec_b64 s[20:21], s[78:79]
	s_cbranch_execz .LBB6_13592
; %bb.13591:                            ;   in Loop: Header=BB6_12355 Depth=2
	v_or_b32_e32 v0, 0x7e, v0
	buffer_store_dword v0, off, s[0:3], s33 offset:324 ; 4-byte Folded Spill
.LBB6_13592:                            ;   in Loop: Header=BB6_12355 Depth=2
	s_or_b64 exec, exec, s[20:21]
                                        ; implicit-def: $vgpr1
.LBB6_13593:                            ;   in Loop: Header=BB6_12355 Depth=2
	s_andn2_saveexec_b64 s[20:21], s[76:77]
	s_cbranch_execz .LBB6_13595
; %bb.13594:                            ;   in Loop: Header=BB6_12355 Depth=2
	v_or_b32_sdwa v0, v1, s39 dst_sel:DWORD dst_unused:UNUSED_PAD src0_sel:BYTE_3 src1_sel:DWORD
	buffer_store_dword v0, off, s[0:3], s33 offset:324 ; 4-byte Folded Spill
.LBB6_13595:                            ;   in Loop: Header=BB6_12355 Depth=2
	s_or_b64 exec, exec, s[20:21]
	v_cmp_ne_u16_sdwa s[76:77], v12, v53 src0_sel:BYTE_0 src1_sel:DWORD
	v_mov_b32_e32 v0, 0
	s_and_saveexec_b64 s[20:21], s[76:77]
	s_cbranch_execz .LBB6_13601
; %bb.13596:                            ;   in Loop: Header=BB6_12355 Depth=2
	v_cmp_ne_u16_sdwa s[78:79], v12, s48 src0_sel:BYTE_0 src1_sel:DWORD
	v_bfrev_b32_e32 v0, 1
	s_and_saveexec_b64 s[76:77], s[78:79]
	s_cbranch_execz .LBB6_13600
; %bb.13597:                            ;   in Loop: Header=BB6_12355 Depth=2
	v_and_b32_e32 v1, 0x7f, v12
	v_cmp_ne_u32_e32 vcc, s39, v1
	v_mov_b32_e32 v0, 0x7f800001
	s_and_saveexec_b64 s[78:79], vcc
	s_cbranch_execz .LBB6_13599
; %bb.13598:                            ;   in Loop: Header=BB6_12355 Depth=2
	v_and_b32_e32 v0, 7, v12
	v_ffbh_u32_e32 v0, v0
	v_min_u32_e32 v0, 32, v0
	v_lshrrev_b32_e32 v2, 3, v1
	v_cmp_gt_u32_e32 vcc, 8, v1
	v_subrev_u32_e32 v1, 28, v0
	v_sub_u32_e32 v0, 29, v0
	v_cndmask_b32_e32 v2, v2, v0, vcc
	v_cndmask_b32_e32 v0, 0, v1, vcc
	v_lshlrev_b64 v[0:1], v0, v[12:13]
	v_lshlrev_b32_e32 v1, 24, v12
	v_lshlrev_b32_e32 v0, 20, v0
	v_bfrev_b32_e32 v3, 60
	v_and_b32_e32 v0, 0x700000, v0
	v_and_b32_e32 v1, 0x80000000, v1
	v_lshl_add_u32 v2, v2, 23, v3
	v_or3_b32 v0, v1, v2, v0
.LBB6_13599:                            ;   in Loop: Header=BB6_12355 Depth=2
	s_or_b64 exec, exec, s[78:79]
.LBB6_13600:                            ;   in Loop: Header=BB6_12355 Depth=2
	s_or_b64 exec, exec, s[76:77]
.LBB6_13601:                            ;   in Loop: Header=BB6_12355 Depth=2
	s_or_b64 exec, exec, s[20:21]
	v_mul_f32_e32 v1, v19, v0
	v_and_b32_e32 v52, 0x7f800000, v1
	v_cmp_ne_u64_e32 vcc, s[46:47], v[52:53]
                                        ; implicit-def: $vgpr0
                                        ; kill: killed $vgpr0
	s_and_saveexec_b64 s[20:21], vcc
	s_xor_b64 s[76:77], exec, s[20:21]
	s_cbranch_execz .LBB6_13615
; %bb.13602:                            ;   in Loop: Header=BB6_12355 Depth=2
	v_and_b32_e32 v52, 0x7fffffff, v1
	v_cmp_gt_u64_e32 vcc, s[56:57], v[52:53]
	v_and_b32_sdwa v0, v1, s48 dst_sel:DWORD dst_unused:UNUSED_PAD src0_sel:BYTE_3 src1_sel:DWORD
                                        ; implicit-def: $vgpr2
                                        ; kill: killed $vgpr2
	s_and_saveexec_b64 s[20:21], vcc
	s_xor_b64 s[78:79], exec, s[20:21]
	s_cbranch_execz .LBB6_13612
; %bb.13603:                            ;   in Loop: Header=BB6_12355 Depth=2
	v_mov_b32_e32 v2, 0
	v_cmp_ne_u32_e32 vcc, 0, v1
	buffer_store_dword v2, off, s[0:3], s33 offset:332 ; 4-byte Folded Spill
	s_and_saveexec_b64 s[88:89], vcc
	s_cbranch_execz .LBB6_13611
; %bb.13604:                            ;   in Loop: Header=BB6_12355 Depth=2
	v_and_b32_e32 v3, 0x7fffff, v1
	v_bfe_u32 v1, v1, 23, 8
	v_cmp_gt_u32_e64 s[20:21], s49, v1
	v_sub_u32_e32 v2, 0x79, v1
	v_cmp_eq_u32_e32 vcc, 0, v1
	v_cndmask_b32_e64 v2, 0, v2, s[20:21]
	v_mov_b32_e32 v5, 0x78
	v_or_b32_e32 v4, 0x800000, v3
	v_cndmask_b32_e32 v2, v2, v5, vcc
	v_cndmask_b32_e32 v52, v4, v3, vcc
	v_add_u32_e32 v3, 20, v2
	v_lshlrev_b64 v[3:4], v3, -1
	v_add_u32_e32 v5, 19, v2
	v_lshlrev_b64 v[5:6], v5, 1
	v_lshrrev_b64 v[10:11], v2, v[52:53]
	v_bfi_b32 v4, v4, 0, 0
	v_bfi_b32 v3, v3, 0, v52
	v_cmp_eq_u64_e64 s[20:21], v[3:4], v[5:6]
	v_mov_b32_e32 v17, v11
	v_mov_b32_e32 v16, v10
	s_and_saveexec_b64 s[90:91], s[20:21]
; %bb.13605:                            ;   in Loop: Header=BB6_12355 Depth=2
	v_bfe_u32 v3, v10, 20, 1
	v_add_co_u32_e64 v3, s[20:21], v10, v3
	v_add_co_u32_e64 v16, s[20:21], -1, v3
; %bb.13606:                            ;   in Loop: Header=BB6_12355 Depth=2
	s_or_b64 exec, exec, s[90:91]
	v_add_u32_e32 v1, 0xffffff81, v1
	v_mov_b32_e32 v3, 0xffffff82
	v_cndmask_b32_e32 v1, v1, v3, vcc
	v_lshrrev_b32_e32 v3, 23, v10
	v_add3_u32 v3, v2, v1, v3
	v_add_u32_e32 v2, 6, v3
	v_and_b32_e32 v1, 0xfffff, v16
	v_add_u32_e32 v52, v1, v10
	v_cmp_ne_u32_e32 vcc, 0, v2
                                        ; implicit-def: $vgpr10_vgpr11
                                        ; implicit-def: $vgpr1
	s_and_saveexec_b64 s[20:21], vcc
	s_xor_b64 s[20:21], exec, s[20:21]
; %bb.13607:                            ;   in Loop: Header=BB6_12355 Depth=2
	v_cmp_lt_u64_e32 vcc, s[58:59], v[52:53]
	v_add_u32_e32 v1, 7, v3
	v_cndmask_b32_e32 v1, v2, v1, vcc
	v_cndmask_b32_e64 v2, 0, 1, vcc
	v_lshrrev_b64 v[10:11], v2, v[52:53]
; %bb.13608:                            ;   in Loop: Header=BB6_12355 Depth=2
	s_andn2_saveexec_b64 s[20:21], s[20:21]
; %bb.13609:                            ;   in Loop: Header=BB6_12355 Depth=2
	v_mov_b32_e32 v10, v52
	v_bfe_u32 v1, v52, 23, 1
	v_mov_b32_e32 v11, v53
; %bb.13610:                            ;   in Loop: Header=BB6_12355 Depth=2
	s_or_b64 exec, exec, s[20:21]
	v_lshrrev_b64 v[2:3], 20, v[10:11]
	v_cmp_gt_i32_e32 vcc, 16, v1
	v_cndmask_b32_e32 v3, 0, v3, vcc
	v_cndmask_b32_e32 v2, 7, v2, vcc
	v_cmp_eq_u32_e32 vcc, 0, v1
	v_min_i32_e32 v1, 15, v1
	v_cmp_eq_u64_e64 s[20:21], 0, v[2:3]
	v_lshlrev_b32_e32 v1, 3, v1
	v_and_b32_e32 v1, 0xf8, v1
	v_and_or_b32 v1, v2, 7, v1
	s_and_b64 s[20:21], vcc, s[20:21]
	v_cndmask_b32_e64 v1, v1, 0, s[20:21]
	v_or_b32_e32 v0, v1, v0
	buffer_store_dword v0, off, s[0:3], s33 offset:332 ; 4-byte Folded Spill
.LBB6_13611:                            ;   in Loop: Header=BB6_12355 Depth=2
	s_or_b64 exec, exec, s[88:89]
                                        ; implicit-def: $vgpr0
.LBB6_13612:                            ;   in Loop: Header=BB6_12355 Depth=2
	s_andn2_saveexec_b64 s[20:21], s[78:79]
	s_cbranch_execz .LBB6_13614
; %bb.13613:                            ;   in Loop: Header=BB6_12355 Depth=2
	v_or_b32_e32 v0, 0x7e, v0
	buffer_store_dword v0, off, s[0:3], s33 offset:332 ; 4-byte Folded Spill
.LBB6_13614:                            ;   in Loop: Header=BB6_12355 Depth=2
	s_or_b64 exec, exec, s[20:21]
                                        ; implicit-def: $vgpr1
.LBB6_13615:                            ;   in Loop: Header=BB6_12355 Depth=2
	s_andn2_saveexec_b64 s[20:21], s[76:77]
	s_cbranch_execz .LBB6_13617
; %bb.13616:                            ;   in Loop: Header=BB6_12355 Depth=2
	v_or_b32_sdwa v0, v1, s39 dst_sel:DWORD dst_unused:UNUSED_PAD src0_sel:BYTE_3 src1_sel:DWORD
	buffer_store_dword v0, off, s[0:3], s33 offset:332 ; 4-byte Folded Spill
.LBB6_13617:                            ;   in Loop: Header=BB6_12355 Depth=2
	s_or_b64 exec, exec, s[20:21]
	v_lshrrev_b16_e32 v10, 8, v12
	v_cmp_ne_u16_e32 vcc, 0, v10
	v_mov_b32_e32 v0, 0
	s_and_saveexec_b64 s[20:21], vcc
	s_cbranch_execz .LBB6_13623
; %bb.13618:                            ;   in Loop: Header=BB6_12355 Depth=2
	v_cmp_ne_u16_e32 vcc, s48, v10
	v_bfrev_b32_e32 v0, 1
	s_and_saveexec_b64 s[76:77], vcc
	s_cbranch_execz .LBB6_13622
; %bb.13619:                            ;   in Loop: Header=BB6_12355 Depth=2
	v_and_b32_e32 v1, 0x7f, v10
	v_cmp_ne_u32_e32 vcc, s39, v1
	v_mov_b32_e32 v0, 0x7f800001
	s_and_saveexec_b64 s[78:79], vcc
	s_cbranch_execz .LBB6_13621
; %bb.13620:                            ;   in Loop: Header=BB6_12355 Depth=2
	v_and_b32_e32 v2, 7, v10
	v_ffbh_u32_e32 v0, v2
	v_min_u32_e32 v4, 32, v0
	v_subrev_u32_e32 v0, 28, v4
	v_lshrrev_b32_e32 v3, 3, v1
	v_cmp_gt_u32_e32 vcc, 8, v1
	v_lshlrev_b64 v[0:1], v0, v[10:11]
	v_sub_u32_e32 v1, 29, v4
	v_and_b32_e32 v0, 7, v0
	v_cndmask_b32_e32 v1, v3, v1, vcc
	v_cndmask_b32_e32 v0, v2, v0, vcc
	v_lshlrev_b32_e32 v2, 16, v12
	v_bfrev_b32_e32 v3, 60
	v_lshlrev_b32_e32 v0, 20, v0
	v_and_b32_e32 v2, 0x80000000, v2
	v_lshl_add_u32 v1, v1, 23, v3
	v_or3_b32 v0, v2, v1, v0
.LBB6_13621:                            ;   in Loop: Header=BB6_12355 Depth=2
	s_or_b64 exec, exec, s[78:79]
.LBB6_13622:                            ;   in Loop: Header=BB6_12355 Depth=2
	s_or_b64 exec, exec, s[76:77]
.LBB6_13623:                            ;   in Loop: Header=BB6_12355 Depth=2
	s_or_b64 exec, exec, s[20:21]
	v_mul_f32_e32 v1, v19, v0
	v_and_b32_e32 v52, 0x7f800000, v1
	v_cmp_ne_u64_e32 vcc, s[46:47], v[52:53]
                                        ; implicit-def: $vgpr0
                                        ; kill: killed $vgpr0
	s_and_saveexec_b64 s[20:21], vcc
	s_xor_b64 s[76:77], exec, s[20:21]
	s_cbranch_execz .LBB6_13637
; %bb.13624:                            ;   in Loop: Header=BB6_12355 Depth=2
	v_and_b32_e32 v52, 0x7fffffff, v1
	v_cmp_gt_u64_e32 vcc, s[56:57], v[52:53]
	v_and_b32_sdwa v0, v1, s48 dst_sel:DWORD dst_unused:UNUSED_PAD src0_sel:BYTE_3 src1_sel:DWORD
                                        ; implicit-def: $vgpr2
                                        ; kill: killed $vgpr2
	s_and_saveexec_b64 s[20:21], vcc
	s_xor_b64 s[78:79], exec, s[20:21]
	s_cbranch_execz .LBB6_13634
; %bb.13625:                            ;   in Loop: Header=BB6_12355 Depth=2
	v_mov_b32_e32 v2, 0
	v_cmp_ne_u32_e32 vcc, 0, v1
	buffer_store_dword v2, off, s[0:3], s33 offset:336 ; 4-byte Folded Spill
	s_and_saveexec_b64 s[88:89], vcc
	s_cbranch_execz .LBB6_13633
; %bb.13626:                            ;   in Loop: Header=BB6_12355 Depth=2
	v_and_b32_e32 v3, 0x7fffff, v1
	v_bfe_u32 v1, v1, 23, 8
	v_cmp_gt_u32_e64 s[20:21], s49, v1
	v_sub_u32_e32 v2, 0x79, v1
	v_cmp_eq_u32_e32 vcc, 0, v1
	v_cndmask_b32_e64 v2, 0, v2, s[20:21]
	v_mov_b32_e32 v5, 0x78
	v_or_b32_e32 v4, 0x800000, v3
	v_cndmask_b32_e32 v2, v2, v5, vcc
	v_cndmask_b32_e32 v52, v4, v3, vcc
	v_add_u32_e32 v3, 20, v2
	v_lshlrev_b64 v[3:4], v3, -1
	v_add_u32_e32 v5, 19, v2
	v_lshlrev_b64 v[5:6], v5, 1
	v_lshrrev_b64 v[10:11], v2, v[52:53]
	v_bfi_b32 v4, v4, 0, 0
	v_bfi_b32 v3, v3, 0, v52
	v_cmp_eq_u64_e64 s[20:21], v[3:4], v[5:6]
	v_mov_b32_e32 v17, v11
	v_mov_b32_e32 v16, v10
	s_and_saveexec_b64 s[90:91], s[20:21]
; %bb.13627:                            ;   in Loop: Header=BB6_12355 Depth=2
	v_bfe_u32 v3, v10, 20, 1
	v_add_co_u32_e64 v3, s[20:21], v10, v3
	v_add_co_u32_e64 v16, s[20:21], -1, v3
; %bb.13628:                            ;   in Loop: Header=BB6_12355 Depth=2
	s_or_b64 exec, exec, s[90:91]
	v_add_u32_e32 v1, 0xffffff81, v1
	v_mov_b32_e32 v3, 0xffffff82
	v_cndmask_b32_e32 v1, v1, v3, vcc
	v_lshrrev_b32_e32 v3, 23, v10
	v_add3_u32 v3, v2, v1, v3
	v_add_u32_e32 v2, 6, v3
	v_and_b32_e32 v1, 0xfffff, v16
	v_add_u32_e32 v52, v1, v10
	v_cmp_ne_u32_e32 vcc, 0, v2
                                        ; implicit-def: $vgpr10_vgpr11
                                        ; implicit-def: $vgpr1
	s_and_saveexec_b64 s[20:21], vcc
	s_xor_b64 s[20:21], exec, s[20:21]
; %bb.13629:                            ;   in Loop: Header=BB6_12355 Depth=2
	v_cmp_lt_u64_e32 vcc, s[58:59], v[52:53]
	v_add_u32_e32 v1, 7, v3
	v_cndmask_b32_e32 v1, v2, v1, vcc
	v_cndmask_b32_e64 v2, 0, 1, vcc
	v_lshrrev_b64 v[10:11], v2, v[52:53]
; %bb.13630:                            ;   in Loop: Header=BB6_12355 Depth=2
	s_andn2_saveexec_b64 s[20:21], s[20:21]
; %bb.13631:                            ;   in Loop: Header=BB6_12355 Depth=2
	v_mov_b32_e32 v10, v52
	v_bfe_u32 v1, v52, 23, 1
	v_mov_b32_e32 v11, v53
; %bb.13632:                            ;   in Loop: Header=BB6_12355 Depth=2
	s_or_b64 exec, exec, s[20:21]
	v_lshrrev_b64 v[2:3], 20, v[10:11]
	v_cmp_gt_i32_e32 vcc, 16, v1
	v_cndmask_b32_e32 v3, 0, v3, vcc
	v_cndmask_b32_e32 v2, 7, v2, vcc
	v_cmp_eq_u32_e32 vcc, 0, v1
	v_min_i32_e32 v1, 15, v1
	v_cmp_eq_u64_e64 s[20:21], 0, v[2:3]
	v_lshlrev_b32_e32 v1, 3, v1
	v_and_b32_e32 v1, 0xf8, v1
	v_and_or_b32 v1, v2, 7, v1
	s_and_b64 s[20:21], vcc, s[20:21]
	v_cndmask_b32_e64 v1, v1, 0, s[20:21]
	v_or_b32_e32 v0, v1, v0
	buffer_store_dword v0, off, s[0:3], s33 offset:336 ; 4-byte Folded Spill
.LBB6_13633:                            ;   in Loop: Header=BB6_12355 Depth=2
	s_or_b64 exec, exec, s[88:89]
                                        ; implicit-def: $vgpr0
.LBB6_13634:                            ;   in Loop: Header=BB6_12355 Depth=2
	s_andn2_saveexec_b64 s[20:21], s[78:79]
	s_cbranch_execz .LBB6_13636
; %bb.13635:                            ;   in Loop: Header=BB6_12355 Depth=2
	v_or_b32_e32 v0, 0x7e, v0
	buffer_store_dword v0, off, s[0:3], s33 offset:336 ; 4-byte Folded Spill
.LBB6_13636:                            ;   in Loop: Header=BB6_12355 Depth=2
	s_or_b64 exec, exec, s[20:21]
                                        ; implicit-def: $vgpr1
.LBB6_13637:                            ;   in Loop: Header=BB6_12355 Depth=2
	s_andn2_saveexec_b64 s[20:21], s[76:77]
	s_cbranch_execz .LBB6_13639
; %bb.13638:                            ;   in Loop: Header=BB6_12355 Depth=2
	v_or_b32_sdwa v0, v1, s39 dst_sel:DWORD dst_unused:UNUSED_PAD src0_sel:BYTE_3 src1_sel:DWORD
	buffer_store_dword v0, off, s[0:3], s33 offset:336 ; 4-byte Folded Spill
.LBB6_13639:                            ;   in Loop: Header=BB6_12355 Depth=2
	s_or_b64 exec, exec, s[20:21]
	v_lshrrev_b32_e32 v10, 16, v12
	v_cmp_ne_u16_sdwa s[76:77], v10, v53 src0_sel:BYTE_0 src1_sel:DWORD
	v_mov_b32_e32 v0, 0
	s_and_saveexec_b64 s[20:21], s[76:77]
	s_cbranch_execz .LBB6_13645
; %bb.13640:                            ;   in Loop: Header=BB6_12355 Depth=2
	v_cmp_ne_u16_sdwa s[78:79], v10, s48 src0_sel:BYTE_0 src1_sel:DWORD
	v_bfrev_b32_e32 v0, 1
	s_and_saveexec_b64 s[76:77], s[78:79]
	s_cbranch_execz .LBB6_13644
; %bb.13641:                            ;   in Loop: Header=BB6_12355 Depth=2
	v_bfe_u32 v1, v12, 16, 7
	v_cmp_ne_u32_e32 vcc, s39, v1
	v_mov_b32_e32 v0, 0x7f800001
	s_and_saveexec_b64 s[78:79], vcc
	s_cbranch_execz .LBB6_13643
; %bb.13642:                            ;   in Loop: Header=BB6_12355 Depth=2
	v_and_b32_e32 v2, 7, v10
	v_ffbh_u32_e32 v0, v2
	v_min_u32_e32 v4, 32, v0
	v_subrev_u32_e32 v0, 28, v4
	v_lshrrev_b32_e32 v3, 3, v1
	v_cmp_gt_u32_e32 vcc, 8, v1
	v_lshlrev_b64 v[0:1], v0, v[10:11]
	v_sub_u32_e32 v1, 29, v4
	v_and_b32_e32 v0, 7, v0
	v_cndmask_b32_e32 v1, v3, v1, vcc
	v_cndmask_b32_e32 v0, v2, v0, vcc
	v_lshlrev_b32_e32 v2, 24, v10
	v_bfrev_b32_e32 v3, 60
	v_lshlrev_b32_e32 v0, 20, v0
	v_and_b32_e32 v2, 0x80000000, v2
	v_lshl_add_u32 v1, v1, 23, v3
	v_or3_b32 v0, v2, v1, v0
.LBB6_13643:                            ;   in Loop: Header=BB6_12355 Depth=2
	s_or_b64 exec, exec, s[78:79]
.LBB6_13644:                            ;   in Loop: Header=BB6_12355 Depth=2
	s_or_b64 exec, exec, s[76:77]
.LBB6_13645:                            ;   in Loop: Header=BB6_12355 Depth=2
	s_or_b64 exec, exec, s[20:21]
	v_mul_f32_e32 v1, v19, v0
	v_and_b32_e32 v52, 0x7f800000, v1
	v_cmp_ne_u64_e32 vcc, s[46:47], v[52:53]
                                        ; implicit-def: $vgpr0
                                        ; kill: killed $vgpr0
	s_and_saveexec_b64 s[20:21], vcc
	s_xor_b64 s[76:77], exec, s[20:21]
	s_cbranch_execz .LBB6_13659
; %bb.13646:                            ;   in Loop: Header=BB6_12355 Depth=2
	v_and_b32_e32 v52, 0x7fffffff, v1
	v_cmp_gt_u64_e32 vcc, s[56:57], v[52:53]
	v_and_b32_sdwa v0, v1, s48 dst_sel:DWORD dst_unused:UNUSED_PAD src0_sel:BYTE_3 src1_sel:DWORD
                                        ; implicit-def: $vgpr2
                                        ; kill: killed $vgpr2
	s_and_saveexec_b64 s[20:21], vcc
	s_xor_b64 s[78:79], exec, s[20:21]
	s_cbranch_execz .LBB6_13656
; %bb.13647:                            ;   in Loop: Header=BB6_12355 Depth=2
	v_mov_b32_e32 v2, 0
	v_cmp_ne_u32_e32 vcc, 0, v1
	buffer_store_dword v2, off, s[0:3], s33 offset:340 ; 4-byte Folded Spill
	s_and_saveexec_b64 s[88:89], vcc
	s_cbranch_execz .LBB6_13655
; %bb.13648:                            ;   in Loop: Header=BB6_12355 Depth=2
	v_and_b32_e32 v3, 0x7fffff, v1
	v_bfe_u32 v1, v1, 23, 8
	v_cmp_gt_u32_e64 s[20:21], s49, v1
	v_sub_u32_e32 v2, 0x79, v1
	v_cmp_eq_u32_e32 vcc, 0, v1
	v_cndmask_b32_e64 v2, 0, v2, s[20:21]
	v_mov_b32_e32 v5, 0x78
	v_or_b32_e32 v4, 0x800000, v3
	v_cndmask_b32_e32 v2, v2, v5, vcc
	v_cndmask_b32_e32 v52, v4, v3, vcc
	v_add_u32_e32 v3, 20, v2
	v_lshlrev_b64 v[3:4], v3, -1
	v_add_u32_e32 v5, 19, v2
	v_lshlrev_b64 v[5:6], v5, 1
	v_lshrrev_b64 v[10:11], v2, v[52:53]
	v_bfi_b32 v4, v4, 0, 0
	v_bfi_b32 v3, v3, 0, v52
	v_cmp_eq_u64_e64 s[20:21], v[3:4], v[5:6]
	v_mov_b32_e32 v17, v11
	v_mov_b32_e32 v16, v10
	s_and_saveexec_b64 s[90:91], s[20:21]
; %bb.13649:                            ;   in Loop: Header=BB6_12355 Depth=2
	v_bfe_u32 v3, v10, 20, 1
	v_add_co_u32_e64 v3, s[20:21], v10, v3
	v_add_co_u32_e64 v16, s[20:21], -1, v3
; %bb.13650:                            ;   in Loop: Header=BB6_12355 Depth=2
	s_or_b64 exec, exec, s[90:91]
	v_add_u32_e32 v1, 0xffffff81, v1
	v_mov_b32_e32 v3, 0xffffff82
	v_cndmask_b32_e32 v1, v1, v3, vcc
	v_lshrrev_b32_e32 v3, 23, v10
	v_add3_u32 v3, v2, v1, v3
	v_add_u32_e32 v2, 6, v3
	v_and_b32_e32 v1, 0xfffff, v16
	v_add_u32_e32 v52, v1, v10
	v_cmp_ne_u32_e32 vcc, 0, v2
                                        ; implicit-def: $vgpr10_vgpr11
                                        ; implicit-def: $vgpr1
	s_and_saveexec_b64 s[20:21], vcc
	s_xor_b64 s[20:21], exec, s[20:21]
; %bb.13651:                            ;   in Loop: Header=BB6_12355 Depth=2
	v_cmp_lt_u64_e32 vcc, s[58:59], v[52:53]
	v_add_u32_e32 v1, 7, v3
	v_cndmask_b32_e32 v1, v2, v1, vcc
	v_cndmask_b32_e64 v2, 0, 1, vcc
	v_lshrrev_b64 v[10:11], v2, v[52:53]
; %bb.13652:                            ;   in Loop: Header=BB6_12355 Depth=2
	s_andn2_saveexec_b64 s[20:21], s[20:21]
; %bb.13653:                            ;   in Loop: Header=BB6_12355 Depth=2
	v_mov_b32_e32 v10, v52
	v_bfe_u32 v1, v52, 23, 1
	v_mov_b32_e32 v11, v53
; %bb.13654:                            ;   in Loop: Header=BB6_12355 Depth=2
	s_or_b64 exec, exec, s[20:21]
	v_lshrrev_b64 v[2:3], 20, v[10:11]
	v_cmp_gt_i32_e32 vcc, 16, v1
	v_cndmask_b32_e32 v3, 0, v3, vcc
	v_cndmask_b32_e32 v2, 7, v2, vcc
	v_cmp_eq_u32_e32 vcc, 0, v1
	v_min_i32_e32 v1, 15, v1
	v_cmp_eq_u64_e64 s[20:21], 0, v[2:3]
	v_lshlrev_b32_e32 v1, 3, v1
	v_and_b32_e32 v1, 0xf8, v1
	v_and_or_b32 v1, v2, 7, v1
	s_and_b64 s[20:21], vcc, s[20:21]
	v_cndmask_b32_e64 v1, v1, 0, s[20:21]
	v_or_b32_e32 v0, v1, v0
	buffer_store_dword v0, off, s[0:3], s33 offset:340 ; 4-byte Folded Spill
.LBB6_13655:                            ;   in Loop: Header=BB6_12355 Depth=2
	s_or_b64 exec, exec, s[88:89]
                                        ; implicit-def: $vgpr0
.LBB6_13656:                            ;   in Loop: Header=BB6_12355 Depth=2
	s_andn2_saveexec_b64 s[20:21], s[78:79]
	s_cbranch_execz .LBB6_13658
; %bb.13657:                            ;   in Loop: Header=BB6_12355 Depth=2
	v_or_b32_e32 v0, 0x7e, v0
	buffer_store_dword v0, off, s[0:3], s33 offset:340 ; 4-byte Folded Spill
.LBB6_13658:                            ;   in Loop: Header=BB6_12355 Depth=2
	s_or_b64 exec, exec, s[20:21]
                                        ; implicit-def: $vgpr1
.LBB6_13659:                            ;   in Loop: Header=BB6_12355 Depth=2
	s_andn2_saveexec_b64 s[20:21], s[76:77]
	s_cbranch_execz .LBB6_13661
; %bb.13660:                            ;   in Loop: Header=BB6_12355 Depth=2
	v_or_b32_sdwa v0, v1, s39 dst_sel:DWORD dst_unused:UNUSED_PAD src0_sel:BYTE_3 src1_sel:DWORD
	buffer_store_dword v0, off, s[0:3], s33 offset:340 ; 4-byte Folded Spill
.LBB6_13661:                            ;   in Loop: Header=BB6_12355 Depth=2
	s_or_b64 exec, exec, s[20:21]
	v_cmp_lt_u32_e32 vcc, s61, v12
	v_mov_b32_e32 v0, 0
	s_and_saveexec_b64 s[20:21], vcc
	s_cbranch_execz .LBB6_13667
; %bb.13662:                            ;   in Loop: Header=BB6_12355 Depth=2
	v_lshrrev_b32_e32 v10, 24, v12
	v_cmp_ne_u32_e32 vcc, s48, v10
	v_bfrev_b32_e32 v0, 1
	s_and_saveexec_b64 s[76:77], vcc
	s_cbranch_execz .LBB6_13666
; %bb.13663:                            ;   in Loop: Header=BB6_12355 Depth=2
	v_bfe_u32 v1, v12, 24, 7
	v_cmp_ne_u32_e32 vcc, s39, v1
	v_mov_b32_e32 v0, 0x7f800001
	s_and_saveexec_b64 s[78:79], vcc
	s_cbranch_execz .LBB6_13665
; %bb.13664:                            ;   in Loop: Header=BB6_12355 Depth=2
	v_and_b32_e32 v2, 7, v10
	v_ffbh_u32_e32 v0, v2
	v_min_u32_e32 v4, 32, v0
	v_subrev_u32_e32 v0, 28, v4
	v_lshrrev_b32_e32 v3, 3, v1
	v_cmp_gt_u32_e32 vcc, 8, v1
	v_lshlrev_b64 v[0:1], v0, v[10:11]
	v_sub_u32_e32 v1, 29, v4
	v_and_b32_e32 v0, 7, v0
	v_cndmask_b32_e32 v1, v3, v1, vcc
	v_cndmask_b32_e32 v0, v2, v0, vcc
	v_lshlrev_b32_e32 v2, 24, v10
	v_bfrev_b32_e32 v3, 60
	v_lshlrev_b32_e32 v0, 20, v0
	v_and_b32_e32 v2, 0x80000000, v2
	v_lshl_add_u32 v1, v1, 23, v3
	v_or3_b32 v0, v2, v1, v0
.LBB6_13665:                            ;   in Loop: Header=BB6_12355 Depth=2
	s_or_b64 exec, exec, s[78:79]
.LBB6_13666:                            ;   in Loop: Header=BB6_12355 Depth=2
	s_or_b64 exec, exec, s[76:77]
.LBB6_13667:                            ;   in Loop: Header=BB6_12355 Depth=2
	s_or_b64 exec, exec, s[20:21]
	v_mul_f32_e32 v1, v19, v0
	v_and_b32_e32 v52, 0x7f800000, v1
	v_cmp_ne_u64_e32 vcc, s[46:47], v[52:53]
                                        ; implicit-def: $vgpr0
                                        ; kill: killed $vgpr0
	s_and_saveexec_b64 s[20:21], vcc
	s_xor_b64 s[76:77], exec, s[20:21]
	s_cbranch_execz .LBB6_13681
; %bb.13668:                            ;   in Loop: Header=BB6_12355 Depth=2
	v_and_b32_e32 v52, 0x7fffffff, v1
	v_cmp_gt_u64_e32 vcc, s[56:57], v[52:53]
	v_and_b32_sdwa v0, v1, s48 dst_sel:DWORD dst_unused:UNUSED_PAD src0_sel:BYTE_3 src1_sel:DWORD
                                        ; implicit-def: $vgpr2
                                        ; kill: killed $vgpr2
	s_and_saveexec_b64 s[20:21], vcc
	s_xor_b64 s[78:79], exec, s[20:21]
	s_cbranch_execz .LBB6_13678
; %bb.13669:                            ;   in Loop: Header=BB6_12355 Depth=2
	v_mov_b32_e32 v2, 0
	v_cmp_ne_u32_e32 vcc, 0, v1
	buffer_store_dword v2, off, s[0:3], s33 offset:344 ; 4-byte Folded Spill
	s_and_saveexec_b64 s[88:89], vcc
	s_cbranch_execz .LBB6_13677
; %bb.13670:                            ;   in Loop: Header=BB6_12355 Depth=2
	v_and_b32_e32 v3, 0x7fffff, v1
	v_bfe_u32 v1, v1, 23, 8
	v_cmp_gt_u32_e64 s[20:21], s49, v1
	v_sub_u32_e32 v2, 0x79, v1
	v_cmp_eq_u32_e32 vcc, 0, v1
	v_cndmask_b32_e64 v2, 0, v2, s[20:21]
	v_mov_b32_e32 v5, 0x78
	v_or_b32_e32 v4, 0x800000, v3
	v_cndmask_b32_e32 v2, v2, v5, vcc
	v_cndmask_b32_e32 v52, v4, v3, vcc
	v_add_u32_e32 v3, 20, v2
	v_lshlrev_b64 v[3:4], v3, -1
	v_add_u32_e32 v5, 19, v2
	v_lshlrev_b64 v[5:6], v5, 1
	v_lshrrev_b64 v[10:11], v2, v[52:53]
	v_bfi_b32 v4, v4, 0, 0
	v_bfi_b32 v3, v3, 0, v52
	v_cmp_eq_u64_e64 s[20:21], v[3:4], v[5:6]
	v_mov_b32_e32 v17, v11
	v_mov_b32_e32 v16, v10
	s_and_saveexec_b64 s[90:91], s[20:21]
; %bb.13671:                            ;   in Loop: Header=BB6_12355 Depth=2
	v_bfe_u32 v3, v10, 20, 1
	v_add_co_u32_e64 v3, s[20:21], v10, v3
	v_add_co_u32_e64 v16, s[20:21], -1, v3
; %bb.13672:                            ;   in Loop: Header=BB6_12355 Depth=2
	s_or_b64 exec, exec, s[90:91]
	v_add_u32_e32 v1, 0xffffff81, v1
	v_mov_b32_e32 v3, 0xffffff82
	v_cndmask_b32_e32 v1, v1, v3, vcc
	v_lshrrev_b32_e32 v3, 23, v10
	v_add3_u32 v3, v2, v1, v3
	v_add_u32_e32 v2, 6, v3
	v_and_b32_e32 v1, 0xfffff, v16
	v_add_u32_e32 v52, v1, v10
	v_cmp_ne_u32_e32 vcc, 0, v2
                                        ; implicit-def: $vgpr10_vgpr11
                                        ; implicit-def: $vgpr1
	s_and_saveexec_b64 s[20:21], vcc
	s_xor_b64 s[20:21], exec, s[20:21]
; %bb.13673:                            ;   in Loop: Header=BB6_12355 Depth=2
	v_cmp_lt_u64_e32 vcc, s[58:59], v[52:53]
	v_add_u32_e32 v1, 7, v3
	v_cndmask_b32_e32 v1, v2, v1, vcc
	v_cndmask_b32_e64 v2, 0, 1, vcc
	v_lshrrev_b64 v[10:11], v2, v[52:53]
; %bb.13674:                            ;   in Loop: Header=BB6_12355 Depth=2
	s_andn2_saveexec_b64 s[20:21], s[20:21]
; %bb.13675:                            ;   in Loop: Header=BB6_12355 Depth=2
	v_mov_b32_e32 v10, v52
	v_bfe_u32 v1, v52, 23, 1
	v_mov_b32_e32 v11, v53
; %bb.13676:                            ;   in Loop: Header=BB6_12355 Depth=2
	s_or_b64 exec, exec, s[20:21]
	v_lshrrev_b64 v[2:3], 20, v[10:11]
	v_cmp_gt_i32_e32 vcc, 16, v1
	v_cndmask_b32_e32 v3, 0, v3, vcc
	v_cndmask_b32_e32 v2, 7, v2, vcc
	v_cmp_eq_u32_e32 vcc, 0, v1
	v_min_i32_e32 v1, 15, v1
	v_cmp_eq_u64_e64 s[20:21], 0, v[2:3]
	v_lshlrev_b32_e32 v1, 3, v1
	v_and_b32_e32 v1, 0xf8, v1
	v_and_or_b32 v1, v2, 7, v1
	s_and_b64 s[20:21], vcc, s[20:21]
	v_cndmask_b32_e64 v1, v1, 0, s[20:21]
	v_or_b32_e32 v0, v1, v0
	buffer_store_dword v0, off, s[0:3], s33 offset:344 ; 4-byte Folded Spill
.LBB6_13677:                            ;   in Loop: Header=BB6_12355 Depth=2
	s_or_b64 exec, exec, s[88:89]
                                        ; implicit-def: $vgpr0
.LBB6_13678:                            ;   in Loop: Header=BB6_12355 Depth=2
	s_andn2_saveexec_b64 s[20:21], s[78:79]
	s_cbranch_execz .LBB6_13680
; %bb.13679:                            ;   in Loop: Header=BB6_12355 Depth=2
	v_or_b32_e32 v0, 0x7e, v0
	buffer_store_dword v0, off, s[0:3], s33 offset:344 ; 4-byte Folded Spill
.LBB6_13680:                            ;   in Loop: Header=BB6_12355 Depth=2
	s_or_b64 exec, exec, s[20:21]
                                        ; implicit-def: $vgpr1
.LBB6_13681:                            ;   in Loop: Header=BB6_12355 Depth=2
	s_andn2_saveexec_b64 s[20:21], s[76:77]
	s_cbranch_execz .LBB6_13683
; %bb.13682:                            ;   in Loop: Header=BB6_12355 Depth=2
	v_or_b32_sdwa v0, v1, s39 dst_sel:DWORD dst_unused:UNUSED_PAD src0_sel:BYTE_3 src1_sel:DWORD
	buffer_store_dword v0, off, s[0:3], s33 offset:344 ; 4-byte Folded Spill
.LBB6_13683:                            ;   in Loop: Header=BB6_12355 Depth=2
	s_or_b64 exec, exec, s[20:21]
	v_mov_b32_e32 v52, v13
	v_cmp_ne_u16_sdwa s[76:77], v13, v53 src0_sel:BYTE_0 src1_sel:DWORD
	v_mov_b32_e32 v0, 0
	s_and_saveexec_b64 s[20:21], s[76:77]
	s_cbranch_execz .LBB6_13689
; %bb.13684:                            ;   in Loop: Header=BB6_12355 Depth=2
	v_cmp_ne_u16_sdwa s[78:79], v13, s48 src0_sel:BYTE_0 src1_sel:DWORD
	v_bfrev_b32_e32 v0, 1
	s_and_saveexec_b64 s[76:77], s[78:79]
	s_cbranch_execz .LBB6_13688
; %bb.13685:                            ;   in Loop: Header=BB6_12355 Depth=2
	v_and_b32_e32 v1, 0x7f, v13
	v_cmp_ne_u32_e32 vcc, s39, v1
	v_mov_b32_e32 v0, 0x7f800001
	s_and_saveexec_b64 s[78:79], vcc
	s_cbranch_execz .LBB6_13687
; %bb.13686:                            ;   in Loop: Header=BB6_12355 Depth=2
	v_and_b32_e32 v0, 7, v13
	v_ffbh_u32_e32 v0, v0
	v_min_u32_e32 v0, 32, v0
	v_lshrrev_b32_e32 v2, 3, v1
	v_cmp_gt_u32_e32 vcc, 8, v1
	v_subrev_u32_e32 v1, 28, v0
	v_sub_u32_e32 v0, 29, v0
	v_cndmask_b32_e32 v2, v2, v0, vcc
	v_cndmask_b32_e32 v0, 0, v1, vcc
	v_lshlrev_b64 v[0:1], v0, v[52:53]
	v_lshlrev_b32_e32 v1, 24, v52
	v_lshlrev_b32_e32 v0, 20, v0
	v_bfrev_b32_e32 v3, 60
	v_and_b32_e32 v0, 0x700000, v0
	v_and_b32_e32 v1, 0x80000000, v1
	v_lshl_add_u32 v2, v2, 23, v3
	v_or3_b32 v0, v1, v2, v0
.LBB6_13687:                            ;   in Loop: Header=BB6_12355 Depth=2
	s_or_b64 exec, exec, s[78:79]
.LBB6_13688:                            ;   in Loop: Header=BB6_12355 Depth=2
	s_or_b64 exec, exec, s[76:77]
.LBB6_13689:                            ;   in Loop: Header=BB6_12355 Depth=2
	s_or_b64 exec, exec, s[20:21]
	v_mul_f32_e32 v1, v19, v0
	v_and_b32_e32 v2, 0x7f800000, v1
	v_mov_b32_e32 v3, v53
	v_cmp_ne_u64_e32 vcc, s[46:47], v[2:3]
                                        ; implicit-def: $vgpr0
                                        ; kill: killed $vgpr0
	s_and_saveexec_b64 s[20:21], vcc
	s_xor_b64 s[76:77], exec, s[20:21]
	s_cbranch_execz .LBB6_13703
; %bb.13690:                            ;   in Loop: Header=BB6_12355 Depth=2
	v_and_b32_e32 v2, 0x7fffffff, v1
	v_mov_b32_e32 v3, v53
	v_cmp_gt_u64_e32 vcc, s[56:57], v[2:3]
	v_and_b32_sdwa v0, v1, s48 dst_sel:DWORD dst_unused:UNUSED_PAD src0_sel:BYTE_3 src1_sel:DWORD
                                        ; implicit-def: $vgpr2
                                        ; kill: killed $vgpr2
	s_and_saveexec_b64 s[20:21], vcc
	s_xor_b64 s[78:79], exec, s[20:21]
	s_cbranch_execz .LBB6_13700
; %bb.13691:                            ;   in Loop: Header=BB6_12355 Depth=2
	v_mov_b32_e32 v2, 0
	v_cmp_ne_u32_e32 vcc, 0, v1
	buffer_store_dword v2, off, s[0:3], s33 offset:348 ; 4-byte Folded Spill
	s_and_saveexec_b64 s[88:89], vcc
	s_cbranch_execz .LBB6_13699
; %bb.13692:                            ;   in Loop: Header=BB6_12355 Depth=2
	v_and_b32_e32 v3, 0x7fffff, v1
	v_bfe_u32 v1, v1, 23, 8
	v_cmp_gt_u32_e64 s[20:21], s49, v1
	v_sub_u32_e32 v2, 0x79, v1
	v_cmp_eq_u32_e32 vcc, 0, v1
	v_cndmask_b32_e64 v2, 0, v2, s[20:21]
	v_mov_b32_e32 v5, 0x78
	v_cndmask_b32_e32 v2, v2, v5, vcc
	v_add_u32_e32 v5, 20, v2
	v_or_b32_e32 v4, 0x800000, v3
	v_lshlrev_b64 v[5:6], v5, -1
	v_add_u32_e32 v7, 19, v2
	v_cndmask_b32_e32 v3, v4, v3, vcc
	v_lshlrev_b64 v[10:11], v7, 1
	v_mov_b32_e32 v4, v53
	v_bfi_b32 v6, v6, 0, 0
	v_bfi_b32 v5, v5, 0, v3
	v_cmp_eq_u64_e64 s[20:21], v[5:6], v[10:11]
	v_lshrrev_b64 v[10:11], v2, v[3:4]
	v_mov_b32_e32 v17, v11
	v_mov_b32_e32 v16, v10
	s_and_saveexec_b64 s[90:91], s[20:21]
; %bb.13693:                            ;   in Loop: Header=BB6_12355 Depth=2
	v_bfe_u32 v3, v10, 20, 1
	v_add_co_u32_e64 v3, s[20:21], v10, v3
	v_add_co_u32_e64 v16, s[20:21], -1, v3
; %bb.13694:                            ;   in Loop: Header=BB6_12355 Depth=2
	s_or_b64 exec, exec, s[90:91]
	v_add_u32_e32 v1, 0xffffff81, v1
	v_mov_b32_e32 v3, 0xffffff82
	v_cndmask_b32_e32 v1, v1, v3, vcc
	v_lshrrev_b32_e32 v3, 23, v10
	v_add3_u32 v3, v2, v1, v3
	v_add_u32_e32 v2, 6, v3
	v_and_b32_e32 v1, 0xfffff, v16
	v_add_u32_e32 v10, v1, v10
	v_mov_b32_e32 v11, v53
	v_cmp_ne_u32_e32 vcc, 0, v2
                                        ; implicit-def: $vgpr1
	s_and_saveexec_b64 s[20:21], vcc
	s_xor_b64 s[20:21], exec, s[20:21]
; %bb.13695:                            ;   in Loop: Header=BB6_12355 Depth=2
	v_cmp_lt_u64_e32 vcc, s[58:59], v[10:11]
	v_add_u32_e32 v1, 7, v3
	v_cndmask_b32_e32 v1, v2, v1, vcc
	v_cndmask_b32_e64 v2, 0, 1, vcc
	v_lshrrev_b64 v[10:11], v2, v[10:11]
; %bb.13696:                            ;   in Loop: Header=BB6_12355 Depth=2
	s_andn2_saveexec_b64 s[20:21], s[20:21]
; %bb.13697:                            ;   in Loop: Header=BB6_12355 Depth=2
	v_bfe_u32 v1, v10, 23, 1
; %bb.13698:                            ;   in Loop: Header=BB6_12355 Depth=2
	s_or_b64 exec, exec, s[20:21]
	v_lshrrev_b64 v[2:3], 20, v[10:11]
	v_cmp_gt_i32_e32 vcc, 16, v1
	v_cndmask_b32_e32 v3, 0, v3, vcc
	v_cndmask_b32_e32 v2, 7, v2, vcc
	v_cmp_eq_u32_e32 vcc, 0, v1
	v_min_i32_e32 v1, 15, v1
	v_cmp_eq_u64_e64 s[20:21], 0, v[2:3]
	v_lshlrev_b32_e32 v1, 3, v1
	v_and_b32_e32 v1, 0xf8, v1
	v_and_or_b32 v1, v2, 7, v1
	s_and_b64 s[20:21], vcc, s[20:21]
	v_cndmask_b32_e64 v1, v1, 0, s[20:21]
	v_or_b32_e32 v0, v1, v0
	buffer_store_dword v0, off, s[0:3], s33 offset:348 ; 4-byte Folded Spill
.LBB6_13699:                            ;   in Loop: Header=BB6_12355 Depth=2
	s_or_b64 exec, exec, s[88:89]
                                        ; implicit-def: $vgpr0
.LBB6_13700:                            ;   in Loop: Header=BB6_12355 Depth=2
	s_andn2_saveexec_b64 s[20:21], s[78:79]
	s_cbranch_execz .LBB6_13702
; %bb.13701:                            ;   in Loop: Header=BB6_12355 Depth=2
	v_or_b32_e32 v0, 0x7e, v0
	buffer_store_dword v0, off, s[0:3], s33 offset:348 ; 4-byte Folded Spill
.LBB6_13702:                            ;   in Loop: Header=BB6_12355 Depth=2
	s_or_b64 exec, exec, s[20:21]
                                        ; implicit-def: $vgpr1
.LBB6_13703:                            ;   in Loop: Header=BB6_12355 Depth=2
	s_andn2_saveexec_b64 s[20:21], s[76:77]
	s_cbranch_execz .LBB6_13705
; %bb.13704:                            ;   in Loop: Header=BB6_12355 Depth=2
	v_or_b32_sdwa v0, v1, s39 dst_sel:DWORD dst_unused:UNUSED_PAD src0_sel:BYTE_3 src1_sel:DWORD
	buffer_store_dword v0, off, s[0:3], s33 offset:348 ; 4-byte Folded Spill
.LBB6_13705:                            ;   in Loop: Header=BB6_12355 Depth=2
	s_or_b64 exec, exec, s[20:21]
	v_lshrrev_b16_e32 v10, 8, v52
	v_cmp_ne_u16_e32 vcc, 0, v10
	v_mov_b32_e32 v0, 0
	s_and_saveexec_b64 s[20:21], vcc
	s_cbranch_execz .LBB6_13711
; %bb.13706:                            ;   in Loop: Header=BB6_12355 Depth=2
	v_cmp_ne_u16_e32 vcc, s48, v10
	v_bfrev_b32_e32 v0, 1
	s_and_saveexec_b64 s[76:77], vcc
	s_cbranch_execz .LBB6_13710
; %bb.13707:                            ;   in Loop: Header=BB6_12355 Depth=2
	v_and_b32_e32 v1, 0x7f, v10
	v_cmp_ne_u32_e32 vcc, s39, v1
	v_mov_b32_e32 v0, 0x7f800001
	s_and_saveexec_b64 s[78:79], vcc
	s_cbranch_execz .LBB6_13709
; %bb.13708:                            ;   in Loop: Header=BB6_12355 Depth=2
	v_and_b32_e32 v2, 7, v10
	v_ffbh_u32_e32 v0, v2
	v_min_u32_e32 v4, 32, v0
	v_subrev_u32_e32 v0, 28, v4
	v_lshrrev_b32_e32 v3, 3, v1
	v_cmp_gt_u32_e32 vcc, 8, v1
	v_lshlrev_b64 v[0:1], v0, v[10:11]
	v_sub_u32_e32 v1, 29, v4
	v_and_b32_e32 v0, 7, v0
	v_cndmask_b32_e32 v1, v3, v1, vcc
	v_cndmask_b32_e32 v0, v2, v0, vcc
	v_lshlrev_b32_e32 v2, 16, v52
	v_bfrev_b32_e32 v3, 60
	v_lshlrev_b32_e32 v0, 20, v0
	v_and_b32_e32 v2, 0x80000000, v2
	v_lshl_add_u32 v1, v1, 23, v3
	v_or3_b32 v0, v2, v1, v0
.LBB6_13709:                            ;   in Loop: Header=BB6_12355 Depth=2
	s_or_b64 exec, exec, s[78:79]
.LBB6_13710:                            ;   in Loop: Header=BB6_12355 Depth=2
	s_or_b64 exec, exec, s[76:77]
.LBB6_13711:                            ;   in Loop: Header=BB6_12355 Depth=2
	s_or_b64 exec, exec, s[20:21]
	v_mul_f32_e32 v1, v19, v0
	v_and_b32_e32 v52, 0x7f800000, v1
	v_cmp_ne_u64_e32 vcc, s[46:47], v[52:53]
                                        ; implicit-def: $vgpr0
                                        ; kill: killed $vgpr0
	s_and_saveexec_b64 s[20:21], vcc
	s_xor_b64 s[76:77], exec, s[20:21]
	s_cbranch_execz .LBB6_13725
; %bb.13712:                            ;   in Loop: Header=BB6_12355 Depth=2
	v_and_b32_e32 v52, 0x7fffffff, v1
	v_cmp_gt_u64_e32 vcc, s[56:57], v[52:53]
	v_and_b32_sdwa v0, v1, s48 dst_sel:DWORD dst_unused:UNUSED_PAD src0_sel:BYTE_3 src1_sel:DWORD
                                        ; implicit-def: $vgpr2
                                        ; kill: killed $vgpr2
	s_and_saveexec_b64 s[20:21], vcc
	s_xor_b64 s[78:79], exec, s[20:21]
	s_cbranch_execz .LBB6_13722
; %bb.13713:                            ;   in Loop: Header=BB6_12355 Depth=2
	v_mov_b32_e32 v2, 0
	v_cmp_ne_u32_e32 vcc, 0, v1
	buffer_store_dword v2, off, s[0:3], s33 offset:352 ; 4-byte Folded Spill
	s_and_saveexec_b64 s[88:89], vcc
	s_cbranch_execz .LBB6_13721
; %bb.13714:                            ;   in Loop: Header=BB6_12355 Depth=2
	v_and_b32_e32 v3, 0x7fffff, v1
	v_bfe_u32 v1, v1, 23, 8
	v_cmp_gt_u32_e64 s[20:21], s49, v1
	v_sub_u32_e32 v2, 0x79, v1
	v_cmp_eq_u32_e32 vcc, 0, v1
	v_cndmask_b32_e64 v2, 0, v2, s[20:21]
	v_mov_b32_e32 v5, 0x78
	v_or_b32_e32 v4, 0x800000, v3
	v_cndmask_b32_e32 v2, v2, v5, vcc
	v_cndmask_b32_e32 v52, v4, v3, vcc
	v_add_u32_e32 v3, 20, v2
	v_lshlrev_b64 v[3:4], v3, -1
	v_add_u32_e32 v5, 19, v2
	v_lshlrev_b64 v[5:6], v5, 1
	v_lshrrev_b64 v[10:11], v2, v[52:53]
	v_bfi_b32 v4, v4, 0, 0
	v_bfi_b32 v3, v3, 0, v52
	v_cmp_eq_u64_e64 s[20:21], v[3:4], v[5:6]
	v_mov_b32_e32 v17, v11
	v_mov_b32_e32 v16, v10
	s_and_saveexec_b64 s[90:91], s[20:21]
; %bb.13715:                            ;   in Loop: Header=BB6_12355 Depth=2
	v_bfe_u32 v3, v10, 20, 1
	v_add_co_u32_e64 v3, s[20:21], v10, v3
	v_add_co_u32_e64 v16, s[20:21], -1, v3
; %bb.13716:                            ;   in Loop: Header=BB6_12355 Depth=2
	s_or_b64 exec, exec, s[90:91]
	v_add_u32_e32 v1, 0xffffff81, v1
	v_mov_b32_e32 v3, 0xffffff82
	v_cndmask_b32_e32 v1, v1, v3, vcc
	v_lshrrev_b32_e32 v3, 23, v10
	v_add3_u32 v3, v2, v1, v3
	v_add_u32_e32 v2, 6, v3
	v_and_b32_e32 v1, 0xfffff, v16
	v_add_u32_e32 v52, v1, v10
	v_cmp_ne_u32_e32 vcc, 0, v2
                                        ; implicit-def: $vgpr10_vgpr11
                                        ; implicit-def: $vgpr1
	s_and_saveexec_b64 s[20:21], vcc
	s_xor_b64 s[20:21], exec, s[20:21]
; %bb.13717:                            ;   in Loop: Header=BB6_12355 Depth=2
	v_cmp_lt_u64_e32 vcc, s[58:59], v[52:53]
	v_add_u32_e32 v1, 7, v3
	v_cndmask_b32_e32 v1, v2, v1, vcc
	v_cndmask_b32_e64 v2, 0, 1, vcc
	v_lshrrev_b64 v[10:11], v2, v[52:53]
; %bb.13718:                            ;   in Loop: Header=BB6_12355 Depth=2
	s_andn2_saveexec_b64 s[20:21], s[20:21]
; %bb.13719:                            ;   in Loop: Header=BB6_12355 Depth=2
	v_mov_b32_e32 v10, v52
	v_bfe_u32 v1, v52, 23, 1
	v_mov_b32_e32 v11, v53
; %bb.13720:                            ;   in Loop: Header=BB6_12355 Depth=2
	s_or_b64 exec, exec, s[20:21]
	v_lshrrev_b64 v[2:3], 20, v[10:11]
	v_cmp_gt_i32_e32 vcc, 16, v1
	v_cndmask_b32_e32 v3, 0, v3, vcc
	v_cndmask_b32_e32 v2, 7, v2, vcc
	v_cmp_eq_u32_e32 vcc, 0, v1
	v_min_i32_e32 v1, 15, v1
	v_cmp_eq_u64_e64 s[20:21], 0, v[2:3]
	v_lshlrev_b32_e32 v1, 3, v1
	v_and_b32_e32 v1, 0xf8, v1
	v_and_or_b32 v1, v2, 7, v1
	s_and_b64 s[20:21], vcc, s[20:21]
	v_cndmask_b32_e64 v1, v1, 0, s[20:21]
	v_or_b32_e32 v0, v1, v0
	buffer_store_dword v0, off, s[0:3], s33 offset:352 ; 4-byte Folded Spill
.LBB6_13721:                            ;   in Loop: Header=BB6_12355 Depth=2
	s_or_b64 exec, exec, s[88:89]
                                        ; implicit-def: $vgpr0
.LBB6_13722:                            ;   in Loop: Header=BB6_12355 Depth=2
	s_andn2_saveexec_b64 s[20:21], s[78:79]
	s_cbranch_execz .LBB6_13724
; %bb.13723:                            ;   in Loop: Header=BB6_12355 Depth=2
	v_or_b32_e32 v0, 0x7e, v0
	buffer_store_dword v0, off, s[0:3], s33 offset:352 ; 4-byte Folded Spill
.LBB6_13724:                            ;   in Loop: Header=BB6_12355 Depth=2
	s_or_b64 exec, exec, s[20:21]
                                        ; implicit-def: $vgpr1
.LBB6_13725:                            ;   in Loop: Header=BB6_12355 Depth=2
	s_andn2_saveexec_b64 s[20:21], s[76:77]
	s_cbranch_execz .LBB6_13727
; %bb.13726:                            ;   in Loop: Header=BB6_12355 Depth=2
	v_or_b32_sdwa v0, v1, s39 dst_sel:DWORD dst_unused:UNUSED_PAD src0_sel:BYTE_3 src1_sel:DWORD
	buffer_store_dword v0, off, s[0:3], s33 offset:352 ; 4-byte Folded Spill
.LBB6_13727:                            ;   in Loop: Header=BB6_12355 Depth=2
	s_or_b64 exec, exec, s[20:21]
	v_lshrrev_b32_e32 v10, 16, v13
	v_cmp_ne_u16_sdwa s[76:77], v10, v53 src0_sel:BYTE_0 src1_sel:DWORD
	v_mov_b32_e32 v0, 0
	s_and_saveexec_b64 s[20:21], s[76:77]
	s_cbranch_execz .LBB6_13733
; %bb.13728:                            ;   in Loop: Header=BB6_12355 Depth=2
	v_cmp_ne_u16_sdwa s[78:79], v10, s48 src0_sel:BYTE_0 src1_sel:DWORD
	v_bfrev_b32_e32 v0, 1
	s_and_saveexec_b64 s[76:77], s[78:79]
	s_cbranch_execz .LBB6_13732
; %bb.13729:                            ;   in Loop: Header=BB6_12355 Depth=2
	v_bfe_u32 v1, v13, 16, 7
	v_cmp_ne_u32_e32 vcc, s39, v1
	v_mov_b32_e32 v0, 0x7f800001
	s_and_saveexec_b64 s[78:79], vcc
	s_cbranch_execz .LBB6_13731
; %bb.13730:                            ;   in Loop: Header=BB6_12355 Depth=2
	v_and_b32_e32 v2, 7, v10
	v_ffbh_u32_e32 v0, v2
	v_min_u32_e32 v4, 32, v0
	v_subrev_u32_e32 v0, 28, v4
	v_lshrrev_b32_e32 v3, 3, v1
	v_cmp_gt_u32_e32 vcc, 8, v1
	v_lshlrev_b64 v[0:1], v0, v[10:11]
	v_sub_u32_e32 v1, 29, v4
	v_and_b32_e32 v0, 7, v0
	v_cndmask_b32_e32 v1, v3, v1, vcc
	v_cndmask_b32_e32 v0, v2, v0, vcc
	v_lshlrev_b32_e32 v2, 24, v10
	v_bfrev_b32_e32 v3, 60
	v_lshlrev_b32_e32 v0, 20, v0
	v_and_b32_e32 v2, 0x80000000, v2
	v_lshl_add_u32 v1, v1, 23, v3
	v_or3_b32 v0, v2, v1, v0
.LBB6_13731:                            ;   in Loop: Header=BB6_12355 Depth=2
	s_or_b64 exec, exec, s[78:79]
.LBB6_13732:                            ;   in Loop: Header=BB6_12355 Depth=2
	s_or_b64 exec, exec, s[76:77]
.LBB6_13733:                            ;   in Loop: Header=BB6_12355 Depth=2
	s_or_b64 exec, exec, s[20:21]
	v_mul_f32_e32 v1, v19, v0
	v_and_b32_e32 v52, 0x7f800000, v1
	v_cmp_ne_u64_e32 vcc, s[46:47], v[52:53]
                                        ; implicit-def: $vgpr0
                                        ; kill: killed $vgpr0
	s_and_saveexec_b64 s[20:21], vcc
	s_xor_b64 s[76:77], exec, s[20:21]
	s_cbranch_execz .LBB6_13747
; %bb.13734:                            ;   in Loop: Header=BB6_12355 Depth=2
	v_and_b32_e32 v52, 0x7fffffff, v1
	v_cmp_gt_u64_e32 vcc, s[56:57], v[52:53]
	v_and_b32_sdwa v0, v1, s48 dst_sel:DWORD dst_unused:UNUSED_PAD src0_sel:BYTE_3 src1_sel:DWORD
                                        ; implicit-def: $vgpr2
                                        ; kill: killed $vgpr2
	s_and_saveexec_b64 s[20:21], vcc
	s_xor_b64 s[78:79], exec, s[20:21]
	s_cbranch_execz .LBB6_13744
; %bb.13735:                            ;   in Loop: Header=BB6_12355 Depth=2
	v_mov_b32_e32 v2, 0
	v_cmp_ne_u32_e32 vcc, 0, v1
	buffer_store_dword v2, off, s[0:3], s33 offset:360 ; 4-byte Folded Spill
	s_and_saveexec_b64 s[88:89], vcc
	s_cbranch_execz .LBB6_13743
; %bb.13736:                            ;   in Loop: Header=BB6_12355 Depth=2
	v_and_b32_e32 v3, 0x7fffff, v1
	v_bfe_u32 v1, v1, 23, 8
	v_cmp_gt_u32_e64 s[20:21], s49, v1
	v_sub_u32_e32 v2, 0x79, v1
	v_cmp_eq_u32_e32 vcc, 0, v1
	v_cndmask_b32_e64 v2, 0, v2, s[20:21]
	v_mov_b32_e32 v5, 0x78
	v_or_b32_e32 v4, 0x800000, v3
	v_cndmask_b32_e32 v2, v2, v5, vcc
	v_cndmask_b32_e32 v52, v4, v3, vcc
	v_add_u32_e32 v3, 20, v2
	v_lshlrev_b64 v[3:4], v3, -1
	v_add_u32_e32 v5, 19, v2
	v_lshlrev_b64 v[5:6], v5, 1
	v_lshrrev_b64 v[10:11], v2, v[52:53]
	v_bfi_b32 v4, v4, 0, 0
	v_bfi_b32 v3, v3, 0, v52
	v_cmp_eq_u64_e64 s[20:21], v[3:4], v[5:6]
	v_mov_b32_e32 v17, v11
	v_mov_b32_e32 v16, v10
	s_and_saveexec_b64 s[90:91], s[20:21]
; %bb.13737:                            ;   in Loop: Header=BB6_12355 Depth=2
	v_bfe_u32 v3, v10, 20, 1
	v_add_co_u32_e64 v3, s[20:21], v10, v3
	v_add_co_u32_e64 v16, s[20:21], -1, v3
; %bb.13738:                            ;   in Loop: Header=BB6_12355 Depth=2
	s_or_b64 exec, exec, s[90:91]
	v_add_u32_e32 v1, 0xffffff81, v1
	v_mov_b32_e32 v3, 0xffffff82
	v_cndmask_b32_e32 v1, v1, v3, vcc
	v_lshrrev_b32_e32 v3, 23, v10
	v_add3_u32 v3, v2, v1, v3
	v_add_u32_e32 v2, 6, v3
	v_and_b32_e32 v1, 0xfffff, v16
	v_add_u32_e32 v52, v1, v10
	v_cmp_ne_u32_e32 vcc, 0, v2
                                        ; implicit-def: $vgpr10_vgpr11
                                        ; implicit-def: $vgpr1
	s_and_saveexec_b64 s[20:21], vcc
	s_xor_b64 s[20:21], exec, s[20:21]
; %bb.13739:                            ;   in Loop: Header=BB6_12355 Depth=2
	v_cmp_lt_u64_e32 vcc, s[58:59], v[52:53]
	v_add_u32_e32 v1, 7, v3
	v_cndmask_b32_e32 v1, v2, v1, vcc
	v_cndmask_b32_e64 v2, 0, 1, vcc
	v_lshrrev_b64 v[10:11], v2, v[52:53]
; %bb.13740:                            ;   in Loop: Header=BB6_12355 Depth=2
	s_andn2_saveexec_b64 s[20:21], s[20:21]
; %bb.13741:                            ;   in Loop: Header=BB6_12355 Depth=2
	v_mov_b32_e32 v10, v52
	v_bfe_u32 v1, v52, 23, 1
	v_mov_b32_e32 v11, v53
; %bb.13742:                            ;   in Loop: Header=BB6_12355 Depth=2
	s_or_b64 exec, exec, s[20:21]
	v_lshrrev_b64 v[2:3], 20, v[10:11]
	v_cmp_gt_i32_e32 vcc, 16, v1
	v_cndmask_b32_e32 v3, 0, v3, vcc
	v_cndmask_b32_e32 v2, 7, v2, vcc
	v_cmp_eq_u32_e32 vcc, 0, v1
	v_min_i32_e32 v1, 15, v1
	v_cmp_eq_u64_e64 s[20:21], 0, v[2:3]
	v_lshlrev_b32_e32 v1, 3, v1
	v_and_b32_e32 v1, 0xf8, v1
	v_and_or_b32 v1, v2, 7, v1
	s_and_b64 s[20:21], vcc, s[20:21]
	v_cndmask_b32_e64 v1, v1, 0, s[20:21]
	v_or_b32_e32 v0, v1, v0
	buffer_store_dword v0, off, s[0:3], s33 offset:360 ; 4-byte Folded Spill
.LBB6_13743:                            ;   in Loop: Header=BB6_12355 Depth=2
	s_or_b64 exec, exec, s[88:89]
                                        ; implicit-def: $vgpr0
.LBB6_13744:                            ;   in Loop: Header=BB6_12355 Depth=2
	s_andn2_saveexec_b64 s[20:21], s[78:79]
	s_cbranch_execz .LBB6_13746
; %bb.13745:                            ;   in Loop: Header=BB6_12355 Depth=2
	v_or_b32_e32 v0, 0x7e, v0
	buffer_store_dword v0, off, s[0:3], s33 offset:360 ; 4-byte Folded Spill
.LBB6_13746:                            ;   in Loop: Header=BB6_12355 Depth=2
	s_or_b64 exec, exec, s[20:21]
                                        ; implicit-def: $vgpr1
.LBB6_13747:                            ;   in Loop: Header=BB6_12355 Depth=2
	s_andn2_saveexec_b64 s[20:21], s[76:77]
	s_cbranch_execz .LBB6_13749
; %bb.13748:                            ;   in Loop: Header=BB6_12355 Depth=2
	v_or_b32_sdwa v0, v1, s39 dst_sel:DWORD dst_unused:UNUSED_PAD src0_sel:BYTE_3 src1_sel:DWORD
	buffer_store_dword v0, off, s[0:3], s33 offset:360 ; 4-byte Folded Spill
.LBB6_13749:                            ;   in Loop: Header=BB6_12355 Depth=2
	s_or_b64 exec, exec, s[20:21]
	v_cmp_lt_u64_e32 vcc, s[60:61], v[12:13]
	v_mov_b32_e32 v0, 0
	s_and_saveexec_b64 s[20:21], vcc
	s_cbranch_execz .LBB6_13755
; %bb.13750:                            ;   in Loop: Header=BB6_12355 Depth=2
	v_lshrrev_b32_e32 v10, 24, v13
	v_cmp_ne_u32_e32 vcc, s48, v10
	v_bfrev_b32_e32 v0, 1
	s_and_saveexec_b64 s[76:77], vcc
	s_cbranch_execz .LBB6_13754
; %bb.13751:                            ;   in Loop: Header=BB6_12355 Depth=2
	v_bfe_u32 v1, v13, 24, 7
	v_cmp_ne_u32_e32 vcc, s39, v1
	v_mov_b32_e32 v0, 0x7f800001
	s_and_saveexec_b64 s[78:79], vcc
	s_cbranch_execz .LBB6_13753
; %bb.13752:                            ;   in Loop: Header=BB6_12355 Depth=2
	v_and_b32_e32 v2, 7, v10
	v_ffbh_u32_e32 v0, v2
	v_min_u32_e32 v4, 32, v0
	v_subrev_u32_e32 v0, 28, v4
	v_lshrrev_b32_e32 v3, 3, v1
	v_cmp_gt_u32_e32 vcc, 8, v1
	v_lshlrev_b64 v[0:1], v0, v[10:11]
	v_sub_u32_e32 v1, 29, v4
	v_and_b32_e32 v0, 7, v0
	v_cndmask_b32_e32 v1, v3, v1, vcc
	v_cndmask_b32_e32 v0, v2, v0, vcc
	v_lshlrev_b32_e32 v2, 24, v10
	v_bfrev_b32_e32 v3, 60
	v_lshlrev_b32_e32 v0, 20, v0
	v_and_b32_e32 v2, 0x80000000, v2
	v_lshl_add_u32 v1, v1, 23, v3
	v_or3_b32 v0, v2, v1, v0
.LBB6_13753:                            ;   in Loop: Header=BB6_12355 Depth=2
	s_or_b64 exec, exec, s[78:79]
.LBB6_13754:                            ;   in Loop: Header=BB6_12355 Depth=2
	s_or_b64 exec, exec, s[76:77]
.LBB6_13755:                            ;   in Loop: Header=BB6_12355 Depth=2
	s_or_b64 exec, exec, s[20:21]
	v_mul_f32_e32 v1, v19, v0
	v_and_b32_e32 v52, 0x7f800000, v1
	v_cmp_ne_u64_e32 vcc, s[46:47], v[52:53]
                                        ; implicit-def: $vgpr0
                                        ; kill: killed $vgpr0
	s_and_saveexec_b64 s[20:21], vcc
	s_xor_b64 s[76:77], exec, s[20:21]
	s_cbranch_execz .LBB6_13769
; %bb.13756:                            ;   in Loop: Header=BB6_12355 Depth=2
	v_and_b32_e32 v52, 0x7fffffff, v1
	v_cmp_gt_u64_e32 vcc, s[56:57], v[52:53]
	v_and_b32_sdwa v0, v1, s48 dst_sel:DWORD dst_unused:UNUSED_PAD src0_sel:BYTE_3 src1_sel:DWORD
                                        ; implicit-def: $vgpr2
                                        ; kill: killed $vgpr2
	s_and_saveexec_b64 s[20:21], vcc
	s_xor_b64 s[78:79], exec, s[20:21]
	s_cbranch_execz .LBB6_13766
; %bb.13757:                            ;   in Loop: Header=BB6_12355 Depth=2
	v_mov_b32_e32 v2, 0
	v_cmp_ne_u32_e32 vcc, 0, v1
	buffer_store_dword v2, off, s[0:3], s33 offset:368 ; 4-byte Folded Spill
	s_and_saveexec_b64 s[88:89], vcc
	s_cbranch_execz .LBB6_13765
; %bb.13758:                            ;   in Loop: Header=BB6_12355 Depth=2
	v_and_b32_e32 v3, 0x7fffff, v1
	v_bfe_u32 v1, v1, 23, 8
	v_cmp_gt_u32_e64 s[20:21], s49, v1
	v_sub_u32_e32 v2, 0x79, v1
	v_cmp_eq_u32_e32 vcc, 0, v1
	v_cndmask_b32_e64 v2, 0, v2, s[20:21]
	v_mov_b32_e32 v5, 0x78
	v_or_b32_e32 v4, 0x800000, v3
	v_cndmask_b32_e32 v2, v2, v5, vcc
	v_cndmask_b32_e32 v52, v4, v3, vcc
	v_add_u32_e32 v3, 20, v2
	v_lshlrev_b64 v[3:4], v3, -1
	v_add_u32_e32 v5, 19, v2
	v_lshlrev_b64 v[5:6], v5, 1
	v_lshrrev_b64 v[10:11], v2, v[52:53]
	v_bfi_b32 v4, v4, 0, 0
	v_bfi_b32 v3, v3, 0, v52
	v_cmp_eq_u64_e64 s[20:21], v[3:4], v[5:6]
	v_mov_b32_e32 v12, v11
	v_mov_b32_e32 v11, v10
	s_and_saveexec_b64 s[90:91], s[20:21]
; %bb.13759:                            ;   in Loop: Header=BB6_12355 Depth=2
	v_bfe_u32 v3, v10, 20, 1
	v_add_co_u32_e64 v3, s[20:21], v10, v3
	v_add_co_u32_e64 v11, s[20:21], -1, v3
; %bb.13760:                            ;   in Loop: Header=BB6_12355 Depth=2
	s_or_b64 exec, exec, s[90:91]
	v_add_u32_e32 v1, 0xffffff81, v1
	v_mov_b32_e32 v3, 0xffffff82
	v_cndmask_b32_e32 v1, v1, v3, vcc
	v_lshrrev_b32_e32 v3, 23, v10
	v_add3_u32 v3, v2, v1, v3
	v_add_u32_e32 v2, 6, v3
	v_and_b32_e32 v1, 0xfffff, v11
	v_add_u32_e32 v52, v1, v10
	v_cmp_ne_u32_e32 vcc, 0, v2
                                        ; implicit-def: $vgpr10_vgpr11
                                        ; implicit-def: $vgpr1
	s_and_saveexec_b64 s[20:21], vcc
	s_xor_b64 s[20:21], exec, s[20:21]
; %bb.13761:                            ;   in Loop: Header=BB6_12355 Depth=2
	v_cmp_lt_u64_e32 vcc, s[58:59], v[52:53]
	v_add_u32_e32 v1, 7, v3
	v_cndmask_b32_e32 v1, v2, v1, vcc
	v_cndmask_b32_e64 v2, 0, 1, vcc
	v_lshrrev_b64 v[10:11], v2, v[52:53]
; %bb.13762:                            ;   in Loop: Header=BB6_12355 Depth=2
	s_andn2_saveexec_b64 s[20:21], s[20:21]
; %bb.13763:                            ;   in Loop: Header=BB6_12355 Depth=2
	v_mov_b32_e32 v10, v52
	v_bfe_u32 v1, v52, 23, 1
	v_mov_b32_e32 v11, v53
; %bb.13764:                            ;   in Loop: Header=BB6_12355 Depth=2
	s_or_b64 exec, exec, s[20:21]
	v_lshrrev_b64 v[2:3], 20, v[10:11]
	v_cmp_gt_i32_e32 vcc, 16, v1
	v_cndmask_b32_e32 v3, 0, v3, vcc
	v_cndmask_b32_e32 v2, 7, v2, vcc
	v_cmp_eq_u32_e32 vcc, 0, v1
	v_min_i32_e32 v1, 15, v1
	v_cmp_eq_u64_e64 s[20:21], 0, v[2:3]
	v_lshlrev_b32_e32 v1, 3, v1
	v_and_b32_e32 v1, 0xf8, v1
	v_and_or_b32 v1, v2, 7, v1
	s_and_b64 s[20:21], vcc, s[20:21]
	v_cndmask_b32_e64 v1, v1, 0, s[20:21]
	v_or_b32_e32 v0, v1, v0
	buffer_store_dword v0, off, s[0:3], s33 offset:368 ; 4-byte Folded Spill
.LBB6_13765:                            ;   in Loop: Header=BB6_12355 Depth=2
	s_or_b64 exec, exec, s[88:89]
                                        ; implicit-def: $vgpr0
.LBB6_13766:                            ;   in Loop: Header=BB6_12355 Depth=2
	s_andn2_saveexec_b64 s[20:21], s[78:79]
	s_cbranch_execz .LBB6_13768
; %bb.13767:                            ;   in Loop: Header=BB6_12355 Depth=2
	v_or_b32_e32 v0, 0x7e, v0
	buffer_store_dword v0, off, s[0:3], s33 offset:368 ; 4-byte Folded Spill
.LBB6_13768:                            ;   in Loop: Header=BB6_12355 Depth=2
	s_or_b64 exec, exec, s[20:21]
                                        ; implicit-def: $vgpr1
.LBB6_13769:                            ;   in Loop: Header=BB6_12355 Depth=2
	s_andn2_saveexec_b64 s[20:21], s[76:77]
	s_cbranch_execz .LBB6_13771
; %bb.13770:                            ;   in Loop: Header=BB6_12355 Depth=2
	v_or_b32_sdwa v0, v1, s39 dst_sel:DWORD dst_unused:UNUSED_PAD src0_sel:BYTE_3 src1_sel:DWORD
	buffer_store_dword v0, off, s[0:3], s33 offset:368 ; 4-byte Folded Spill
.LBB6_13771:                            ;   in Loop: Header=BB6_12355 Depth=2
	s_or_b64 exec, exec, s[20:21]
	v_add_co_u32_e32 v0, vcc, 0x1000, v14
	v_addc_co_u32_e32 v1, vcc, 0, v15, vcc
	global_load_dwordx4 v[10:13], v[0:1], off glc slc
	v_mov_b32_e32 v0, 0
	s_waitcnt vmcnt(0)
	v_cmp_ne_u16_sdwa s[76:77], v10, v53 src0_sel:BYTE_0 src1_sel:DWORD
	s_and_saveexec_b64 s[20:21], s[76:77]
	s_cbranch_execz .LBB6_13777
; %bb.13772:                            ;   in Loop: Header=BB6_12355 Depth=2
	v_cmp_ne_u16_sdwa s[78:79], v10, s48 src0_sel:BYTE_0 src1_sel:DWORD
	v_bfrev_b32_e32 v0, 1
	s_and_saveexec_b64 s[76:77], s[78:79]
	s_cbranch_execz .LBB6_13776
; %bb.13773:                            ;   in Loop: Header=BB6_12355 Depth=2
	v_and_b32_e32 v1, 0x7f, v10
	v_cmp_ne_u32_e32 vcc, s39, v1
	v_mov_b32_e32 v0, 0x7f800001
	s_and_saveexec_b64 s[78:79], vcc
	s_cbranch_execz .LBB6_13775
; %bb.13774:                            ;   in Loop: Header=BB6_12355 Depth=2
	v_and_b32_e32 v0, 7, v10
	v_ffbh_u32_e32 v0, v0
	v_min_u32_e32 v0, 32, v0
	v_lshrrev_b32_e32 v2, 3, v1
	v_cmp_gt_u32_e32 vcc, 8, v1
	v_subrev_u32_e32 v1, 28, v0
	v_sub_u32_e32 v0, 29, v0
	v_cndmask_b32_e32 v2, v2, v0, vcc
	v_cndmask_b32_e32 v0, 0, v1, vcc
	v_lshlrev_b64 v[0:1], v0, v[10:11]
	v_lshlrev_b32_e32 v1, 24, v10
	v_lshlrev_b32_e32 v0, 20, v0
	v_bfrev_b32_e32 v3, 60
	v_and_b32_e32 v0, 0x700000, v0
	v_and_b32_e32 v1, 0x80000000, v1
	v_lshl_add_u32 v2, v2, 23, v3
	v_or3_b32 v0, v1, v2, v0
.LBB6_13775:                            ;   in Loop: Header=BB6_12355 Depth=2
	s_or_b64 exec, exec, s[78:79]
.LBB6_13776:                            ;   in Loop: Header=BB6_12355 Depth=2
	s_or_b64 exec, exec, s[76:77]
.LBB6_13777:                            ;   in Loop: Header=BB6_12355 Depth=2
	s_or_b64 exec, exec, s[20:21]
	v_mul_f32_e32 v1, v19, v0
	v_and_b32_e32 v52, 0x7f800000, v1
	v_cmp_ne_u64_e32 vcc, s[46:47], v[52:53]
                                        ; implicit-def: $vgpr0
                                        ; kill: killed $vgpr0
	s_and_saveexec_b64 s[20:21], vcc
	s_xor_b64 s[76:77], exec, s[20:21]
	s_cbranch_execz .LBB6_13791
; %bb.13778:                            ;   in Loop: Header=BB6_12355 Depth=2
	v_and_b32_e32 v52, 0x7fffffff, v1
	v_cmp_gt_u64_e32 vcc, s[56:57], v[52:53]
	v_and_b32_sdwa v0, v1, s48 dst_sel:DWORD dst_unused:UNUSED_PAD src0_sel:BYTE_3 src1_sel:DWORD
                                        ; implicit-def: $vgpr2
                                        ; kill: killed $vgpr2
	s_and_saveexec_b64 s[20:21], vcc
	s_xor_b64 s[78:79], exec, s[20:21]
	s_cbranch_execz .LBB6_13788
; %bb.13779:                            ;   in Loop: Header=BB6_12355 Depth=2
	v_mov_b32_e32 v2, 0
	v_cmp_ne_u32_e32 vcc, 0, v1
	buffer_store_dword v2, off, s[0:3], s33 offset:376 ; 4-byte Folded Spill
	s_and_saveexec_b64 s[88:89], vcc
	s_cbranch_execz .LBB6_13787
; %bb.13780:                            ;   in Loop: Header=BB6_12355 Depth=2
	v_and_b32_e32 v3, 0x7fffff, v1
	v_bfe_u32 v1, v1, 23, 8
	v_cmp_gt_u32_e64 s[20:21], s49, v1
	v_sub_u32_e32 v2, 0x79, v1
	v_cmp_eq_u32_e32 vcc, 0, v1
	v_cndmask_b32_e64 v2, 0, v2, s[20:21]
	v_mov_b32_e32 v5, 0x78
	v_or_b32_e32 v4, 0x800000, v3
	v_cndmask_b32_e32 v2, v2, v5, vcc
	v_cndmask_b32_e32 v52, v4, v3, vcc
	v_add_u32_e32 v3, 20, v2
	v_lshlrev_b64 v[3:4], v3, -1
	v_add_u32_e32 v5, 19, v2
	v_lshlrev_b64 v[5:6], v5, 1
	v_lshrrev_b64 v[16:17], v2, v[52:53]
	v_bfi_b32 v4, v4, 0, 0
	v_bfi_b32 v3, v3, 0, v52
	v_cmp_eq_u64_e64 s[20:21], v[3:4], v[5:6]
	v_mov_b32_e32 v18, v17
	v_mov_b32_e32 v17, v16
	s_and_saveexec_b64 s[90:91], s[20:21]
; %bb.13781:                            ;   in Loop: Header=BB6_12355 Depth=2
	v_bfe_u32 v3, v16, 20, 1
	v_add_co_u32_e64 v3, s[20:21], v16, v3
	v_add_co_u32_e64 v17, s[20:21], -1, v3
; %bb.13782:                            ;   in Loop: Header=BB6_12355 Depth=2
	s_or_b64 exec, exec, s[90:91]
	v_add_u32_e32 v1, 0xffffff81, v1
	v_mov_b32_e32 v3, 0xffffff82
	v_cndmask_b32_e32 v1, v1, v3, vcc
	v_lshrrev_b32_e32 v3, 23, v16
	v_add3_u32 v3, v2, v1, v3
	v_add_u32_e32 v2, 6, v3
	v_and_b32_e32 v1, 0xfffff, v17
	v_add_u32_e32 v52, v1, v16
	v_cmp_ne_u32_e32 vcc, 0, v2
                                        ; implicit-def: $vgpr16_vgpr17
                                        ; implicit-def: $vgpr1
	s_and_saveexec_b64 s[20:21], vcc
	s_xor_b64 s[20:21], exec, s[20:21]
; %bb.13783:                            ;   in Loop: Header=BB6_12355 Depth=2
	v_cmp_lt_u64_e32 vcc, s[58:59], v[52:53]
	v_add_u32_e32 v1, 7, v3
	v_cndmask_b32_e32 v1, v2, v1, vcc
	v_cndmask_b32_e64 v2, 0, 1, vcc
	v_lshrrev_b64 v[16:17], v2, v[52:53]
; %bb.13784:                            ;   in Loop: Header=BB6_12355 Depth=2
	s_andn2_saveexec_b64 s[20:21], s[20:21]
; %bb.13785:                            ;   in Loop: Header=BB6_12355 Depth=2
	v_mov_b32_e32 v16, v52
	v_bfe_u32 v1, v52, 23, 1
	v_mov_b32_e32 v17, v53
; %bb.13786:                            ;   in Loop: Header=BB6_12355 Depth=2
	s_or_b64 exec, exec, s[20:21]
	v_lshrrev_b64 v[2:3], 20, v[16:17]
	v_cmp_gt_i32_e32 vcc, 16, v1
	v_cndmask_b32_e32 v3, 0, v3, vcc
	v_cndmask_b32_e32 v2, 7, v2, vcc
	v_cmp_eq_u32_e32 vcc, 0, v1
	v_min_i32_e32 v1, 15, v1
	v_cmp_eq_u64_e64 s[20:21], 0, v[2:3]
	v_lshlrev_b32_e32 v1, 3, v1
	v_and_b32_e32 v1, 0xf8, v1
	v_and_or_b32 v1, v2, 7, v1
	s_and_b64 s[20:21], vcc, s[20:21]
	v_cndmask_b32_e64 v1, v1, 0, s[20:21]
	v_or_b32_e32 v0, v1, v0
	buffer_store_dword v0, off, s[0:3], s33 offset:376 ; 4-byte Folded Spill
.LBB6_13787:                            ;   in Loop: Header=BB6_12355 Depth=2
	s_or_b64 exec, exec, s[88:89]
                                        ; implicit-def: $vgpr0
.LBB6_13788:                            ;   in Loop: Header=BB6_12355 Depth=2
	s_andn2_saveexec_b64 s[20:21], s[78:79]
	s_cbranch_execz .LBB6_13790
; %bb.13789:                            ;   in Loop: Header=BB6_12355 Depth=2
	v_or_b32_e32 v0, 0x7e, v0
	buffer_store_dword v0, off, s[0:3], s33 offset:376 ; 4-byte Folded Spill
.LBB6_13790:                            ;   in Loop: Header=BB6_12355 Depth=2
	s_or_b64 exec, exec, s[20:21]
                                        ; implicit-def: $vgpr1
.LBB6_13791:                            ;   in Loop: Header=BB6_12355 Depth=2
	s_andn2_saveexec_b64 s[20:21], s[76:77]
	s_cbranch_execz .LBB6_13793
; %bb.13792:                            ;   in Loop: Header=BB6_12355 Depth=2
	v_or_b32_sdwa v0, v1, s39 dst_sel:DWORD dst_unused:UNUSED_PAD src0_sel:BYTE_3 src1_sel:DWORD
	buffer_store_dword v0, off, s[0:3], s33 offset:376 ; 4-byte Folded Spill
.LBB6_13793:                            ;   in Loop: Header=BB6_12355 Depth=2
	s_or_b64 exec, exec, s[20:21]
	v_lshrrev_b16_e32 v16, 8, v10
	v_cmp_ne_u16_e32 vcc, 0, v16
	v_mov_b32_e32 v0, 0
	s_and_saveexec_b64 s[20:21], vcc
	s_cbranch_execz .LBB6_13799
; %bb.13794:                            ;   in Loop: Header=BB6_12355 Depth=2
	v_cmp_ne_u16_e32 vcc, s48, v16
	v_bfrev_b32_e32 v0, 1
	s_and_saveexec_b64 s[76:77], vcc
	s_cbranch_execz .LBB6_13798
; %bb.13795:                            ;   in Loop: Header=BB6_12355 Depth=2
	v_and_b32_e32 v1, 0x7f, v16
	v_cmp_ne_u32_e32 vcc, s39, v1
	v_mov_b32_e32 v0, 0x7f800001
	s_and_saveexec_b64 s[78:79], vcc
	s_cbranch_execz .LBB6_13797
; %bb.13796:                            ;   in Loop: Header=BB6_12355 Depth=2
	v_and_b32_e32 v2, 7, v16
	v_ffbh_u32_e32 v0, v2
	v_min_u32_e32 v4, 32, v0
	v_subrev_u32_e32 v0, 28, v4
	v_lshrrev_b32_e32 v3, 3, v1
	v_cmp_gt_u32_e32 vcc, 8, v1
	v_lshlrev_b64 v[0:1], v0, v[16:17]
	v_sub_u32_e32 v1, 29, v4
	v_and_b32_e32 v0, 7, v0
	v_cndmask_b32_e32 v1, v3, v1, vcc
	v_cndmask_b32_e32 v0, v2, v0, vcc
	v_lshlrev_b32_e32 v2, 16, v10
	v_bfrev_b32_e32 v3, 60
	v_lshlrev_b32_e32 v0, 20, v0
	v_and_b32_e32 v2, 0x80000000, v2
	v_lshl_add_u32 v1, v1, 23, v3
	v_or3_b32 v0, v2, v1, v0
.LBB6_13797:                            ;   in Loop: Header=BB6_12355 Depth=2
	s_or_b64 exec, exec, s[78:79]
.LBB6_13798:                            ;   in Loop: Header=BB6_12355 Depth=2
	s_or_b64 exec, exec, s[76:77]
.LBB6_13799:                            ;   in Loop: Header=BB6_12355 Depth=2
	s_or_b64 exec, exec, s[20:21]
	v_mul_f32_e32 v1, v19, v0
	v_and_b32_e32 v52, 0x7f800000, v1
	v_cmp_ne_u64_e32 vcc, s[46:47], v[52:53]
                                        ; implicit-def: $vgpr0
                                        ; kill: killed $vgpr0
	s_and_saveexec_b64 s[20:21], vcc
	s_xor_b64 s[76:77], exec, s[20:21]
	s_cbranch_execz .LBB6_13813
; %bb.13800:                            ;   in Loop: Header=BB6_12355 Depth=2
	v_and_b32_e32 v52, 0x7fffffff, v1
	v_cmp_gt_u64_e32 vcc, s[56:57], v[52:53]
	v_and_b32_sdwa v0, v1, s48 dst_sel:DWORD dst_unused:UNUSED_PAD src0_sel:BYTE_3 src1_sel:DWORD
                                        ; implicit-def: $vgpr2
                                        ; kill: killed $vgpr2
	s_and_saveexec_b64 s[20:21], vcc
	s_xor_b64 s[78:79], exec, s[20:21]
	s_cbranch_execz .LBB6_13810
; %bb.13801:                            ;   in Loop: Header=BB6_12355 Depth=2
	v_mov_b32_e32 v2, 0
	v_cmp_ne_u32_e32 vcc, 0, v1
	buffer_store_dword v2, off, s[0:3], s33 offset:384 ; 4-byte Folded Spill
	s_and_saveexec_b64 s[88:89], vcc
	s_cbranch_execz .LBB6_13809
; %bb.13802:                            ;   in Loop: Header=BB6_12355 Depth=2
	v_and_b32_e32 v3, 0x7fffff, v1
	v_bfe_u32 v1, v1, 23, 8
	v_cmp_gt_u32_e64 s[20:21], s49, v1
	v_sub_u32_e32 v2, 0x79, v1
	v_cmp_eq_u32_e32 vcc, 0, v1
	v_cndmask_b32_e64 v2, 0, v2, s[20:21]
	v_mov_b32_e32 v5, 0x78
	v_or_b32_e32 v4, 0x800000, v3
	v_cndmask_b32_e32 v2, v2, v5, vcc
	v_cndmask_b32_e32 v52, v4, v3, vcc
	v_add_u32_e32 v3, 20, v2
	v_lshlrev_b64 v[3:4], v3, -1
	v_add_u32_e32 v5, 19, v2
	v_lshlrev_b64 v[5:6], v5, 1
	v_lshrrev_b64 v[16:17], v2, v[52:53]
	v_bfi_b32 v4, v4, 0, 0
	v_bfi_b32 v3, v3, 0, v52
	v_cmp_eq_u64_e64 s[20:21], v[3:4], v[5:6]
	v_mov_b32_e32 v18, v17
	v_mov_b32_e32 v17, v16
	s_and_saveexec_b64 s[90:91], s[20:21]
; %bb.13803:                            ;   in Loop: Header=BB6_12355 Depth=2
	v_bfe_u32 v3, v16, 20, 1
	v_add_co_u32_e64 v3, s[20:21], v16, v3
	v_add_co_u32_e64 v17, s[20:21], -1, v3
; %bb.13804:                            ;   in Loop: Header=BB6_12355 Depth=2
	s_or_b64 exec, exec, s[90:91]
	v_add_u32_e32 v1, 0xffffff81, v1
	v_mov_b32_e32 v3, 0xffffff82
	v_cndmask_b32_e32 v1, v1, v3, vcc
	v_lshrrev_b32_e32 v3, 23, v16
	v_add3_u32 v3, v2, v1, v3
	v_add_u32_e32 v2, 6, v3
	v_and_b32_e32 v1, 0xfffff, v17
	v_add_u32_e32 v52, v1, v16
	v_cmp_ne_u32_e32 vcc, 0, v2
                                        ; implicit-def: $vgpr16_vgpr17
                                        ; implicit-def: $vgpr1
	s_and_saveexec_b64 s[20:21], vcc
	s_xor_b64 s[20:21], exec, s[20:21]
; %bb.13805:                            ;   in Loop: Header=BB6_12355 Depth=2
	v_cmp_lt_u64_e32 vcc, s[58:59], v[52:53]
	v_add_u32_e32 v1, 7, v3
	v_cndmask_b32_e32 v1, v2, v1, vcc
	v_cndmask_b32_e64 v2, 0, 1, vcc
	v_lshrrev_b64 v[16:17], v2, v[52:53]
; %bb.13806:                            ;   in Loop: Header=BB6_12355 Depth=2
	s_andn2_saveexec_b64 s[20:21], s[20:21]
; %bb.13807:                            ;   in Loop: Header=BB6_12355 Depth=2
	v_mov_b32_e32 v16, v52
	v_bfe_u32 v1, v52, 23, 1
	v_mov_b32_e32 v17, v53
; %bb.13808:                            ;   in Loop: Header=BB6_12355 Depth=2
	s_or_b64 exec, exec, s[20:21]
	v_lshrrev_b64 v[2:3], 20, v[16:17]
	v_cmp_gt_i32_e32 vcc, 16, v1
	v_cndmask_b32_e32 v3, 0, v3, vcc
	v_cndmask_b32_e32 v2, 7, v2, vcc
	v_cmp_eq_u32_e32 vcc, 0, v1
	v_min_i32_e32 v1, 15, v1
	v_cmp_eq_u64_e64 s[20:21], 0, v[2:3]
	v_lshlrev_b32_e32 v1, 3, v1
	v_and_b32_e32 v1, 0xf8, v1
	v_and_or_b32 v1, v2, 7, v1
	s_and_b64 s[20:21], vcc, s[20:21]
	v_cndmask_b32_e64 v1, v1, 0, s[20:21]
	v_or_b32_e32 v0, v1, v0
	buffer_store_dword v0, off, s[0:3], s33 offset:384 ; 4-byte Folded Spill
.LBB6_13809:                            ;   in Loop: Header=BB6_12355 Depth=2
	s_or_b64 exec, exec, s[88:89]
                                        ; implicit-def: $vgpr0
.LBB6_13810:                            ;   in Loop: Header=BB6_12355 Depth=2
	s_andn2_saveexec_b64 s[20:21], s[78:79]
	s_cbranch_execz .LBB6_13812
; %bb.13811:                            ;   in Loop: Header=BB6_12355 Depth=2
	v_or_b32_e32 v0, 0x7e, v0
	buffer_store_dword v0, off, s[0:3], s33 offset:384 ; 4-byte Folded Spill
.LBB6_13812:                            ;   in Loop: Header=BB6_12355 Depth=2
	s_or_b64 exec, exec, s[20:21]
                                        ; implicit-def: $vgpr1
.LBB6_13813:                            ;   in Loop: Header=BB6_12355 Depth=2
	s_andn2_saveexec_b64 s[20:21], s[76:77]
	s_cbranch_execz .LBB6_13815
; %bb.13814:                            ;   in Loop: Header=BB6_12355 Depth=2
	v_or_b32_sdwa v0, v1, s39 dst_sel:DWORD dst_unused:UNUSED_PAD src0_sel:BYTE_3 src1_sel:DWORD
	buffer_store_dword v0, off, s[0:3], s33 offset:384 ; 4-byte Folded Spill
.LBB6_13815:                            ;   in Loop: Header=BB6_12355 Depth=2
	s_or_b64 exec, exec, s[20:21]
	v_lshrrev_b32_e32 v16, 16, v10
	v_cmp_ne_u16_sdwa s[76:77], v16, v53 src0_sel:BYTE_0 src1_sel:DWORD
	v_mov_b32_e32 v0, 0
	s_and_saveexec_b64 s[20:21], s[76:77]
	s_cbranch_execz .LBB6_13821
; %bb.13816:                            ;   in Loop: Header=BB6_12355 Depth=2
	v_cmp_ne_u16_sdwa s[78:79], v16, s48 src0_sel:BYTE_0 src1_sel:DWORD
	v_bfrev_b32_e32 v0, 1
	s_and_saveexec_b64 s[76:77], s[78:79]
	s_cbranch_execz .LBB6_13820
; %bb.13817:                            ;   in Loop: Header=BB6_12355 Depth=2
	v_bfe_u32 v1, v10, 16, 7
	v_cmp_ne_u32_e32 vcc, s39, v1
	v_mov_b32_e32 v0, 0x7f800001
	s_and_saveexec_b64 s[78:79], vcc
	s_cbranch_execz .LBB6_13819
; %bb.13818:                            ;   in Loop: Header=BB6_12355 Depth=2
	v_and_b32_e32 v2, 7, v16
	v_ffbh_u32_e32 v0, v2
	v_min_u32_e32 v4, 32, v0
	v_subrev_u32_e32 v0, 28, v4
	v_lshrrev_b32_e32 v3, 3, v1
	v_cmp_gt_u32_e32 vcc, 8, v1
	v_lshlrev_b64 v[0:1], v0, v[16:17]
	v_sub_u32_e32 v1, 29, v4
	v_and_b32_e32 v0, 7, v0
	v_cndmask_b32_e32 v1, v3, v1, vcc
	v_cndmask_b32_e32 v0, v2, v0, vcc
	v_lshlrev_b32_e32 v2, 24, v16
	v_bfrev_b32_e32 v3, 60
	v_lshlrev_b32_e32 v0, 20, v0
	v_and_b32_e32 v2, 0x80000000, v2
	v_lshl_add_u32 v1, v1, 23, v3
	v_or3_b32 v0, v2, v1, v0
.LBB6_13819:                            ;   in Loop: Header=BB6_12355 Depth=2
	s_or_b64 exec, exec, s[78:79]
.LBB6_13820:                            ;   in Loop: Header=BB6_12355 Depth=2
	s_or_b64 exec, exec, s[76:77]
.LBB6_13821:                            ;   in Loop: Header=BB6_12355 Depth=2
	s_or_b64 exec, exec, s[20:21]
	v_mul_f32_e32 v1, v19, v0
	v_and_b32_e32 v52, 0x7f800000, v1
	v_cmp_ne_u64_e32 vcc, s[46:47], v[52:53]
                                        ; implicit-def: $vgpr0
                                        ; kill: killed $vgpr0
	s_and_saveexec_b64 s[20:21], vcc
	s_xor_b64 s[76:77], exec, s[20:21]
	s_cbranch_execz .LBB6_13835
; %bb.13822:                            ;   in Loop: Header=BB6_12355 Depth=2
	v_and_b32_e32 v52, 0x7fffffff, v1
	v_cmp_gt_u64_e32 vcc, s[56:57], v[52:53]
	v_and_b32_sdwa v0, v1, s48 dst_sel:DWORD dst_unused:UNUSED_PAD src0_sel:BYTE_3 src1_sel:DWORD
                                        ; implicit-def: $vgpr2
                                        ; kill: killed $vgpr2
	s_and_saveexec_b64 s[20:21], vcc
	s_xor_b64 s[78:79], exec, s[20:21]
	s_cbranch_execz .LBB6_13832
; %bb.13823:                            ;   in Loop: Header=BB6_12355 Depth=2
	v_mov_b32_e32 v2, 0
	v_cmp_ne_u32_e32 vcc, 0, v1
	buffer_store_dword v2, off, s[0:3], s33 offset:392 ; 4-byte Folded Spill
	s_and_saveexec_b64 s[88:89], vcc
	s_cbranch_execz .LBB6_13831
; %bb.13824:                            ;   in Loop: Header=BB6_12355 Depth=2
	v_and_b32_e32 v3, 0x7fffff, v1
	v_bfe_u32 v1, v1, 23, 8
	v_cmp_gt_u32_e64 s[20:21], s49, v1
	v_sub_u32_e32 v2, 0x79, v1
	v_cmp_eq_u32_e32 vcc, 0, v1
	v_cndmask_b32_e64 v2, 0, v2, s[20:21]
	v_mov_b32_e32 v5, 0x78
	v_or_b32_e32 v4, 0x800000, v3
	v_cndmask_b32_e32 v2, v2, v5, vcc
	v_cndmask_b32_e32 v52, v4, v3, vcc
	v_add_u32_e32 v3, 20, v2
	v_lshlrev_b64 v[3:4], v3, -1
	v_add_u32_e32 v5, 19, v2
	v_lshlrev_b64 v[5:6], v5, 1
	v_lshrrev_b64 v[16:17], v2, v[52:53]
	v_bfi_b32 v4, v4, 0, 0
	v_bfi_b32 v3, v3, 0, v52
	v_cmp_eq_u64_e64 s[20:21], v[3:4], v[5:6]
	v_mov_b32_e32 v18, v17
	v_mov_b32_e32 v17, v16
	s_and_saveexec_b64 s[90:91], s[20:21]
; %bb.13825:                            ;   in Loop: Header=BB6_12355 Depth=2
	v_bfe_u32 v3, v16, 20, 1
	v_add_co_u32_e64 v3, s[20:21], v16, v3
	v_add_co_u32_e64 v17, s[20:21], -1, v3
; %bb.13826:                            ;   in Loop: Header=BB6_12355 Depth=2
	s_or_b64 exec, exec, s[90:91]
	v_add_u32_e32 v1, 0xffffff81, v1
	v_mov_b32_e32 v3, 0xffffff82
	v_cndmask_b32_e32 v1, v1, v3, vcc
	v_lshrrev_b32_e32 v3, 23, v16
	v_add3_u32 v3, v2, v1, v3
	v_add_u32_e32 v2, 6, v3
	v_and_b32_e32 v1, 0xfffff, v17
	v_add_u32_e32 v52, v1, v16
	v_cmp_ne_u32_e32 vcc, 0, v2
                                        ; implicit-def: $vgpr16_vgpr17
                                        ; implicit-def: $vgpr1
	s_and_saveexec_b64 s[20:21], vcc
	s_xor_b64 s[20:21], exec, s[20:21]
; %bb.13827:                            ;   in Loop: Header=BB6_12355 Depth=2
	v_cmp_lt_u64_e32 vcc, s[58:59], v[52:53]
	v_add_u32_e32 v1, 7, v3
	v_cndmask_b32_e32 v1, v2, v1, vcc
	v_cndmask_b32_e64 v2, 0, 1, vcc
	v_lshrrev_b64 v[16:17], v2, v[52:53]
; %bb.13828:                            ;   in Loop: Header=BB6_12355 Depth=2
	s_andn2_saveexec_b64 s[20:21], s[20:21]
; %bb.13829:                            ;   in Loop: Header=BB6_12355 Depth=2
	v_mov_b32_e32 v16, v52
	v_bfe_u32 v1, v52, 23, 1
	v_mov_b32_e32 v17, v53
; %bb.13830:                            ;   in Loop: Header=BB6_12355 Depth=2
	s_or_b64 exec, exec, s[20:21]
	v_lshrrev_b64 v[2:3], 20, v[16:17]
	v_cmp_gt_i32_e32 vcc, 16, v1
	v_cndmask_b32_e32 v3, 0, v3, vcc
	v_cndmask_b32_e32 v2, 7, v2, vcc
	v_cmp_eq_u32_e32 vcc, 0, v1
	v_min_i32_e32 v1, 15, v1
	v_cmp_eq_u64_e64 s[20:21], 0, v[2:3]
	v_lshlrev_b32_e32 v1, 3, v1
	v_and_b32_e32 v1, 0xf8, v1
	v_and_or_b32 v1, v2, 7, v1
	s_and_b64 s[20:21], vcc, s[20:21]
	v_cndmask_b32_e64 v1, v1, 0, s[20:21]
	v_or_b32_e32 v0, v1, v0
	buffer_store_dword v0, off, s[0:3], s33 offset:392 ; 4-byte Folded Spill
.LBB6_13831:                            ;   in Loop: Header=BB6_12355 Depth=2
	s_or_b64 exec, exec, s[88:89]
                                        ; implicit-def: $vgpr0
.LBB6_13832:                            ;   in Loop: Header=BB6_12355 Depth=2
	s_andn2_saveexec_b64 s[20:21], s[78:79]
	s_cbranch_execz .LBB6_13834
; %bb.13833:                            ;   in Loop: Header=BB6_12355 Depth=2
	v_or_b32_e32 v0, 0x7e, v0
	buffer_store_dword v0, off, s[0:3], s33 offset:392 ; 4-byte Folded Spill
.LBB6_13834:                            ;   in Loop: Header=BB6_12355 Depth=2
	s_or_b64 exec, exec, s[20:21]
                                        ; implicit-def: $vgpr1
.LBB6_13835:                            ;   in Loop: Header=BB6_12355 Depth=2
	s_andn2_saveexec_b64 s[20:21], s[76:77]
	s_cbranch_execz .LBB6_13837
; %bb.13836:                            ;   in Loop: Header=BB6_12355 Depth=2
	v_or_b32_sdwa v0, v1, s39 dst_sel:DWORD dst_unused:UNUSED_PAD src0_sel:BYTE_3 src1_sel:DWORD
	buffer_store_dword v0, off, s[0:3], s33 offset:392 ; 4-byte Folded Spill
.LBB6_13837:                            ;   in Loop: Header=BB6_12355 Depth=2
	s_or_b64 exec, exec, s[20:21]
	v_cmp_lt_u32_e32 vcc, s61, v10
	v_mov_b32_e32 v0, 0
	s_and_saveexec_b64 s[20:21], vcc
	s_cbranch_execz .LBB6_13843
; %bb.13838:                            ;   in Loop: Header=BB6_12355 Depth=2
	v_lshrrev_b32_e32 v16, 24, v10
	v_cmp_ne_u32_e32 vcc, s48, v16
	v_bfrev_b32_e32 v0, 1
	s_and_saveexec_b64 s[76:77], vcc
	s_cbranch_execz .LBB6_13842
; %bb.13839:                            ;   in Loop: Header=BB6_12355 Depth=2
	v_bfe_u32 v1, v10, 24, 7
	v_cmp_ne_u32_e32 vcc, s39, v1
	v_mov_b32_e32 v0, 0x7f800001
	s_and_saveexec_b64 s[78:79], vcc
	s_cbranch_execz .LBB6_13841
; %bb.13840:                            ;   in Loop: Header=BB6_12355 Depth=2
	v_and_b32_e32 v2, 7, v16
	v_ffbh_u32_e32 v0, v2
	v_min_u32_e32 v4, 32, v0
	v_subrev_u32_e32 v0, 28, v4
	v_lshrrev_b32_e32 v3, 3, v1
	v_cmp_gt_u32_e32 vcc, 8, v1
	v_lshlrev_b64 v[0:1], v0, v[16:17]
	v_sub_u32_e32 v1, 29, v4
	v_and_b32_e32 v0, 7, v0
	v_cndmask_b32_e32 v1, v3, v1, vcc
	v_cndmask_b32_e32 v0, v2, v0, vcc
	v_lshlrev_b32_e32 v2, 24, v16
	v_bfrev_b32_e32 v3, 60
	v_lshlrev_b32_e32 v0, 20, v0
	v_and_b32_e32 v2, 0x80000000, v2
	v_lshl_add_u32 v1, v1, 23, v3
	v_or3_b32 v0, v2, v1, v0
.LBB6_13841:                            ;   in Loop: Header=BB6_12355 Depth=2
	s_or_b64 exec, exec, s[78:79]
.LBB6_13842:                            ;   in Loop: Header=BB6_12355 Depth=2
	s_or_b64 exec, exec, s[76:77]
.LBB6_13843:                            ;   in Loop: Header=BB6_12355 Depth=2
	s_or_b64 exec, exec, s[20:21]
	v_mul_f32_e32 v1, v19, v0
	v_and_b32_e32 v52, 0x7f800000, v1
	v_cmp_ne_u64_e32 vcc, s[46:47], v[52:53]
                                        ; implicit-def: $vgpr0
                                        ; kill: killed $vgpr0
	s_and_saveexec_b64 s[20:21], vcc
	s_xor_b64 s[76:77], exec, s[20:21]
	s_cbranch_execz .LBB6_13857
; %bb.13844:                            ;   in Loop: Header=BB6_12355 Depth=2
	v_and_b32_e32 v52, 0x7fffffff, v1
	v_cmp_gt_u64_e32 vcc, s[56:57], v[52:53]
	v_and_b32_sdwa v0, v1, s48 dst_sel:DWORD dst_unused:UNUSED_PAD src0_sel:BYTE_3 src1_sel:DWORD
                                        ; implicit-def: $vgpr2
                                        ; kill: killed $vgpr2
	s_and_saveexec_b64 s[20:21], vcc
	s_xor_b64 s[78:79], exec, s[20:21]
	s_cbranch_execz .LBB6_13854
; %bb.13845:                            ;   in Loop: Header=BB6_12355 Depth=2
	v_mov_b32_e32 v2, 0
	v_cmp_ne_u32_e32 vcc, 0, v1
	buffer_store_dword v2, off, s[0:3], s33 offset:400 ; 4-byte Folded Spill
	s_and_saveexec_b64 s[88:89], vcc
	s_cbranch_execz .LBB6_13853
; %bb.13846:                            ;   in Loop: Header=BB6_12355 Depth=2
	v_and_b32_e32 v3, 0x7fffff, v1
	v_bfe_u32 v1, v1, 23, 8
	v_cmp_gt_u32_e64 s[20:21], s49, v1
	v_sub_u32_e32 v2, 0x79, v1
	v_cmp_eq_u32_e32 vcc, 0, v1
	v_cndmask_b32_e64 v2, 0, v2, s[20:21]
	v_mov_b32_e32 v5, 0x78
	v_or_b32_e32 v4, 0x800000, v3
	v_cndmask_b32_e32 v2, v2, v5, vcc
	v_cndmask_b32_e32 v52, v4, v3, vcc
	v_add_u32_e32 v3, 20, v2
	v_lshlrev_b64 v[3:4], v3, -1
	v_add_u32_e32 v5, 19, v2
	v_lshlrev_b64 v[5:6], v5, 1
	v_lshrrev_b64 v[16:17], v2, v[52:53]
	v_bfi_b32 v4, v4, 0, 0
	v_bfi_b32 v3, v3, 0, v52
	v_cmp_eq_u64_e64 s[20:21], v[3:4], v[5:6]
	v_mov_b32_e32 v18, v17
	v_mov_b32_e32 v17, v16
	s_and_saveexec_b64 s[90:91], s[20:21]
; %bb.13847:                            ;   in Loop: Header=BB6_12355 Depth=2
	v_bfe_u32 v3, v16, 20, 1
	v_add_co_u32_e64 v3, s[20:21], v16, v3
	v_add_co_u32_e64 v17, s[20:21], -1, v3
; %bb.13848:                            ;   in Loop: Header=BB6_12355 Depth=2
	s_or_b64 exec, exec, s[90:91]
	v_add_u32_e32 v1, 0xffffff81, v1
	v_mov_b32_e32 v3, 0xffffff82
	v_cndmask_b32_e32 v1, v1, v3, vcc
	v_lshrrev_b32_e32 v3, 23, v16
	v_add3_u32 v3, v2, v1, v3
	v_add_u32_e32 v2, 6, v3
	v_and_b32_e32 v1, 0xfffff, v17
	v_add_u32_e32 v52, v1, v16
	v_cmp_ne_u32_e32 vcc, 0, v2
                                        ; implicit-def: $vgpr16_vgpr17
                                        ; implicit-def: $vgpr1
	s_and_saveexec_b64 s[20:21], vcc
	s_xor_b64 s[20:21], exec, s[20:21]
; %bb.13849:                            ;   in Loop: Header=BB6_12355 Depth=2
	v_cmp_lt_u64_e32 vcc, s[58:59], v[52:53]
	v_add_u32_e32 v1, 7, v3
	v_cndmask_b32_e32 v1, v2, v1, vcc
	v_cndmask_b32_e64 v2, 0, 1, vcc
	v_lshrrev_b64 v[16:17], v2, v[52:53]
; %bb.13850:                            ;   in Loop: Header=BB6_12355 Depth=2
	s_andn2_saveexec_b64 s[20:21], s[20:21]
; %bb.13851:                            ;   in Loop: Header=BB6_12355 Depth=2
	v_mov_b32_e32 v16, v52
	v_bfe_u32 v1, v52, 23, 1
	v_mov_b32_e32 v17, v53
; %bb.13852:                            ;   in Loop: Header=BB6_12355 Depth=2
	s_or_b64 exec, exec, s[20:21]
	v_lshrrev_b64 v[2:3], 20, v[16:17]
	v_cmp_gt_i32_e32 vcc, 16, v1
	v_cndmask_b32_e32 v3, 0, v3, vcc
	v_cndmask_b32_e32 v2, 7, v2, vcc
	v_cmp_eq_u32_e32 vcc, 0, v1
	v_min_i32_e32 v1, 15, v1
	v_cmp_eq_u64_e64 s[20:21], 0, v[2:3]
	v_lshlrev_b32_e32 v1, 3, v1
	v_and_b32_e32 v1, 0xf8, v1
	v_and_or_b32 v1, v2, 7, v1
	s_and_b64 s[20:21], vcc, s[20:21]
	v_cndmask_b32_e64 v1, v1, 0, s[20:21]
	v_or_b32_e32 v0, v1, v0
	buffer_store_dword v0, off, s[0:3], s33 offset:400 ; 4-byte Folded Spill
.LBB6_13853:                            ;   in Loop: Header=BB6_12355 Depth=2
	s_or_b64 exec, exec, s[88:89]
                                        ; implicit-def: $vgpr0
.LBB6_13854:                            ;   in Loop: Header=BB6_12355 Depth=2
	s_andn2_saveexec_b64 s[20:21], s[78:79]
	s_cbranch_execz .LBB6_13856
; %bb.13855:                            ;   in Loop: Header=BB6_12355 Depth=2
	v_or_b32_e32 v0, 0x7e, v0
	buffer_store_dword v0, off, s[0:3], s33 offset:400 ; 4-byte Folded Spill
.LBB6_13856:                            ;   in Loop: Header=BB6_12355 Depth=2
	s_or_b64 exec, exec, s[20:21]
                                        ; implicit-def: $vgpr1
.LBB6_13857:                            ;   in Loop: Header=BB6_12355 Depth=2
	s_andn2_saveexec_b64 s[20:21], s[76:77]
	s_cbranch_execz .LBB6_13859
; %bb.13858:                            ;   in Loop: Header=BB6_12355 Depth=2
	v_or_b32_sdwa v0, v1, s39 dst_sel:DWORD dst_unused:UNUSED_PAD src0_sel:BYTE_3 src1_sel:DWORD
	buffer_store_dword v0, off, s[0:3], s33 offset:400 ; 4-byte Folded Spill
.LBB6_13859:                            ;   in Loop: Header=BB6_12355 Depth=2
	s_or_b64 exec, exec, s[20:21]
	v_mov_b32_e32 v52, v11
	v_cmp_ne_u16_sdwa s[76:77], v11, v53 src0_sel:BYTE_0 src1_sel:DWORD
	v_mov_b32_e32 v0, 0
	s_and_saveexec_b64 s[20:21], s[76:77]
	s_cbranch_execz .LBB6_13865
; %bb.13860:                            ;   in Loop: Header=BB6_12355 Depth=2
	v_cmp_ne_u16_sdwa s[78:79], v11, s48 src0_sel:BYTE_0 src1_sel:DWORD
	v_bfrev_b32_e32 v0, 1
	s_and_saveexec_b64 s[76:77], s[78:79]
	s_cbranch_execz .LBB6_13864
; %bb.13861:                            ;   in Loop: Header=BB6_12355 Depth=2
	v_and_b32_e32 v1, 0x7f, v11
	v_cmp_ne_u32_e32 vcc, s39, v1
	v_mov_b32_e32 v0, 0x7f800001
	s_and_saveexec_b64 s[78:79], vcc
	s_cbranch_execz .LBB6_13863
; %bb.13862:                            ;   in Loop: Header=BB6_12355 Depth=2
	v_and_b32_e32 v0, 7, v11
	v_ffbh_u32_e32 v0, v0
	v_min_u32_e32 v0, 32, v0
	v_lshrrev_b32_e32 v2, 3, v1
	v_cmp_gt_u32_e32 vcc, 8, v1
	v_subrev_u32_e32 v1, 28, v0
	v_sub_u32_e32 v0, 29, v0
	v_cndmask_b32_e32 v2, v2, v0, vcc
	v_cndmask_b32_e32 v0, 0, v1, vcc
	v_lshlrev_b64 v[0:1], v0, v[52:53]
	v_lshlrev_b32_e32 v1, 24, v52
	v_lshlrev_b32_e32 v0, 20, v0
	v_bfrev_b32_e32 v3, 60
	v_and_b32_e32 v0, 0x700000, v0
	v_and_b32_e32 v1, 0x80000000, v1
	v_lshl_add_u32 v2, v2, 23, v3
	v_or3_b32 v0, v1, v2, v0
.LBB6_13863:                            ;   in Loop: Header=BB6_12355 Depth=2
	s_or_b64 exec, exec, s[78:79]
.LBB6_13864:                            ;   in Loop: Header=BB6_12355 Depth=2
	s_or_b64 exec, exec, s[76:77]
.LBB6_13865:                            ;   in Loop: Header=BB6_12355 Depth=2
	s_or_b64 exec, exec, s[20:21]
	v_mul_f32_e32 v1, v19, v0
	v_and_b32_e32 v2, 0x7f800000, v1
	v_mov_b32_e32 v3, v53
	v_cmp_ne_u64_e32 vcc, s[46:47], v[2:3]
                                        ; implicit-def: $vgpr0
                                        ; kill: killed $vgpr0
	s_and_saveexec_b64 s[20:21], vcc
	s_xor_b64 s[76:77], exec, s[20:21]
	s_cbranch_execz .LBB6_13879
; %bb.13866:                            ;   in Loop: Header=BB6_12355 Depth=2
	v_and_b32_e32 v2, 0x7fffffff, v1
	v_mov_b32_e32 v3, v53
	v_cmp_gt_u64_e32 vcc, s[56:57], v[2:3]
	v_and_b32_sdwa v0, v1, s48 dst_sel:DWORD dst_unused:UNUSED_PAD src0_sel:BYTE_3 src1_sel:DWORD
                                        ; implicit-def: $vgpr2
                                        ; kill: killed $vgpr2
	s_and_saveexec_b64 s[20:21], vcc
	s_xor_b64 s[78:79], exec, s[20:21]
	s_cbranch_execz .LBB6_13876
; %bb.13867:                            ;   in Loop: Header=BB6_12355 Depth=2
	v_mov_b32_e32 v2, 0
	v_cmp_ne_u32_e32 vcc, 0, v1
	buffer_store_dword v2, off, s[0:3], s33 offset:404 ; 4-byte Folded Spill
	s_and_saveexec_b64 s[88:89], vcc
	s_cbranch_execz .LBB6_13875
; %bb.13868:                            ;   in Loop: Header=BB6_12355 Depth=2
	v_and_b32_e32 v3, 0x7fffff, v1
	v_bfe_u32 v1, v1, 23, 8
	v_cmp_gt_u32_e64 s[20:21], s49, v1
	v_sub_u32_e32 v2, 0x79, v1
	v_cmp_eq_u32_e32 vcc, 0, v1
	v_cndmask_b32_e64 v2, 0, v2, s[20:21]
	v_mov_b32_e32 v5, 0x78
	v_cndmask_b32_e32 v2, v2, v5, vcc
	v_add_u32_e32 v5, 20, v2
	v_or_b32_e32 v4, 0x800000, v3
	v_lshlrev_b64 v[5:6], v5, -1
	v_add_u32_e32 v7, 19, v2
	v_cndmask_b32_e32 v3, v4, v3, vcc
	v_lshlrev_b64 v[16:17], v7, 1
	v_mov_b32_e32 v4, v53
	v_bfi_b32 v6, v6, 0, 0
	v_bfi_b32 v5, v5, 0, v3
	v_cmp_eq_u64_e64 s[20:21], v[5:6], v[16:17]
	v_lshrrev_b64 v[16:17], v2, v[3:4]
	v_mov_b32_e32 v18, v17
	v_mov_b32_e32 v17, v16
	s_and_saveexec_b64 s[90:91], s[20:21]
; %bb.13869:                            ;   in Loop: Header=BB6_12355 Depth=2
	v_bfe_u32 v3, v16, 20, 1
	v_add_co_u32_e64 v3, s[20:21], v16, v3
	v_add_co_u32_e64 v17, s[20:21], -1, v3
; %bb.13870:                            ;   in Loop: Header=BB6_12355 Depth=2
	s_or_b64 exec, exec, s[90:91]
	v_add_u32_e32 v1, 0xffffff81, v1
	v_mov_b32_e32 v3, 0xffffff82
	v_cndmask_b32_e32 v1, v1, v3, vcc
	v_lshrrev_b32_e32 v3, 23, v16
	v_add3_u32 v3, v2, v1, v3
	v_add_u32_e32 v2, 6, v3
	v_and_b32_e32 v1, 0xfffff, v17
	v_add_u32_e32 v16, v1, v16
	v_mov_b32_e32 v17, v53
	v_cmp_ne_u32_e32 vcc, 0, v2
                                        ; implicit-def: $vgpr1
	s_and_saveexec_b64 s[20:21], vcc
	s_xor_b64 s[20:21], exec, s[20:21]
; %bb.13871:                            ;   in Loop: Header=BB6_12355 Depth=2
	v_cmp_lt_u64_e32 vcc, s[58:59], v[16:17]
	v_add_u32_e32 v1, 7, v3
	v_cndmask_b32_e32 v1, v2, v1, vcc
	v_cndmask_b32_e64 v2, 0, 1, vcc
	v_lshrrev_b64 v[16:17], v2, v[16:17]
; %bb.13872:                            ;   in Loop: Header=BB6_12355 Depth=2
	s_andn2_saveexec_b64 s[20:21], s[20:21]
; %bb.13873:                            ;   in Loop: Header=BB6_12355 Depth=2
	v_bfe_u32 v1, v16, 23, 1
; %bb.13874:                            ;   in Loop: Header=BB6_12355 Depth=2
	s_or_b64 exec, exec, s[20:21]
	v_lshrrev_b64 v[2:3], 20, v[16:17]
	v_cmp_gt_i32_e32 vcc, 16, v1
	v_cndmask_b32_e32 v3, 0, v3, vcc
	v_cndmask_b32_e32 v2, 7, v2, vcc
	v_cmp_eq_u32_e32 vcc, 0, v1
	v_min_i32_e32 v1, 15, v1
	v_cmp_eq_u64_e64 s[20:21], 0, v[2:3]
	v_lshlrev_b32_e32 v1, 3, v1
	v_and_b32_e32 v1, 0xf8, v1
	v_and_or_b32 v1, v2, 7, v1
	s_and_b64 s[20:21], vcc, s[20:21]
	v_cndmask_b32_e64 v1, v1, 0, s[20:21]
	v_or_b32_e32 v0, v1, v0
	buffer_store_dword v0, off, s[0:3], s33 offset:404 ; 4-byte Folded Spill
.LBB6_13875:                            ;   in Loop: Header=BB6_12355 Depth=2
	s_or_b64 exec, exec, s[88:89]
                                        ; implicit-def: $vgpr0
.LBB6_13876:                            ;   in Loop: Header=BB6_12355 Depth=2
	s_andn2_saveexec_b64 s[20:21], s[78:79]
	s_cbranch_execz .LBB6_13878
; %bb.13877:                            ;   in Loop: Header=BB6_12355 Depth=2
	v_or_b32_e32 v0, 0x7e, v0
	buffer_store_dword v0, off, s[0:3], s33 offset:404 ; 4-byte Folded Spill
.LBB6_13878:                            ;   in Loop: Header=BB6_12355 Depth=2
	s_or_b64 exec, exec, s[20:21]
                                        ; implicit-def: $vgpr1
.LBB6_13879:                            ;   in Loop: Header=BB6_12355 Depth=2
	s_andn2_saveexec_b64 s[20:21], s[76:77]
	s_cbranch_execz .LBB6_13881
; %bb.13880:                            ;   in Loop: Header=BB6_12355 Depth=2
	v_or_b32_sdwa v0, v1, s39 dst_sel:DWORD dst_unused:UNUSED_PAD src0_sel:BYTE_3 src1_sel:DWORD
	buffer_store_dword v0, off, s[0:3], s33 offset:404 ; 4-byte Folded Spill
.LBB6_13881:                            ;   in Loop: Header=BB6_12355 Depth=2
	s_or_b64 exec, exec, s[20:21]
	v_lshrrev_b16_e32 v16, 8, v52
	v_cmp_ne_u16_e32 vcc, 0, v16
	v_mov_b32_e32 v0, 0
	s_and_saveexec_b64 s[20:21], vcc
	s_cbranch_execz .LBB6_13887
; %bb.13882:                            ;   in Loop: Header=BB6_12355 Depth=2
	v_cmp_ne_u16_e32 vcc, s48, v16
	v_bfrev_b32_e32 v0, 1
	s_and_saveexec_b64 s[76:77], vcc
	s_cbranch_execz .LBB6_13886
; %bb.13883:                            ;   in Loop: Header=BB6_12355 Depth=2
	v_and_b32_e32 v1, 0x7f, v16
	v_cmp_ne_u32_e32 vcc, s39, v1
	v_mov_b32_e32 v0, 0x7f800001
	s_and_saveexec_b64 s[78:79], vcc
	s_cbranch_execz .LBB6_13885
; %bb.13884:                            ;   in Loop: Header=BB6_12355 Depth=2
	v_and_b32_e32 v2, 7, v16
	v_ffbh_u32_e32 v0, v2
	v_min_u32_e32 v4, 32, v0
	v_subrev_u32_e32 v0, 28, v4
	v_lshrrev_b32_e32 v3, 3, v1
	v_cmp_gt_u32_e32 vcc, 8, v1
	v_lshlrev_b64 v[0:1], v0, v[16:17]
	v_sub_u32_e32 v1, 29, v4
	v_and_b32_e32 v0, 7, v0
	v_cndmask_b32_e32 v1, v3, v1, vcc
	v_cndmask_b32_e32 v0, v2, v0, vcc
	v_lshlrev_b32_e32 v2, 16, v52
	v_bfrev_b32_e32 v3, 60
	v_lshlrev_b32_e32 v0, 20, v0
	v_and_b32_e32 v2, 0x80000000, v2
	v_lshl_add_u32 v1, v1, 23, v3
	v_or3_b32 v0, v2, v1, v0
.LBB6_13885:                            ;   in Loop: Header=BB6_12355 Depth=2
	s_or_b64 exec, exec, s[78:79]
.LBB6_13886:                            ;   in Loop: Header=BB6_12355 Depth=2
	s_or_b64 exec, exec, s[76:77]
.LBB6_13887:                            ;   in Loop: Header=BB6_12355 Depth=2
	s_or_b64 exec, exec, s[20:21]
	v_mul_f32_e32 v1, v19, v0
	v_and_b32_e32 v52, 0x7f800000, v1
	v_cmp_ne_u64_e32 vcc, s[46:47], v[52:53]
                                        ; implicit-def: $vgpr0
                                        ; kill: killed $vgpr0
	s_and_saveexec_b64 s[20:21], vcc
	s_xor_b64 s[76:77], exec, s[20:21]
	s_cbranch_execz .LBB6_13901
; %bb.13888:                            ;   in Loop: Header=BB6_12355 Depth=2
	v_and_b32_e32 v52, 0x7fffffff, v1
	v_cmp_gt_u64_e32 vcc, s[56:57], v[52:53]
	v_and_b32_sdwa v0, v1, s48 dst_sel:DWORD dst_unused:UNUSED_PAD src0_sel:BYTE_3 src1_sel:DWORD
                                        ; implicit-def: $vgpr2
                                        ; kill: killed $vgpr2
	s_and_saveexec_b64 s[20:21], vcc
	s_xor_b64 s[78:79], exec, s[20:21]
	s_cbranch_execz .LBB6_13898
; %bb.13889:                            ;   in Loop: Header=BB6_12355 Depth=2
	v_mov_b32_e32 v2, 0
	v_cmp_ne_u32_e32 vcc, 0, v1
	buffer_store_dword v2, off, s[0:3], s33 offset:408 ; 4-byte Folded Spill
	s_and_saveexec_b64 s[88:89], vcc
	s_cbranch_execz .LBB6_13897
; %bb.13890:                            ;   in Loop: Header=BB6_12355 Depth=2
	v_and_b32_e32 v3, 0x7fffff, v1
	v_bfe_u32 v1, v1, 23, 8
	v_cmp_gt_u32_e64 s[20:21], s49, v1
	v_sub_u32_e32 v2, 0x79, v1
	v_cmp_eq_u32_e32 vcc, 0, v1
	v_cndmask_b32_e64 v2, 0, v2, s[20:21]
	v_mov_b32_e32 v5, 0x78
	v_or_b32_e32 v4, 0x800000, v3
	v_cndmask_b32_e32 v2, v2, v5, vcc
	v_cndmask_b32_e32 v52, v4, v3, vcc
	v_add_u32_e32 v3, 20, v2
	v_lshlrev_b64 v[3:4], v3, -1
	v_add_u32_e32 v5, 19, v2
	v_lshlrev_b64 v[5:6], v5, 1
	v_lshrrev_b64 v[16:17], v2, v[52:53]
	v_bfi_b32 v4, v4, 0, 0
	v_bfi_b32 v3, v3, 0, v52
	v_cmp_eq_u64_e64 s[20:21], v[3:4], v[5:6]
	v_mov_b32_e32 v18, v17
	v_mov_b32_e32 v17, v16
	s_and_saveexec_b64 s[90:91], s[20:21]
; %bb.13891:                            ;   in Loop: Header=BB6_12355 Depth=2
	v_bfe_u32 v3, v16, 20, 1
	v_add_co_u32_e64 v3, s[20:21], v16, v3
	v_add_co_u32_e64 v17, s[20:21], -1, v3
; %bb.13892:                            ;   in Loop: Header=BB6_12355 Depth=2
	s_or_b64 exec, exec, s[90:91]
	v_add_u32_e32 v1, 0xffffff81, v1
	v_mov_b32_e32 v3, 0xffffff82
	v_cndmask_b32_e32 v1, v1, v3, vcc
	v_lshrrev_b32_e32 v3, 23, v16
	v_add3_u32 v3, v2, v1, v3
	v_add_u32_e32 v2, 6, v3
	v_and_b32_e32 v1, 0xfffff, v17
	v_add_u32_e32 v52, v1, v16
	v_cmp_ne_u32_e32 vcc, 0, v2
                                        ; implicit-def: $vgpr16_vgpr17
                                        ; implicit-def: $vgpr1
	s_and_saveexec_b64 s[20:21], vcc
	s_xor_b64 s[20:21], exec, s[20:21]
; %bb.13893:                            ;   in Loop: Header=BB6_12355 Depth=2
	v_cmp_lt_u64_e32 vcc, s[58:59], v[52:53]
	v_add_u32_e32 v1, 7, v3
	v_cndmask_b32_e32 v1, v2, v1, vcc
	v_cndmask_b32_e64 v2, 0, 1, vcc
	v_lshrrev_b64 v[16:17], v2, v[52:53]
; %bb.13894:                            ;   in Loop: Header=BB6_12355 Depth=2
	s_andn2_saveexec_b64 s[20:21], s[20:21]
; %bb.13895:                            ;   in Loop: Header=BB6_12355 Depth=2
	v_mov_b32_e32 v16, v52
	v_bfe_u32 v1, v52, 23, 1
	v_mov_b32_e32 v17, v53
; %bb.13896:                            ;   in Loop: Header=BB6_12355 Depth=2
	s_or_b64 exec, exec, s[20:21]
	v_lshrrev_b64 v[2:3], 20, v[16:17]
	v_cmp_gt_i32_e32 vcc, 16, v1
	v_cndmask_b32_e32 v3, 0, v3, vcc
	v_cndmask_b32_e32 v2, 7, v2, vcc
	v_cmp_eq_u32_e32 vcc, 0, v1
	v_min_i32_e32 v1, 15, v1
	v_cmp_eq_u64_e64 s[20:21], 0, v[2:3]
	v_lshlrev_b32_e32 v1, 3, v1
	v_and_b32_e32 v1, 0xf8, v1
	v_and_or_b32 v1, v2, 7, v1
	s_and_b64 s[20:21], vcc, s[20:21]
	v_cndmask_b32_e64 v1, v1, 0, s[20:21]
	v_or_b32_e32 v0, v1, v0
	buffer_store_dword v0, off, s[0:3], s33 offset:408 ; 4-byte Folded Spill
.LBB6_13897:                            ;   in Loop: Header=BB6_12355 Depth=2
	s_or_b64 exec, exec, s[88:89]
                                        ; implicit-def: $vgpr0
.LBB6_13898:                            ;   in Loop: Header=BB6_12355 Depth=2
	s_andn2_saveexec_b64 s[20:21], s[78:79]
	s_cbranch_execz .LBB6_13900
; %bb.13899:                            ;   in Loop: Header=BB6_12355 Depth=2
	v_or_b32_e32 v0, 0x7e, v0
	buffer_store_dword v0, off, s[0:3], s33 offset:408 ; 4-byte Folded Spill
.LBB6_13900:                            ;   in Loop: Header=BB6_12355 Depth=2
	s_or_b64 exec, exec, s[20:21]
                                        ; implicit-def: $vgpr1
.LBB6_13901:                            ;   in Loop: Header=BB6_12355 Depth=2
	s_andn2_saveexec_b64 s[20:21], s[76:77]
	s_cbranch_execz .LBB6_13903
; %bb.13902:                            ;   in Loop: Header=BB6_12355 Depth=2
	v_or_b32_sdwa v0, v1, s39 dst_sel:DWORD dst_unused:UNUSED_PAD src0_sel:BYTE_3 src1_sel:DWORD
	buffer_store_dword v0, off, s[0:3], s33 offset:408 ; 4-byte Folded Spill
.LBB6_13903:                            ;   in Loop: Header=BB6_12355 Depth=2
	s_or_b64 exec, exec, s[20:21]
	v_lshrrev_b32_e32 v16, 16, v11
	v_cmp_ne_u16_sdwa s[76:77], v16, v53 src0_sel:BYTE_0 src1_sel:DWORD
	v_mov_b32_e32 v0, 0
	s_and_saveexec_b64 s[20:21], s[76:77]
	s_cbranch_execz .LBB6_13909
; %bb.13904:                            ;   in Loop: Header=BB6_12355 Depth=2
	v_cmp_ne_u16_sdwa s[78:79], v16, s48 src0_sel:BYTE_0 src1_sel:DWORD
	v_bfrev_b32_e32 v0, 1
	s_and_saveexec_b64 s[76:77], s[78:79]
	s_cbranch_execz .LBB6_13908
; %bb.13905:                            ;   in Loop: Header=BB6_12355 Depth=2
	v_bfe_u32 v1, v11, 16, 7
	v_cmp_ne_u32_e32 vcc, s39, v1
	v_mov_b32_e32 v0, 0x7f800001
	s_and_saveexec_b64 s[78:79], vcc
	s_cbranch_execz .LBB6_13907
; %bb.13906:                            ;   in Loop: Header=BB6_12355 Depth=2
	v_and_b32_e32 v2, 7, v16
	v_ffbh_u32_e32 v0, v2
	v_min_u32_e32 v4, 32, v0
	v_subrev_u32_e32 v0, 28, v4
	v_lshrrev_b32_e32 v3, 3, v1
	v_cmp_gt_u32_e32 vcc, 8, v1
	v_lshlrev_b64 v[0:1], v0, v[16:17]
	v_sub_u32_e32 v1, 29, v4
	v_and_b32_e32 v0, 7, v0
	v_cndmask_b32_e32 v1, v3, v1, vcc
	v_cndmask_b32_e32 v0, v2, v0, vcc
	v_lshlrev_b32_e32 v2, 24, v16
	v_bfrev_b32_e32 v3, 60
	v_lshlrev_b32_e32 v0, 20, v0
	v_and_b32_e32 v2, 0x80000000, v2
	v_lshl_add_u32 v1, v1, 23, v3
	v_or3_b32 v0, v2, v1, v0
.LBB6_13907:                            ;   in Loop: Header=BB6_12355 Depth=2
	s_or_b64 exec, exec, s[78:79]
.LBB6_13908:                            ;   in Loop: Header=BB6_12355 Depth=2
	s_or_b64 exec, exec, s[76:77]
.LBB6_13909:                            ;   in Loop: Header=BB6_12355 Depth=2
	s_or_b64 exec, exec, s[20:21]
	v_mul_f32_e32 v1, v19, v0
	v_and_b32_e32 v52, 0x7f800000, v1
	v_cmp_ne_u64_e32 vcc, s[46:47], v[52:53]
                                        ; implicit-def: $vgpr0
                                        ; kill: killed $vgpr0
	s_and_saveexec_b64 s[20:21], vcc
	s_xor_b64 s[76:77], exec, s[20:21]
	s_cbranch_execz .LBB6_13923
; %bb.13910:                            ;   in Loop: Header=BB6_12355 Depth=2
	v_and_b32_e32 v52, 0x7fffffff, v1
	v_cmp_gt_u64_e32 vcc, s[56:57], v[52:53]
	v_and_b32_sdwa v0, v1, s48 dst_sel:DWORD dst_unused:UNUSED_PAD src0_sel:BYTE_3 src1_sel:DWORD
                                        ; implicit-def: $vgpr2
                                        ; kill: killed $vgpr2
	s_and_saveexec_b64 s[20:21], vcc
	s_xor_b64 s[78:79], exec, s[20:21]
	s_cbranch_execz .LBB6_13920
; %bb.13911:                            ;   in Loop: Header=BB6_12355 Depth=2
	v_mov_b32_e32 v2, 0
	v_cmp_ne_u32_e32 vcc, 0, v1
	buffer_store_dword v2, off, s[0:3], s33 offset:412 ; 4-byte Folded Spill
	s_and_saveexec_b64 s[88:89], vcc
	s_cbranch_execz .LBB6_13919
; %bb.13912:                            ;   in Loop: Header=BB6_12355 Depth=2
	v_and_b32_e32 v3, 0x7fffff, v1
	v_bfe_u32 v1, v1, 23, 8
	v_cmp_gt_u32_e64 s[20:21], s49, v1
	v_sub_u32_e32 v2, 0x79, v1
	v_cmp_eq_u32_e32 vcc, 0, v1
	v_cndmask_b32_e64 v2, 0, v2, s[20:21]
	v_mov_b32_e32 v5, 0x78
	v_or_b32_e32 v4, 0x800000, v3
	v_cndmask_b32_e32 v2, v2, v5, vcc
	v_cndmask_b32_e32 v52, v4, v3, vcc
	v_add_u32_e32 v3, 20, v2
	v_lshlrev_b64 v[3:4], v3, -1
	v_add_u32_e32 v5, 19, v2
	v_lshlrev_b64 v[5:6], v5, 1
	v_lshrrev_b64 v[16:17], v2, v[52:53]
	v_bfi_b32 v4, v4, 0, 0
	v_bfi_b32 v3, v3, 0, v52
	v_cmp_eq_u64_e64 s[20:21], v[3:4], v[5:6]
	v_mov_b32_e32 v18, v17
	v_mov_b32_e32 v17, v16
	s_and_saveexec_b64 s[90:91], s[20:21]
; %bb.13913:                            ;   in Loop: Header=BB6_12355 Depth=2
	v_bfe_u32 v3, v16, 20, 1
	v_add_co_u32_e64 v3, s[20:21], v16, v3
	v_add_co_u32_e64 v17, s[20:21], -1, v3
; %bb.13914:                            ;   in Loop: Header=BB6_12355 Depth=2
	s_or_b64 exec, exec, s[90:91]
	v_add_u32_e32 v1, 0xffffff81, v1
	v_mov_b32_e32 v3, 0xffffff82
	v_cndmask_b32_e32 v1, v1, v3, vcc
	v_lshrrev_b32_e32 v3, 23, v16
	v_add3_u32 v3, v2, v1, v3
	v_add_u32_e32 v2, 6, v3
	v_and_b32_e32 v1, 0xfffff, v17
	v_add_u32_e32 v52, v1, v16
	v_cmp_ne_u32_e32 vcc, 0, v2
                                        ; implicit-def: $vgpr16_vgpr17
                                        ; implicit-def: $vgpr1
	s_and_saveexec_b64 s[20:21], vcc
	s_xor_b64 s[20:21], exec, s[20:21]
; %bb.13915:                            ;   in Loop: Header=BB6_12355 Depth=2
	v_cmp_lt_u64_e32 vcc, s[58:59], v[52:53]
	v_add_u32_e32 v1, 7, v3
	v_cndmask_b32_e32 v1, v2, v1, vcc
	v_cndmask_b32_e64 v2, 0, 1, vcc
	v_lshrrev_b64 v[16:17], v2, v[52:53]
; %bb.13916:                            ;   in Loop: Header=BB6_12355 Depth=2
	s_andn2_saveexec_b64 s[20:21], s[20:21]
; %bb.13917:                            ;   in Loop: Header=BB6_12355 Depth=2
	v_mov_b32_e32 v16, v52
	v_bfe_u32 v1, v52, 23, 1
	v_mov_b32_e32 v17, v53
; %bb.13918:                            ;   in Loop: Header=BB6_12355 Depth=2
	s_or_b64 exec, exec, s[20:21]
	v_lshrrev_b64 v[2:3], 20, v[16:17]
	v_cmp_gt_i32_e32 vcc, 16, v1
	v_cndmask_b32_e32 v3, 0, v3, vcc
	v_cndmask_b32_e32 v2, 7, v2, vcc
	v_cmp_eq_u32_e32 vcc, 0, v1
	v_min_i32_e32 v1, 15, v1
	v_cmp_eq_u64_e64 s[20:21], 0, v[2:3]
	v_lshlrev_b32_e32 v1, 3, v1
	v_and_b32_e32 v1, 0xf8, v1
	v_and_or_b32 v1, v2, 7, v1
	s_and_b64 s[20:21], vcc, s[20:21]
	v_cndmask_b32_e64 v1, v1, 0, s[20:21]
	v_or_b32_e32 v0, v1, v0
	buffer_store_dword v0, off, s[0:3], s33 offset:412 ; 4-byte Folded Spill
.LBB6_13919:                            ;   in Loop: Header=BB6_12355 Depth=2
	s_or_b64 exec, exec, s[88:89]
                                        ; implicit-def: $vgpr0
.LBB6_13920:                            ;   in Loop: Header=BB6_12355 Depth=2
	s_andn2_saveexec_b64 s[20:21], s[78:79]
	s_cbranch_execz .LBB6_13922
; %bb.13921:                            ;   in Loop: Header=BB6_12355 Depth=2
	v_or_b32_e32 v0, 0x7e, v0
	buffer_store_dword v0, off, s[0:3], s33 offset:412 ; 4-byte Folded Spill
.LBB6_13922:                            ;   in Loop: Header=BB6_12355 Depth=2
	s_or_b64 exec, exec, s[20:21]
                                        ; implicit-def: $vgpr1
.LBB6_13923:                            ;   in Loop: Header=BB6_12355 Depth=2
	s_andn2_saveexec_b64 s[20:21], s[76:77]
	s_cbranch_execz .LBB6_13925
; %bb.13924:                            ;   in Loop: Header=BB6_12355 Depth=2
	v_or_b32_sdwa v0, v1, s39 dst_sel:DWORD dst_unused:UNUSED_PAD src0_sel:BYTE_3 src1_sel:DWORD
	buffer_store_dword v0, off, s[0:3], s33 offset:412 ; 4-byte Folded Spill
.LBB6_13925:                            ;   in Loop: Header=BB6_12355 Depth=2
	s_or_b64 exec, exec, s[20:21]
	v_cmp_lt_u64_e32 vcc, s[60:61], v[10:11]
	v_mov_b32_e32 v0, 0
	s_and_saveexec_b64 s[20:21], vcc
	s_cbranch_execz .LBB6_13931
; %bb.13926:                            ;   in Loop: Header=BB6_12355 Depth=2
	v_lshrrev_b32_e32 v10, 24, v11
	v_cmp_ne_u32_e32 vcc, s48, v10
	v_bfrev_b32_e32 v0, 1
	s_and_saveexec_b64 s[76:77], vcc
	s_cbranch_execz .LBB6_13930
; %bb.13927:                            ;   in Loop: Header=BB6_12355 Depth=2
	v_bfe_u32 v1, v11, 24, 7
	v_cmp_ne_u32_e32 vcc, s39, v1
	v_mov_b32_e32 v0, 0x7f800001
	s_and_saveexec_b64 s[78:79], vcc
	s_cbranch_execz .LBB6_13929
; %bb.13928:                            ;   in Loop: Header=BB6_12355 Depth=2
	v_and_b32_e32 v2, 7, v10
	v_ffbh_u32_e32 v0, v2
	v_min_u32_e32 v4, 32, v0
	v_subrev_u32_e32 v0, 28, v4
	v_lshrrev_b32_e32 v3, 3, v1
	v_cmp_gt_u32_e32 vcc, 8, v1
	v_lshlrev_b64 v[0:1], v0, v[10:11]
	v_sub_u32_e32 v1, 29, v4
	v_and_b32_e32 v0, 7, v0
	v_cndmask_b32_e32 v1, v3, v1, vcc
	v_cndmask_b32_e32 v0, v2, v0, vcc
	v_lshlrev_b32_e32 v2, 24, v10
	v_bfrev_b32_e32 v3, 60
	v_lshlrev_b32_e32 v0, 20, v0
	v_and_b32_e32 v2, 0x80000000, v2
	v_lshl_add_u32 v1, v1, 23, v3
	v_or3_b32 v0, v2, v1, v0
.LBB6_13929:                            ;   in Loop: Header=BB6_12355 Depth=2
	s_or_b64 exec, exec, s[78:79]
.LBB6_13930:                            ;   in Loop: Header=BB6_12355 Depth=2
	s_or_b64 exec, exec, s[76:77]
.LBB6_13931:                            ;   in Loop: Header=BB6_12355 Depth=2
	s_or_b64 exec, exec, s[20:21]
	v_mul_f32_e32 v1, v19, v0
	v_and_b32_e32 v52, 0x7f800000, v1
	v_cmp_ne_u64_e32 vcc, s[46:47], v[52:53]
                                        ; implicit-def: $vgpr0
                                        ; kill: killed $vgpr0
	s_and_saveexec_b64 s[20:21], vcc
	s_xor_b64 s[76:77], exec, s[20:21]
	s_cbranch_execz .LBB6_13945
; %bb.13932:                            ;   in Loop: Header=BB6_12355 Depth=2
	v_and_b32_e32 v52, 0x7fffffff, v1
	v_cmp_gt_u64_e32 vcc, s[56:57], v[52:53]
	v_and_b32_sdwa v0, v1, s48 dst_sel:DWORD dst_unused:UNUSED_PAD src0_sel:BYTE_3 src1_sel:DWORD
                                        ; implicit-def: $vgpr2
                                        ; kill: killed $vgpr2
	s_and_saveexec_b64 s[20:21], vcc
	s_xor_b64 s[78:79], exec, s[20:21]
	s_cbranch_execz .LBB6_13942
; %bb.13933:                            ;   in Loop: Header=BB6_12355 Depth=2
	v_mov_b32_e32 v2, 0
	v_cmp_ne_u32_e32 vcc, 0, v1
	buffer_store_dword v2, off, s[0:3], s33 offset:416 ; 4-byte Folded Spill
	s_and_saveexec_b64 s[88:89], vcc
	s_cbranch_execz .LBB6_13941
; %bb.13934:                            ;   in Loop: Header=BB6_12355 Depth=2
	v_and_b32_e32 v3, 0x7fffff, v1
	v_bfe_u32 v1, v1, 23, 8
	v_cmp_gt_u32_e64 s[20:21], s49, v1
	v_sub_u32_e32 v2, 0x79, v1
	v_cmp_eq_u32_e32 vcc, 0, v1
	v_cndmask_b32_e64 v2, 0, v2, s[20:21]
	v_mov_b32_e32 v5, 0x78
	v_or_b32_e32 v4, 0x800000, v3
	v_cndmask_b32_e32 v2, v2, v5, vcc
	v_cndmask_b32_e32 v52, v4, v3, vcc
	v_add_u32_e32 v3, 20, v2
	v_lshlrev_b64 v[3:4], v3, -1
	v_add_u32_e32 v5, 19, v2
	v_lshlrev_b64 v[5:6], v5, 1
	v_lshrrev_b64 v[10:11], v2, v[52:53]
	v_bfi_b32 v4, v4, 0, 0
	v_bfi_b32 v3, v3, 0, v52
	v_cmp_eq_u64_e64 s[20:21], v[3:4], v[5:6]
	v_mov_b32_e32 v17, v11
	v_mov_b32_e32 v16, v10
	s_and_saveexec_b64 s[90:91], s[20:21]
; %bb.13935:                            ;   in Loop: Header=BB6_12355 Depth=2
	v_bfe_u32 v3, v10, 20, 1
	v_add_co_u32_e64 v3, s[20:21], v10, v3
	v_add_co_u32_e64 v16, s[20:21], -1, v3
; %bb.13936:                            ;   in Loop: Header=BB6_12355 Depth=2
	s_or_b64 exec, exec, s[90:91]
	v_add_u32_e32 v1, 0xffffff81, v1
	v_mov_b32_e32 v3, 0xffffff82
	v_cndmask_b32_e32 v1, v1, v3, vcc
	v_lshrrev_b32_e32 v3, 23, v10
	v_add3_u32 v3, v2, v1, v3
	v_add_u32_e32 v2, 6, v3
	v_and_b32_e32 v1, 0xfffff, v16
	v_add_u32_e32 v52, v1, v10
	v_cmp_ne_u32_e32 vcc, 0, v2
                                        ; implicit-def: $vgpr10_vgpr11
                                        ; implicit-def: $vgpr1
	s_and_saveexec_b64 s[20:21], vcc
	s_xor_b64 s[20:21], exec, s[20:21]
; %bb.13937:                            ;   in Loop: Header=BB6_12355 Depth=2
	v_cmp_lt_u64_e32 vcc, s[58:59], v[52:53]
	v_add_u32_e32 v1, 7, v3
	v_cndmask_b32_e32 v1, v2, v1, vcc
	v_cndmask_b32_e64 v2, 0, 1, vcc
	v_lshrrev_b64 v[10:11], v2, v[52:53]
; %bb.13938:                            ;   in Loop: Header=BB6_12355 Depth=2
	s_andn2_saveexec_b64 s[20:21], s[20:21]
; %bb.13939:                            ;   in Loop: Header=BB6_12355 Depth=2
	v_mov_b32_e32 v10, v52
	v_bfe_u32 v1, v52, 23, 1
	v_mov_b32_e32 v11, v53
; %bb.13940:                            ;   in Loop: Header=BB6_12355 Depth=2
	s_or_b64 exec, exec, s[20:21]
	v_lshrrev_b64 v[2:3], 20, v[10:11]
	v_cmp_gt_i32_e32 vcc, 16, v1
	v_cndmask_b32_e32 v3, 0, v3, vcc
	v_cndmask_b32_e32 v2, 7, v2, vcc
	v_cmp_eq_u32_e32 vcc, 0, v1
	v_min_i32_e32 v1, 15, v1
	v_cmp_eq_u64_e64 s[20:21], 0, v[2:3]
	v_lshlrev_b32_e32 v1, 3, v1
	v_and_b32_e32 v1, 0xf8, v1
	v_and_or_b32 v1, v2, 7, v1
	s_and_b64 s[20:21], vcc, s[20:21]
	v_cndmask_b32_e64 v1, v1, 0, s[20:21]
	v_or_b32_e32 v0, v1, v0
	buffer_store_dword v0, off, s[0:3], s33 offset:416 ; 4-byte Folded Spill
.LBB6_13941:                            ;   in Loop: Header=BB6_12355 Depth=2
	s_or_b64 exec, exec, s[88:89]
                                        ; implicit-def: $vgpr0
.LBB6_13942:                            ;   in Loop: Header=BB6_12355 Depth=2
	s_andn2_saveexec_b64 s[20:21], s[78:79]
	s_cbranch_execz .LBB6_13944
; %bb.13943:                            ;   in Loop: Header=BB6_12355 Depth=2
	v_or_b32_e32 v0, 0x7e, v0
	buffer_store_dword v0, off, s[0:3], s33 offset:416 ; 4-byte Folded Spill
.LBB6_13944:                            ;   in Loop: Header=BB6_12355 Depth=2
	s_or_b64 exec, exec, s[20:21]
                                        ; implicit-def: $vgpr1
.LBB6_13945:                            ;   in Loop: Header=BB6_12355 Depth=2
	s_andn2_saveexec_b64 s[20:21], s[76:77]
	s_cbranch_execz .LBB6_13947
; %bb.13946:                            ;   in Loop: Header=BB6_12355 Depth=2
	v_or_b32_sdwa v0, v1, s39 dst_sel:DWORD dst_unused:UNUSED_PAD src0_sel:BYTE_3 src1_sel:DWORD
	buffer_store_dword v0, off, s[0:3], s33 offset:416 ; 4-byte Folded Spill
.LBB6_13947:                            ;   in Loop: Header=BB6_12355 Depth=2
	s_or_b64 exec, exec, s[20:21]
	v_cmp_ne_u16_sdwa s[76:77], v12, v53 src0_sel:BYTE_0 src1_sel:DWORD
	v_mov_b32_e32 v0, 0
	s_and_saveexec_b64 s[20:21], s[76:77]
	s_cbranch_execz .LBB6_13953
; %bb.13948:                            ;   in Loop: Header=BB6_12355 Depth=2
	v_cmp_ne_u16_sdwa s[78:79], v12, s48 src0_sel:BYTE_0 src1_sel:DWORD
	v_bfrev_b32_e32 v0, 1
	s_and_saveexec_b64 s[76:77], s[78:79]
	s_cbranch_execz .LBB6_13952
; %bb.13949:                            ;   in Loop: Header=BB6_12355 Depth=2
	v_and_b32_e32 v1, 0x7f, v12
	v_cmp_ne_u32_e32 vcc, s39, v1
	v_mov_b32_e32 v0, 0x7f800001
	s_and_saveexec_b64 s[78:79], vcc
	s_cbranch_execz .LBB6_13951
; %bb.13950:                            ;   in Loop: Header=BB6_12355 Depth=2
	v_and_b32_e32 v0, 7, v12
	v_ffbh_u32_e32 v0, v0
	v_min_u32_e32 v0, 32, v0
	v_lshrrev_b32_e32 v2, 3, v1
	v_cmp_gt_u32_e32 vcc, 8, v1
	v_subrev_u32_e32 v1, 28, v0
	v_sub_u32_e32 v0, 29, v0
	v_cndmask_b32_e32 v2, v2, v0, vcc
	v_cndmask_b32_e32 v0, 0, v1, vcc
	v_lshlrev_b64 v[0:1], v0, v[12:13]
	v_lshlrev_b32_e32 v1, 24, v12
	v_lshlrev_b32_e32 v0, 20, v0
	v_bfrev_b32_e32 v3, 60
	v_and_b32_e32 v0, 0x700000, v0
	v_and_b32_e32 v1, 0x80000000, v1
	v_lshl_add_u32 v2, v2, 23, v3
	v_or3_b32 v0, v1, v2, v0
.LBB6_13951:                            ;   in Loop: Header=BB6_12355 Depth=2
	s_or_b64 exec, exec, s[78:79]
.LBB6_13952:                            ;   in Loop: Header=BB6_12355 Depth=2
	s_or_b64 exec, exec, s[76:77]
.LBB6_13953:                            ;   in Loop: Header=BB6_12355 Depth=2
	s_or_b64 exec, exec, s[20:21]
	v_mul_f32_e32 v1, v19, v0
	v_and_b32_e32 v52, 0x7f800000, v1
	v_cmp_ne_u64_e32 vcc, s[46:47], v[52:53]
                                        ; implicit-def: $vgpr0
                                        ; kill: killed $vgpr0
	s_and_saveexec_b64 s[20:21], vcc
	s_xor_b64 s[76:77], exec, s[20:21]
	s_cbranch_execz .LBB6_13967
; %bb.13954:                            ;   in Loop: Header=BB6_12355 Depth=2
	v_and_b32_e32 v52, 0x7fffffff, v1
	v_cmp_gt_u64_e32 vcc, s[56:57], v[52:53]
	v_and_b32_sdwa v0, v1, s48 dst_sel:DWORD dst_unused:UNUSED_PAD src0_sel:BYTE_3 src1_sel:DWORD
                                        ; implicit-def: $vgpr2
                                        ; kill: killed $vgpr2
	s_and_saveexec_b64 s[20:21], vcc
	s_xor_b64 s[78:79], exec, s[20:21]
	s_cbranch_execz .LBB6_13964
; %bb.13955:                            ;   in Loop: Header=BB6_12355 Depth=2
	v_mov_b32_e32 v2, 0
	v_cmp_ne_u32_e32 vcc, 0, v1
	buffer_store_dword v2, off, s[0:3], s33 offset:420 ; 4-byte Folded Spill
	s_and_saveexec_b64 s[88:89], vcc
	s_cbranch_execz .LBB6_13963
; %bb.13956:                            ;   in Loop: Header=BB6_12355 Depth=2
	v_and_b32_e32 v3, 0x7fffff, v1
	v_bfe_u32 v1, v1, 23, 8
	v_cmp_gt_u32_e64 s[20:21], s49, v1
	v_sub_u32_e32 v2, 0x79, v1
	v_cmp_eq_u32_e32 vcc, 0, v1
	v_cndmask_b32_e64 v2, 0, v2, s[20:21]
	v_mov_b32_e32 v5, 0x78
	v_or_b32_e32 v4, 0x800000, v3
	v_cndmask_b32_e32 v2, v2, v5, vcc
	v_cndmask_b32_e32 v52, v4, v3, vcc
	v_add_u32_e32 v3, 20, v2
	v_lshlrev_b64 v[3:4], v3, -1
	v_add_u32_e32 v5, 19, v2
	v_lshlrev_b64 v[5:6], v5, 1
	v_lshrrev_b64 v[10:11], v2, v[52:53]
	v_bfi_b32 v4, v4, 0, 0
	v_bfi_b32 v3, v3, 0, v52
	v_cmp_eq_u64_e64 s[20:21], v[3:4], v[5:6]
	v_mov_b32_e32 v17, v11
	v_mov_b32_e32 v16, v10
	s_and_saveexec_b64 s[90:91], s[20:21]
; %bb.13957:                            ;   in Loop: Header=BB6_12355 Depth=2
	v_bfe_u32 v3, v10, 20, 1
	v_add_co_u32_e64 v3, s[20:21], v10, v3
	v_add_co_u32_e64 v16, s[20:21], -1, v3
; %bb.13958:                            ;   in Loop: Header=BB6_12355 Depth=2
	s_or_b64 exec, exec, s[90:91]
	v_add_u32_e32 v1, 0xffffff81, v1
	v_mov_b32_e32 v3, 0xffffff82
	v_cndmask_b32_e32 v1, v1, v3, vcc
	v_lshrrev_b32_e32 v3, 23, v10
	v_add3_u32 v3, v2, v1, v3
	v_add_u32_e32 v2, 6, v3
	v_and_b32_e32 v1, 0xfffff, v16
	v_add_u32_e32 v52, v1, v10
	v_cmp_ne_u32_e32 vcc, 0, v2
                                        ; implicit-def: $vgpr10_vgpr11
                                        ; implicit-def: $vgpr1
	s_and_saveexec_b64 s[20:21], vcc
	s_xor_b64 s[20:21], exec, s[20:21]
; %bb.13959:                            ;   in Loop: Header=BB6_12355 Depth=2
	v_cmp_lt_u64_e32 vcc, s[58:59], v[52:53]
	v_add_u32_e32 v1, 7, v3
	v_cndmask_b32_e32 v1, v2, v1, vcc
	v_cndmask_b32_e64 v2, 0, 1, vcc
	v_lshrrev_b64 v[10:11], v2, v[52:53]
; %bb.13960:                            ;   in Loop: Header=BB6_12355 Depth=2
	s_andn2_saveexec_b64 s[20:21], s[20:21]
; %bb.13961:                            ;   in Loop: Header=BB6_12355 Depth=2
	v_mov_b32_e32 v10, v52
	v_bfe_u32 v1, v52, 23, 1
	v_mov_b32_e32 v11, v53
; %bb.13962:                            ;   in Loop: Header=BB6_12355 Depth=2
	s_or_b64 exec, exec, s[20:21]
	v_lshrrev_b64 v[2:3], 20, v[10:11]
	v_cmp_gt_i32_e32 vcc, 16, v1
	v_cndmask_b32_e32 v3, 0, v3, vcc
	v_cndmask_b32_e32 v2, 7, v2, vcc
	v_cmp_eq_u32_e32 vcc, 0, v1
	v_min_i32_e32 v1, 15, v1
	v_cmp_eq_u64_e64 s[20:21], 0, v[2:3]
	v_lshlrev_b32_e32 v1, 3, v1
	v_and_b32_e32 v1, 0xf8, v1
	v_and_or_b32 v1, v2, 7, v1
	s_and_b64 s[20:21], vcc, s[20:21]
	v_cndmask_b32_e64 v1, v1, 0, s[20:21]
	v_or_b32_e32 v0, v1, v0
	buffer_store_dword v0, off, s[0:3], s33 offset:420 ; 4-byte Folded Spill
.LBB6_13963:                            ;   in Loop: Header=BB6_12355 Depth=2
	s_or_b64 exec, exec, s[88:89]
                                        ; implicit-def: $vgpr0
.LBB6_13964:                            ;   in Loop: Header=BB6_12355 Depth=2
	s_andn2_saveexec_b64 s[20:21], s[78:79]
	s_cbranch_execz .LBB6_13966
; %bb.13965:                            ;   in Loop: Header=BB6_12355 Depth=2
	v_or_b32_e32 v0, 0x7e, v0
	buffer_store_dword v0, off, s[0:3], s33 offset:420 ; 4-byte Folded Spill
.LBB6_13966:                            ;   in Loop: Header=BB6_12355 Depth=2
	s_or_b64 exec, exec, s[20:21]
                                        ; implicit-def: $vgpr1
.LBB6_13967:                            ;   in Loop: Header=BB6_12355 Depth=2
	s_andn2_saveexec_b64 s[20:21], s[76:77]
	s_cbranch_execz .LBB6_13969
; %bb.13968:                            ;   in Loop: Header=BB6_12355 Depth=2
	v_or_b32_sdwa v0, v1, s39 dst_sel:DWORD dst_unused:UNUSED_PAD src0_sel:BYTE_3 src1_sel:DWORD
	buffer_store_dword v0, off, s[0:3], s33 offset:420 ; 4-byte Folded Spill
.LBB6_13969:                            ;   in Loop: Header=BB6_12355 Depth=2
	s_or_b64 exec, exec, s[20:21]
	v_lshrrev_b16_e32 v10, 8, v12
	v_cmp_ne_u16_e32 vcc, 0, v10
	v_mov_b32_e32 v0, 0
	s_and_saveexec_b64 s[20:21], vcc
	s_cbranch_execz .LBB6_13975
; %bb.13970:                            ;   in Loop: Header=BB6_12355 Depth=2
	v_cmp_ne_u16_e32 vcc, s48, v10
	v_bfrev_b32_e32 v0, 1
	s_and_saveexec_b64 s[76:77], vcc
	s_cbranch_execz .LBB6_13974
; %bb.13971:                            ;   in Loop: Header=BB6_12355 Depth=2
	v_and_b32_e32 v1, 0x7f, v10
	v_cmp_ne_u32_e32 vcc, s39, v1
	v_mov_b32_e32 v0, 0x7f800001
	s_and_saveexec_b64 s[78:79], vcc
	s_cbranch_execz .LBB6_13973
; %bb.13972:                            ;   in Loop: Header=BB6_12355 Depth=2
	v_and_b32_e32 v2, 7, v10
	v_ffbh_u32_e32 v0, v2
	v_min_u32_e32 v4, 32, v0
	v_subrev_u32_e32 v0, 28, v4
	v_lshrrev_b32_e32 v3, 3, v1
	v_cmp_gt_u32_e32 vcc, 8, v1
	v_lshlrev_b64 v[0:1], v0, v[10:11]
	v_sub_u32_e32 v1, 29, v4
	v_and_b32_e32 v0, 7, v0
	v_cndmask_b32_e32 v1, v3, v1, vcc
	v_cndmask_b32_e32 v0, v2, v0, vcc
	v_lshlrev_b32_e32 v2, 16, v12
	v_bfrev_b32_e32 v3, 60
	v_lshlrev_b32_e32 v0, 20, v0
	v_and_b32_e32 v2, 0x80000000, v2
	v_lshl_add_u32 v1, v1, 23, v3
	v_or3_b32 v0, v2, v1, v0
.LBB6_13973:                            ;   in Loop: Header=BB6_12355 Depth=2
	s_or_b64 exec, exec, s[78:79]
.LBB6_13974:                            ;   in Loop: Header=BB6_12355 Depth=2
	s_or_b64 exec, exec, s[76:77]
.LBB6_13975:                            ;   in Loop: Header=BB6_12355 Depth=2
	s_or_b64 exec, exec, s[20:21]
	v_mul_f32_e32 v1, v19, v0
	v_and_b32_e32 v52, 0x7f800000, v1
	v_cmp_ne_u64_e32 vcc, s[46:47], v[52:53]
                                        ; implicit-def: $vgpr0
                                        ; kill: killed $vgpr0
	s_and_saveexec_b64 s[20:21], vcc
	s_xor_b64 s[76:77], exec, s[20:21]
	s_cbranch_execz .LBB6_13989
; %bb.13976:                            ;   in Loop: Header=BB6_12355 Depth=2
	v_and_b32_e32 v52, 0x7fffffff, v1
	v_cmp_gt_u64_e32 vcc, s[56:57], v[52:53]
	v_and_b32_sdwa v0, v1, s48 dst_sel:DWORD dst_unused:UNUSED_PAD src0_sel:BYTE_3 src1_sel:DWORD
                                        ; implicit-def: $vgpr2
                                        ; kill: killed $vgpr2
	s_and_saveexec_b64 s[20:21], vcc
	s_xor_b64 s[78:79], exec, s[20:21]
	s_cbranch_execz .LBB6_13986
; %bb.13977:                            ;   in Loop: Header=BB6_12355 Depth=2
	v_mov_b32_e32 v2, 0
	v_cmp_ne_u32_e32 vcc, 0, v1
	buffer_store_dword v2, off, s[0:3], s33 offset:424 ; 4-byte Folded Spill
	s_and_saveexec_b64 s[88:89], vcc
	s_cbranch_execz .LBB6_13985
; %bb.13978:                            ;   in Loop: Header=BB6_12355 Depth=2
	v_and_b32_e32 v3, 0x7fffff, v1
	v_bfe_u32 v1, v1, 23, 8
	v_cmp_gt_u32_e64 s[20:21], s49, v1
	v_sub_u32_e32 v2, 0x79, v1
	v_cmp_eq_u32_e32 vcc, 0, v1
	v_cndmask_b32_e64 v2, 0, v2, s[20:21]
	v_mov_b32_e32 v5, 0x78
	v_or_b32_e32 v4, 0x800000, v3
	v_cndmask_b32_e32 v2, v2, v5, vcc
	v_cndmask_b32_e32 v52, v4, v3, vcc
	v_add_u32_e32 v3, 20, v2
	v_lshlrev_b64 v[3:4], v3, -1
	v_add_u32_e32 v5, 19, v2
	v_lshlrev_b64 v[5:6], v5, 1
	v_lshrrev_b64 v[10:11], v2, v[52:53]
	v_bfi_b32 v4, v4, 0, 0
	v_bfi_b32 v3, v3, 0, v52
	v_cmp_eq_u64_e64 s[20:21], v[3:4], v[5:6]
	v_mov_b32_e32 v17, v11
	v_mov_b32_e32 v16, v10
	s_and_saveexec_b64 s[90:91], s[20:21]
; %bb.13979:                            ;   in Loop: Header=BB6_12355 Depth=2
	v_bfe_u32 v3, v10, 20, 1
	v_add_co_u32_e64 v3, s[20:21], v10, v3
	v_add_co_u32_e64 v16, s[20:21], -1, v3
; %bb.13980:                            ;   in Loop: Header=BB6_12355 Depth=2
	s_or_b64 exec, exec, s[90:91]
	v_add_u32_e32 v1, 0xffffff81, v1
	v_mov_b32_e32 v3, 0xffffff82
	v_cndmask_b32_e32 v1, v1, v3, vcc
	v_lshrrev_b32_e32 v3, 23, v10
	v_add3_u32 v3, v2, v1, v3
	v_add_u32_e32 v2, 6, v3
	v_and_b32_e32 v1, 0xfffff, v16
	v_add_u32_e32 v52, v1, v10
	v_cmp_ne_u32_e32 vcc, 0, v2
                                        ; implicit-def: $vgpr10_vgpr11
                                        ; implicit-def: $vgpr1
	s_and_saveexec_b64 s[20:21], vcc
	s_xor_b64 s[20:21], exec, s[20:21]
; %bb.13981:                            ;   in Loop: Header=BB6_12355 Depth=2
	v_cmp_lt_u64_e32 vcc, s[58:59], v[52:53]
	v_add_u32_e32 v1, 7, v3
	v_cndmask_b32_e32 v1, v2, v1, vcc
	v_cndmask_b32_e64 v2, 0, 1, vcc
	v_lshrrev_b64 v[10:11], v2, v[52:53]
; %bb.13982:                            ;   in Loop: Header=BB6_12355 Depth=2
	s_andn2_saveexec_b64 s[20:21], s[20:21]
; %bb.13983:                            ;   in Loop: Header=BB6_12355 Depth=2
	v_mov_b32_e32 v10, v52
	v_bfe_u32 v1, v52, 23, 1
	v_mov_b32_e32 v11, v53
; %bb.13984:                            ;   in Loop: Header=BB6_12355 Depth=2
	s_or_b64 exec, exec, s[20:21]
	v_lshrrev_b64 v[2:3], 20, v[10:11]
	v_cmp_gt_i32_e32 vcc, 16, v1
	v_cndmask_b32_e32 v3, 0, v3, vcc
	v_cndmask_b32_e32 v2, 7, v2, vcc
	v_cmp_eq_u32_e32 vcc, 0, v1
	v_min_i32_e32 v1, 15, v1
	v_cmp_eq_u64_e64 s[20:21], 0, v[2:3]
	v_lshlrev_b32_e32 v1, 3, v1
	v_and_b32_e32 v1, 0xf8, v1
	v_and_or_b32 v1, v2, 7, v1
	s_and_b64 s[20:21], vcc, s[20:21]
	v_cndmask_b32_e64 v1, v1, 0, s[20:21]
	v_or_b32_e32 v0, v1, v0
	buffer_store_dword v0, off, s[0:3], s33 offset:424 ; 4-byte Folded Spill
.LBB6_13985:                            ;   in Loop: Header=BB6_12355 Depth=2
	s_or_b64 exec, exec, s[88:89]
                                        ; implicit-def: $vgpr0
.LBB6_13986:                            ;   in Loop: Header=BB6_12355 Depth=2
	s_andn2_saveexec_b64 s[20:21], s[78:79]
	s_cbranch_execz .LBB6_13988
; %bb.13987:                            ;   in Loop: Header=BB6_12355 Depth=2
	v_or_b32_e32 v0, 0x7e, v0
	buffer_store_dword v0, off, s[0:3], s33 offset:424 ; 4-byte Folded Spill
.LBB6_13988:                            ;   in Loop: Header=BB6_12355 Depth=2
	s_or_b64 exec, exec, s[20:21]
                                        ; implicit-def: $vgpr1
.LBB6_13989:                            ;   in Loop: Header=BB6_12355 Depth=2
	s_andn2_saveexec_b64 s[20:21], s[76:77]
	s_cbranch_execz .LBB6_13991
; %bb.13990:                            ;   in Loop: Header=BB6_12355 Depth=2
	v_or_b32_sdwa v0, v1, s39 dst_sel:DWORD dst_unused:UNUSED_PAD src0_sel:BYTE_3 src1_sel:DWORD
	buffer_store_dword v0, off, s[0:3], s33 offset:424 ; 4-byte Folded Spill
.LBB6_13991:                            ;   in Loop: Header=BB6_12355 Depth=2
	s_or_b64 exec, exec, s[20:21]
	v_lshrrev_b32_e32 v10, 16, v12
	v_cmp_ne_u16_sdwa s[76:77], v10, v53 src0_sel:BYTE_0 src1_sel:DWORD
	v_mov_b32_e32 v0, 0
	s_and_saveexec_b64 s[20:21], s[76:77]
	s_cbranch_execz .LBB6_13997
; %bb.13992:                            ;   in Loop: Header=BB6_12355 Depth=2
	v_cmp_ne_u16_sdwa s[78:79], v10, s48 src0_sel:BYTE_0 src1_sel:DWORD
	v_bfrev_b32_e32 v0, 1
	s_and_saveexec_b64 s[76:77], s[78:79]
	s_cbranch_execz .LBB6_13996
; %bb.13993:                            ;   in Loop: Header=BB6_12355 Depth=2
	v_bfe_u32 v1, v12, 16, 7
	v_cmp_ne_u32_e32 vcc, s39, v1
	v_mov_b32_e32 v0, 0x7f800001
	s_and_saveexec_b64 s[78:79], vcc
	s_cbranch_execz .LBB6_13995
; %bb.13994:                            ;   in Loop: Header=BB6_12355 Depth=2
	v_and_b32_e32 v2, 7, v10
	v_ffbh_u32_e32 v0, v2
	v_min_u32_e32 v4, 32, v0
	v_subrev_u32_e32 v0, 28, v4
	v_lshrrev_b32_e32 v3, 3, v1
	v_cmp_gt_u32_e32 vcc, 8, v1
	v_lshlrev_b64 v[0:1], v0, v[10:11]
	v_sub_u32_e32 v1, 29, v4
	v_and_b32_e32 v0, 7, v0
	v_cndmask_b32_e32 v1, v3, v1, vcc
	v_cndmask_b32_e32 v0, v2, v0, vcc
	v_lshlrev_b32_e32 v2, 24, v10
	v_bfrev_b32_e32 v3, 60
	v_lshlrev_b32_e32 v0, 20, v0
	v_and_b32_e32 v2, 0x80000000, v2
	v_lshl_add_u32 v1, v1, 23, v3
	v_or3_b32 v0, v2, v1, v0
.LBB6_13995:                            ;   in Loop: Header=BB6_12355 Depth=2
	s_or_b64 exec, exec, s[78:79]
.LBB6_13996:                            ;   in Loop: Header=BB6_12355 Depth=2
	s_or_b64 exec, exec, s[76:77]
.LBB6_13997:                            ;   in Loop: Header=BB6_12355 Depth=2
	s_or_b64 exec, exec, s[20:21]
	v_mul_f32_e32 v1, v19, v0
	v_and_b32_e32 v52, 0x7f800000, v1
	v_cmp_ne_u64_e32 vcc, s[46:47], v[52:53]
                                        ; implicit-def: $vgpr0
                                        ; kill: killed $vgpr0
	s_and_saveexec_b64 s[20:21], vcc
	s_xor_b64 s[76:77], exec, s[20:21]
	s_cbranch_execz .LBB6_14011
; %bb.13998:                            ;   in Loop: Header=BB6_12355 Depth=2
	v_and_b32_e32 v52, 0x7fffffff, v1
	v_cmp_gt_u64_e32 vcc, s[56:57], v[52:53]
	v_and_b32_sdwa v0, v1, s48 dst_sel:DWORD dst_unused:UNUSED_PAD src0_sel:BYTE_3 src1_sel:DWORD
                                        ; implicit-def: $vgpr2
                                        ; kill: killed $vgpr2
	s_and_saveexec_b64 s[20:21], vcc
	s_xor_b64 s[78:79], exec, s[20:21]
	s_cbranch_execz .LBB6_14008
; %bb.13999:                            ;   in Loop: Header=BB6_12355 Depth=2
	v_mov_b32_e32 v2, 0
	v_cmp_ne_u32_e32 vcc, 0, v1
	buffer_store_dword v2, off, s[0:3], s33 offset:428 ; 4-byte Folded Spill
	s_and_saveexec_b64 s[88:89], vcc
	s_cbranch_execz .LBB6_14007
; %bb.14000:                            ;   in Loop: Header=BB6_12355 Depth=2
	v_and_b32_e32 v3, 0x7fffff, v1
	v_bfe_u32 v1, v1, 23, 8
	v_cmp_gt_u32_e64 s[20:21], s49, v1
	v_sub_u32_e32 v2, 0x79, v1
	v_cmp_eq_u32_e32 vcc, 0, v1
	v_cndmask_b32_e64 v2, 0, v2, s[20:21]
	v_mov_b32_e32 v5, 0x78
	v_or_b32_e32 v4, 0x800000, v3
	v_cndmask_b32_e32 v2, v2, v5, vcc
	v_cndmask_b32_e32 v52, v4, v3, vcc
	v_add_u32_e32 v3, 20, v2
	v_lshlrev_b64 v[3:4], v3, -1
	v_add_u32_e32 v5, 19, v2
	v_lshlrev_b64 v[5:6], v5, 1
	v_lshrrev_b64 v[10:11], v2, v[52:53]
	v_bfi_b32 v4, v4, 0, 0
	v_bfi_b32 v3, v3, 0, v52
	v_cmp_eq_u64_e64 s[20:21], v[3:4], v[5:6]
	v_mov_b32_e32 v17, v11
	v_mov_b32_e32 v16, v10
	s_and_saveexec_b64 s[90:91], s[20:21]
; %bb.14001:                            ;   in Loop: Header=BB6_12355 Depth=2
	v_bfe_u32 v3, v10, 20, 1
	v_add_co_u32_e64 v3, s[20:21], v10, v3
	v_add_co_u32_e64 v16, s[20:21], -1, v3
; %bb.14002:                            ;   in Loop: Header=BB6_12355 Depth=2
	s_or_b64 exec, exec, s[90:91]
	v_add_u32_e32 v1, 0xffffff81, v1
	v_mov_b32_e32 v3, 0xffffff82
	v_cndmask_b32_e32 v1, v1, v3, vcc
	v_lshrrev_b32_e32 v3, 23, v10
	v_add3_u32 v3, v2, v1, v3
	v_add_u32_e32 v2, 6, v3
	v_and_b32_e32 v1, 0xfffff, v16
	v_add_u32_e32 v52, v1, v10
	v_cmp_ne_u32_e32 vcc, 0, v2
                                        ; implicit-def: $vgpr10_vgpr11
                                        ; implicit-def: $vgpr1
	s_and_saveexec_b64 s[20:21], vcc
	s_xor_b64 s[20:21], exec, s[20:21]
; %bb.14003:                            ;   in Loop: Header=BB6_12355 Depth=2
	v_cmp_lt_u64_e32 vcc, s[58:59], v[52:53]
	v_add_u32_e32 v1, 7, v3
	v_cndmask_b32_e32 v1, v2, v1, vcc
	v_cndmask_b32_e64 v2, 0, 1, vcc
	v_lshrrev_b64 v[10:11], v2, v[52:53]
; %bb.14004:                            ;   in Loop: Header=BB6_12355 Depth=2
	s_andn2_saveexec_b64 s[20:21], s[20:21]
; %bb.14005:                            ;   in Loop: Header=BB6_12355 Depth=2
	v_mov_b32_e32 v10, v52
	v_bfe_u32 v1, v52, 23, 1
	v_mov_b32_e32 v11, v53
; %bb.14006:                            ;   in Loop: Header=BB6_12355 Depth=2
	s_or_b64 exec, exec, s[20:21]
	v_lshrrev_b64 v[2:3], 20, v[10:11]
	v_cmp_gt_i32_e32 vcc, 16, v1
	v_cndmask_b32_e32 v3, 0, v3, vcc
	v_cndmask_b32_e32 v2, 7, v2, vcc
	v_cmp_eq_u32_e32 vcc, 0, v1
	v_min_i32_e32 v1, 15, v1
	v_cmp_eq_u64_e64 s[20:21], 0, v[2:3]
	v_lshlrev_b32_e32 v1, 3, v1
	v_and_b32_e32 v1, 0xf8, v1
	v_and_or_b32 v1, v2, 7, v1
	s_and_b64 s[20:21], vcc, s[20:21]
	v_cndmask_b32_e64 v1, v1, 0, s[20:21]
	v_or_b32_e32 v0, v1, v0
	buffer_store_dword v0, off, s[0:3], s33 offset:428 ; 4-byte Folded Spill
.LBB6_14007:                            ;   in Loop: Header=BB6_12355 Depth=2
	s_or_b64 exec, exec, s[88:89]
                                        ; implicit-def: $vgpr0
.LBB6_14008:                            ;   in Loop: Header=BB6_12355 Depth=2
	s_andn2_saveexec_b64 s[20:21], s[78:79]
	s_cbranch_execz .LBB6_14010
; %bb.14009:                            ;   in Loop: Header=BB6_12355 Depth=2
	v_or_b32_e32 v0, 0x7e, v0
	buffer_store_dword v0, off, s[0:3], s33 offset:428 ; 4-byte Folded Spill
.LBB6_14010:                            ;   in Loop: Header=BB6_12355 Depth=2
	s_or_b64 exec, exec, s[20:21]
                                        ; implicit-def: $vgpr1
.LBB6_14011:                            ;   in Loop: Header=BB6_12355 Depth=2
	s_andn2_saveexec_b64 s[20:21], s[76:77]
	s_cbranch_execz .LBB6_14013
; %bb.14012:                            ;   in Loop: Header=BB6_12355 Depth=2
	v_or_b32_sdwa v0, v1, s39 dst_sel:DWORD dst_unused:UNUSED_PAD src0_sel:BYTE_3 src1_sel:DWORD
	buffer_store_dword v0, off, s[0:3], s33 offset:428 ; 4-byte Folded Spill
.LBB6_14013:                            ;   in Loop: Header=BB6_12355 Depth=2
	s_or_b64 exec, exec, s[20:21]
	v_cmp_lt_u32_e32 vcc, s61, v12
	v_mov_b32_e32 v0, 0
	s_and_saveexec_b64 s[20:21], vcc
	s_cbranch_execz .LBB6_14019
; %bb.14014:                            ;   in Loop: Header=BB6_12355 Depth=2
	v_lshrrev_b32_e32 v10, 24, v12
	v_cmp_ne_u32_e32 vcc, s48, v10
	v_bfrev_b32_e32 v0, 1
	s_and_saveexec_b64 s[76:77], vcc
	s_cbranch_execz .LBB6_14018
; %bb.14015:                            ;   in Loop: Header=BB6_12355 Depth=2
	v_bfe_u32 v1, v12, 24, 7
	v_cmp_ne_u32_e32 vcc, s39, v1
	v_mov_b32_e32 v0, 0x7f800001
	s_and_saveexec_b64 s[78:79], vcc
	s_cbranch_execz .LBB6_14017
; %bb.14016:                            ;   in Loop: Header=BB6_12355 Depth=2
	v_and_b32_e32 v2, 7, v10
	v_ffbh_u32_e32 v0, v2
	v_min_u32_e32 v4, 32, v0
	v_subrev_u32_e32 v0, 28, v4
	v_lshrrev_b32_e32 v3, 3, v1
	v_cmp_gt_u32_e32 vcc, 8, v1
	v_lshlrev_b64 v[0:1], v0, v[10:11]
	v_sub_u32_e32 v1, 29, v4
	v_and_b32_e32 v0, 7, v0
	v_cndmask_b32_e32 v1, v3, v1, vcc
	v_cndmask_b32_e32 v0, v2, v0, vcc
	v_lshlrev_b32_e32 v2, 24, v10
	v_bfrev_b32_e32 v3, 60
	v_lshlrev_b32_e32 v0, 20, v0
	v_and_b32_e32 v2, 0x80000000, v2
	v_lshl_add_u32 v1, v1, 23, v3
	v_or3_b32 v0, v2, v1, v0
.LBB6_14017:                            ;   in Loop: Header=BB6_12355 Depth=2
	s_or_b64 exec, exec, s[78:79]
.LBB6_14018:                            ;   in Loop: Header=BB6_12355 Depth=2
	s_or_b64 exec, exec, s[76:77]
.LBB6_14019:                            ;   in Loop: Header=BB6_12355 Depth=2
	s_or_b64 exec, exec, s[20:21]
	v_mul_f32_e32 v1, v19, v0
	v_and_b32_e32 v52, 0x7f800000, v1
	v_cmp_ne_u64_e32 vcc, s[46:47], v[52:53]
                                        ; implicit-def: $vgpr0
                                        ; kill: killed $vgpr0
	s_and_saveexec_b64 s[20:21], vcc
	s_xor_b64 s[76:77], exec, s[20:21]
	s_cbranch_execz .LBB6_14033
; %bb.14020:                            ;   in Loop: Header=BB6_12355 Depth=2
	v_and_b32_e32 v52, 0x7fffffff, v1
	v_cmp_gt_u64_e32 vcc, s[56:57], v[52:53]
	v_and_b32_sdwa v0, v1, s48 dst_sel:DWORD dst_unused:UNUSED_PAD src0_sel:BYTE_3 src1_sel:DWORD
                                        ; implicit-def: $vgpr2
                                        ; kill: killed $vgpr2
	s_and_saveexec_b64 s[20:21], vcc
	s_xor_b64 s[78:79], exec, s[20:21]
	s_cbranch_execz .LBB6_14030
; %bb.14021:                            ;   in Loop: Header=BB6_12355 Depth=2
	v_mov_b32_e32 v2, 0
	v_cmp_ne_u32_e32 vcc, 0, v1
	buffer_store_dword v2, off, s[0:3], s33 offset:432 ; 4-byte Folded Spill
	s_and_saveexec_b64 s[88:89], vcc
	s_cbranch_execz .LBB6_14029
; %bb.14022:                            ;   in Loop: Header=BB6_12355 Depth=2
	v_and_b32_e32 v3, 0x7fffff, v1
	v_bfe_u32 v1, v1, 23, 8
	v_cmp_gt_u32_e64 s[20:21], s49, v1
	v_sub_u32_e32 v2, 0x79, v1
	v_cmp_eq_u32_e32 vcc, 0, v1
	v_cndmask_b32_e64 v2, 0, v2, s[20:21]
	v_mov_b32_e32 v5, 0x78
	v_or_b32_e32 v4, 0x800000, v3
	v_cndmask_b32_e32 v2, v2, v5, vcc
	v_cndmask_b32_e32 v52, v4, v3, vcc
	v_add_u32_e32 v3, 20, v2
	v_lshlrev_b64 v[3:4], v3, -1
	v_add_u32_e32 v5, 19, v2
	v_lshlrev_b64 v[5:6], v5, 1
	v_lshrrev_b64 v[10:11], v2, v[52:53]
	v_bfi_b32 v4, v4, 0, 0
	v_bfi_b32 v3, v3, 0, v52
	v_cmp_eq_u64_e64 s[20:21], v[3:4], v[5:6]
	v_mov_b32_e32 v17, v11
	v_mov_b32_e32 v16, v10
	s_and_saveexec_b64 s[90:91], s[20:21]
; %bb.14023:                            ;   in Loop: Header=BB6_12355 Depth=2
	v_bfe_u32 v3, v10, 20, 1
	v_add_co_u32_e64 v3, s[20:21], v10, v3
	v_add_co_u32_e64 v16, s[20:21], -1, v3
; %bb.14024:                            ;   in Loop: Header=BB6_12355 Depth=2
	s_or_b64 exec, exec, s[90:91]
	v_add_u32_e32 v1, 0xffffff81, v1
	v_mov_b32_e32 v3, 0xffffff82
	v_cndmask_b32_e32 v1, v1, v3, vcc
	v_lshrrev_b32_e32 v3, 23, v10
	v_add3_u32 v3, v2, v1, v3
	v_add_u32_e32 v2, 6, v3
	v_and_b32_e32 v1, 0xfffff, v16
	v_add_u32_e32 v52, v1, v10
	v_cmp_ne_u32_e32 vcc, 0, v2
                                        ; implicit-def: $vgpr10_vgpr11
                                        ; implicit-def: $vgpr1
	s_and_saveexec_b64 s[20:21], vcc
	s_xor_b64 s[20:21], exec, s[20:21]
; %bb.14025:                            ;   in Loop: Header=BB6_12355 Depth=2
	v_cmp_lt_u64_e32 vcc, s[58:59], v[52:53]
	v_add_u32_e32 v1, 7, v3
	v_cndmask_b32_e32 v1, v2, v1, vcc
	v_cndmask_b32_e64 v2, 0, 1, vcc
	v_lshrrev_b64 v[10:11], v2, v[52:53]
; %bb.14026:                            ;   in Loop: Header=BB6_12355 Depth=2
	s_andn2_saveexec_b64 s[20:21], s[20:21]
; %bb.14027:                            ;   in Loop: Header=BB6_12355 Depth=2
	v_mov_b32_e32 v10, v52
	v_bfe_u32 v1, v52, 23, 1
	v_mov_b32_e32 v11, v53
; %bb.14028:                            ;   in Loop: Header=BB6_12355 Depth=2
	s_or_b64 exec, exec, s[20:21]
	v_lshrrev_b64 v[2:3], 20, v[10:11]
	v_cmp_gt_i32_e32 vcc, 16, v1
	v_cndmask_b32_e32 v3, 0, v3, vcc
	v_cndmask_b32_e32 v2, 7, v2, vcc
	v_cmp_eq_u32_e32 vcc, 0, v1
	v_min_i32_e32 v1, 15, v1
	v_cmp_eq_u64_e64 s[20:21], 0, v[2:3]
	v_lshlrev_b32_e32 v1, 3, v1
	v_and_b32_e32 v1, 0xf8, v1
	v_and_or_b32 v1, v2, 7, v1
	s_and_b64 s[20:21], vcc, s[20:21]
	v_cndmask_b32_e64 v1, v1, 0, s[20:21]
	v_or_b32_e32 v0, v1, v0
	buffer_store_dword v0, off, s[0:3], s33 offset:432 ; 4-byte Folded Spill
.LBB6_14029:                            ;   in Loop: Header=BB6_12355 Depth=2
	s_or_b64 exec, exec, s[88:89]
                                        ; implicit-def: $vgpr0
.LBB6_14030:                            ;   in Loop: Header=BB6_12355 Depth=2
	s_andn2_saveexec_b64 s[20:21], s[78:79]
	s_cbranch_execz .LBB6_14032
; %bb.14031:                            ;   in Loop: Header=BB6_12355 Depth=2
	v_or_b32_e32 v0, 0x7e, v0
	buffer_store_dword v0, off, s[0:3], s33 offset:432 ; 4-byte Folded Spill
.LBB6_14032:                            ;   in Loop: Header=BB6_12355 Depth=2
	s_or_b64 exec, exec, s[20:21]
                                        ; implicit-def: $vgpr1
.LBB6_14033:                            ;   in Loop: Header=BB6_12355 Depth=2
	s_andn2_saveexec_b64 s[20:21], s[76:77]
	s_cbranch_execz .LBB6_14035
; %bb.14034:                            ;   in Loop: Header=BB6_12355 Depth=2
	v_or_b32_sdwa v0, v1, s39 dst_sel:DWORD dst_unused:UNUSED_PAD src0_sel:BYTE_3 src1_sel:DWORD
	buffer_store_dword v0, off, s[0:3], s33 offset:432 ; 4-byte Folded Spill
.LBB6_14035:                            ;   in Loop: Header=BB6_12355 Depth=2
	s_or_b64 exec, exec, s[20:21]
	v_mov_b32_e32 v52, v13
	v_cmp_ne_u16_sdwa s[76:77], v13, v53 src0_sel:BYTE_0 src1_sel:DWORD
	v_mov_b32_e32 v0, 0
	s_and_saveexec_b64 s[20:21], s[76:77]
	s_cbranch_execz .LBB6_14041
; %bb.14036:                            ;   in Loop: Header=BB6_12355 Depth=2
	v_cmp_ne_u16_sdwa s[78:79], v13, s48 src0_sel:BYTE_0 src1_sel:DWORD
	v_bfrev_b32_e32 v0, 1
	s_and_saveexec_b64 s[76:77], s[78:79]
	s_cbranch_execz .LBB6_14040
; %bb.14037:                            ;   in Loop: Header=BB6_12355 Depth=2
	v_and_b32_e32 v1, 0x7f, v13
	v_cmp_ne_u32_e32 vcc, s39, v1
	v_mov_b32_e32 v0, 0x7f800001
	s_and_saveexec_b64 s[78:79], vcc
	s_cbranch_execz .LBB6_14039
; %bb.14038:                            ;   in Loop: Header=BB6_12355 Depth=2
	v_and_b32_e32 v0, 7, v13
	v_ffbh_u32_e32 v0, v0
	v_min_u32_e32 v0, 32, v0
	v_lshrrev_b32_e32 v2, 3, v1
	v_cmp_gt_u32_e32 vcc, 8, v1
	v_subrev_u32_e32 v1, 28, v0
	v_sub_u32_e32 v0, 29, v0
	v_cndmask_b32_e32 v2, v2, v0, vcc
	v_cndmask_b32_e32 v0, 0, v1, vcc
	v_lshlrev_b64 v[0:1], v0, v[52:53]
	v_lshlrev_b32_e32 v1, 24, v52
	v_lshlrev_b32_e32 v0, 20, v0
	v_bfrev_b32_e32 v3, 60
	v_and_b32_e32 v0, 0x700000, v0
	v_and_b32_e32 v1, 0x80000000, v1
	v_lshl_add_u32 v2, v2, 23, v3
	v_or3_b32 v0, v1, v2, v0
.LBB6_14039:                            ;   in Loop: Header=BB6_12355 Depth=2
	s_or_b64 exec, exec, s[78:79]
.LBB6_14040:                            ;   in Loop: Header=BB6_12355 Depth=2
	s_or_b64 exec, exec, s[76:77]
.LBB6_14041:                            ;   in Loop: Header=BB6_12355 Depth=2
	s_or_b64 exec, exec, s[20:21]
	v_mul_f32_e32 v1, v19, v0
	v_and_b32_e32 v2, 0x7f800000, v1
	v_mov_b32_e32 v3, v53
	v_cmp_ne_u64_e32 vcc, s[46:47], v[2:3]
                                        ; implicit-def: $vgpr0
                                        ; kill: killed $vgpr0
	s_and_saveexec_b64 s[20:21], vcc
	s_xor_b64 s[76:77], exec, s[20:21]
	s_cbranch_execz .LBB6_14055
; %bb.14042:                            ;   in Loop: Header=BB6_12355 Depth=2
	v_and_b32_e32 v2, 0x7fffffff, v1
	v_mov_b32_e32 v3, v53
	v_cmp_gt_u64_e32 vcc, s[56:57], v[2:3]
	v_and_b32_sdwa v0, v1, s48 dst_sel:DWORD dst_unused:UNUSED_PAD src0_sel:BYTE_3 src1_sel:DWORD
                                        ; implicit-def: $vgpr2
                                        ; kill: killed $vgpr2
	s_and_saveexec_b64 s[20:21], vcc
	s_xor_b64 s[78:79], exec, s[20:21]
	s_cbranch_execz .LBB6_14052
; %bb.14043:                            ;   in Loop: Header=BB6_12355 Depth=2
	v_mov_b32_e32 v2, 0
	v_cmp_ne_u32_e32 vcc, 0, v1
	buffer_store_dword v2, off, s[0:3], s33 offset:436 ; 4-byte Folded Spill
	s_and_saveexec_b64 s[88:89], vcc
	s_cbranch_execz .LBB6_14051
; %bb.14044:                            ;   in Loop: Header=BB6_12355 Depth=2
	v_and_b32_e32 v3, 0x7fffff, v1
	v_bfe_u32 v1, v1, 23, 8
	v_cmp_gt_u32_e64 s[20:21], s49, v1
	v_sub_u32_e32 v2, 0x79, v1
	v_cmp_eq_u32_e32 vcc, 0, v1
	v_cndmask_b32_e64 v2, 0, v2, s[20:21]
	v_mov_b32_e32 v5, 0x78
	v_cndmask_b32_e32 v2, v2, v5, vcc
	v_add_u32_e32 v5, 20, v2
	v_or_b32_e32 v4, 0x800000, v3
	v_lshlrev_b64 v[5:6], v5, -1
	v_add_u32_e32 v7, 19, v2
	v_cndmask_b32_e32 v3, v4, v3, vcc
	v_lshlrev_b64 v[10:11], v7, 1
	v_mov_b32_e32 v4, v53
	v_bfi_b32 v6, v6, 0, 0
	v_bfi_b32 v5, v5, 0, v3
	v_cmp_eq_u64_e64 s[20:21], v[5:6], v[10:11]
	v_lshrrev_b64 v[10:11], v2, v[3:4]
	v_mov_b32_e32 v17, v11
	v_mov_b32_e32 v16, v10
	s_and_saveexec_b64 s[90:91], s[20:21]
; %bb.14045:                            ;   in Loop: Header=BB6_12355 Depth=2
	v_bfe_u32 v3, v10, 20, 1
	v_add_co_u32_e64 v3, s[20:21], v10, v3
	v_add_co_u32_e64 v16, s[20:21], -1, v3
; %bb.14046:                            ;   in Loop: Header=BB6_12355 Depth=2
	s_or_b64 exec, exec, s[90:91]
	v_add_u32_e32 v1, 0xffffff81, v1
	v_mov_b32_e32 v3, 0xffffff82
	v_cndmask_b32_e32 v1, v1, v3, vcc
	v_lshrrev_b32_e32 v3, 23, v10
	v_add3_u32 v3, v2, v1, v3
	v_add_u32_e32 v2, 6, v3
	v_and_b32_e32 v1, 0xfffff, v16
	v_add_u32_e32 v10, v1, v10
	v_mov_b32_e32 v11, v53
	v_cmp_ne_u32_e32 vcc, 0, v2
                                        ; implicit-def: $vgpr1
	s_and_saveexec_b64 s[20:21], vcc
	s_xor_b64 s[20:21], exec, s[20:21]
; %bb.14047:                            ;   in Loop: Header=BB6_12355 Depth=2
	v_cmp_lt_u64_e32 vcc, s[58:59], v[10:11]
	v_add_u32_e32 v1, 7, v3
	v_cndmask_b32_e32 v1, v2, v1, vcc
	v_cndmask_b32_e64 v2, 0, 1, vcc
	v_lshrrev_b64 v[10:11], v2, v[10:11]
; %bb.14048:                            ;   in Loop: Header=BB6_12355 Depth=2
	s_andn2_saveexec_b64 s[20:21], s[20:21]
; %bb.14049:                            ;   in Loop: Header=BB6_12355 Depth=2
	v_bfe_u32 v1, v10, 23, 1
; %bb.14050:                            ;   in Loop: Header=BB6_12355 Depth=2
	s_or_b64 exec, exec, s[20:21]
	v_lshrrev_b64 v[2:3], 20, v[10:11]
	v_cmp_gt_i32_e32 vcc, 16, v1
	v_cndmask_b32_e32 v3, 0, v3, vcc
	v_cndmask_b32_e32 v2, 7, v2, vcc
	v_cmp_eq_u32_e32 vcc, 0, v1
	v_min_i32_e32 v1, 15, v1
	v_cmp_eq_u64_e64 s[20:21], 0, v[2:3]
	v_lshlrev_b32_e32 v1, 3, v1
	v_and_b32_e32 v1, 0xf8, v1
	v_and_or_b32 v1, v2, 7, v1
	s_and_b64 s[20:21], vcc, s[20:21]
	v_cndmask_b32_e64 v1, v1, 0, s[20:21]
	v_or_b32_e32 v0, v1, v0
	buffer_store_dword v0, off, s[0:3], s33 offset:436 ; 4-byte Folded Spill
.LBB6_14051:                            ;   in Loop: Header=BB6_12355 Depth=2
	s_or_b64 exec, exec, s[88:89]
                                        ; implicit-def: $vgpr0
.LBB6_14052:                            ;   in Loop: Header=BB6_12355 Depth=2
	s_andn2_saveexec_b64 s[20:21], s[78:79]
	s_cbranch_execz .LBB6_14054
; %bb.14053:                            ;   in Loop: Header=BB6_12355 Depth=2
	v_or_b32_e32 v0, 0x7e, v0
	buffer_store_dword v0, off, s[0:3], s33 offset:436 ; 4-byte Folded Spill
.LBB6_14054:                            ;   in Loop: Header=BB6_12355 Depth=2
	s_or_b64 exec, exec, s[20:21]
                                        ; implicit-def: $vgpr1
.LBB6_14055:                            ;   in Loop: Header=BB6_12355 Depth=2
	s_andn2_saveexec_b64 s[20:21], s[76:77]
	s_cbranch_execz .LBB6_14057
; %bb.14056:                            ;   in Loop: Header=BB6_12355 Depth=2
	v_or_b32_sdwa v0, v1, s39 dst_sel:DWORD dst_unused:UNUSED_PAD src0_sel:BYTE_3 src1_sel:DWORD
	buffer_store_dword v0, off, s[0:3], s33 offset:436 ; 4-byte Folded Spill
.LBB6_14057:                            ;   in Loop: Header=BB6_12355 Depth=2
	s_or_b64 exec, exec, s[20:21]
	v_lshrrev_b16_e32 v10, 8, v52
	v_cmp_ne_u16_e32 vcc, 0, v10
	v_mov_b32_e32 v0, 0
	s_and_saveexec_b64 s[20:21], vcc
	s_cbranch_execz .LBB6_14063
; %bb.14058:                            ;   in Loop: Header=BB6_12355 Depth=2
	v_cmp_ne_u16_e32 vcc, s48, v10
	v_bfrev_b32_e32 v0, 1
	s_and_saveexec_b64 s[76:77], vcc
	s_cbranch_execz .LBB6_14062
; %bb.14059:                            ;   in Loop: Header=BB6_12355 Depth=2
	v_and_b32_e32 v1, 0x7f, v10
	v_cmp_ne_u32_e32 vcc, s39, v1
	v_mov_b32_e32 v0, 0x7f800001
	s_and_saveexec_b64 s[78:79], vcc
	s_cbranch_execz .LBB6_14061
; %bb.14060:                            ;   in Loop: Header=BB6_12355 Depth=2
	v_and_b32_e32 v2, 7, v10
	v_ffbh_u32_e32 v0, v2
	v_min_u32_e32 v4, 32, v0
	v_subrev_u32_e32 v0, 28, v4
	v_lshrrev_b32_e32 v3, 3, v1
	v_cmp_gt_u32_e32 vcc, 8, v1
	v_lshlrev_b64 v[0:1], v0, v[10:11]
	v_sub_u32_e32 v1, 29, v4
	v_and_b32_e32 v0, 7, v0
	v_cndmask_b32_e32 v1, v3, v1, vcc
	v_cndmask_b32_e32 v0, v2, v0, vcc
	v_lshlrev_b32_e32 v2, 16, v52
	v_bfrev_b32_e32 v3, 60
	v_lshlrev_b32_e32 v0, 20, v0
	v_and_b32_e32 v2, 0x80000000, v2
	v_lshl_add_u32 v1, v1, 23, v3
	v_or3_b32 v0, v2, v1, v0
.LBB6_14061:                            ;   in Loop: Header=BB6_12355 Depth=2
	s_or_b64 exec, exec, s[78:79]
.LBB6_14062:                            ;   in Loop: Header=BB6_12355 Depth=2
	s_or_b64 exec, exec, s[76:77]
.LBB6_14063:                            ;   in Loop: Header=BB6_12355 Depth=2
	s_or_b64 exec, exec, s[20:21]
	v_mul_f32_e32 v1, v19, v0
	v_and_b32_e32 v52, 0x7f800000, v1
	v_cmp_ne_u64_e32 vcc, s[46:47], v[52:53]
                                        ; implicit-def: $vgpr0
                                        ; kill: killed $vgpr0
	s_and_saveexec_b64 s[20:21], vcc
	s_xor_b64 s[76:77], exec, s[20:21]
	s_cbranch_execz .LBB6_14077
; %bb.14064:                            ;   in Loop: Header=BB6_12355 Depth=2
	v_and_b32_e32 v52, 0x7fffffff, v1
	v_cmp_gt_u64_e32 vcc, s[56:57], v[52:53]
	v_and_b32_sdwa v0, v1, s48 dst_sel:DWORD dst_unused:UNUSED_PAD src0_sel:BYTE_3 src1_sel:DWORD
                                        ; implicit-def: $vgpr2
                                        ; kill: killed $vgpr2
	s_and_saveexec_b64 s[20:21], vcc
	s_xor_b64 s[78:79], exec, s[20:21]
	s_cbranch_execz .LBB6_14074
; %bb.14065:                            ;   in Loop: Header=BB6_12355 Depth=2
	v_mov_b32_e32 v2, 0
	v_cmp_ne_u32_e32 vcc, 0, v1
	buffer_store_dword v2, off, s[0:3], s33 offset:440 ; 4-byte Folded Spill
	s_and_saveexec_b64 s[88:89], vcc
	s_cbranch_execz .LBB6_14073
; %bb.14066:                            ;   in Loop: Header=BB6_12355 Depth=2
	v_and_b32_e32 v3, 0x7fffff, v1
	v_bfe_u32 v1, v1, 23, 8
	v_cmp_gt_u32_e64 s[20:21], s49, v1
	v_sub_u32_e32 v2, 0x79, v1
	v_cmp_eq_u32_e32 vcc, 0, v1
	v_cndmask_b32_e64 v2, 0, v2, s[20:21]
	v_mov_b32_e32 v5, 0x78
	v_or_b32_e32 v4, 0x800000, v3
	v_cndmask_b32_e32 v2, v2, v5, vcc
	v_cndmask_b32_e32 v52, v4, v3, vcc
	v_add_u32_e32 v3, 20, v2
	v_lshlrev_b64 v[3:4], v3, -1
	v_add_u32_e32 v5, 19, v2
	v_lshlrev_b64 v[5:6], v5, 1
	v_lshrrev_b64 v[10:11], v2, v[52:53]
	v_bfi_b32 v4, v4, 0, 0
	v_bfi_b32 v3, v3, 0, v52
	v_cmp_eq_u64_e64 s[20:21], v[3:4], v[5:6]
	v_mov_b32_e32 v17, v11
	v_mov_b32_e32 v16, v10
	s_and_saveexec_b64 s[90:91], s[20:21]
; %bb.14067:                            ;   in Loop: Header=BB6_12355 Depth=2
	v_bfe_u32 v3, v10, 20, 1
	v_add_co_u32_e64 v3, s[20:21], v10, v3
	v_add_co_u32_e64 v16, s[20:21], -1, v3
; %bb.14068:                            ;   in Loop: Header=BB6_12355 Depth=2
	s_or_b64 exec, exec, s[90:91]
	v_add_u32_e32 v1, 0xffffff81, v1
	v_mov_b32_e32 v3, 0xffffff82
	v_cndmask_b32_e32 v1, v1, v3, vcc
	v_lshrrev_b32_e32 v3, 23, v10
	v_add3_u32 v3, v2, v1, v3
	v_add_u32_e32 v2, 6, v3
	v_and_b32_e32 v1, 0xfffff, v16
	v_add_u32_e32 v52, v1, v10
	v_cmp_ne_u32_e32 vcc, 0, v2
                                        ; implicit-def: $vgpr10_vgpr11
                                        ; implicit-def: $vgpr1
	s_and_saveexec_b64 s[20:21], vcc
	s_xor_b64 s[20:21], exec, s[20:21]
; %bb.14069:                            ;   in Loop: Header=BB6_12355 Depth=2
	v_cmp_lt_u64_e32 vcc, s[58:59], v[52:53]
	v_add_u32_e32 v1, 7, v3
	v_cndmask_b32_e32 v1, v2, v1, vcc
	v_cndmask_b32_e64 v2, 0, 1, vcc
	v_lshrrev_b64 v[10:11], v2, v[52:53]
; %bb.14070:                            ;   in Loop: Header=BB6_12355 Depth=2
	s_andn2_saveexec_b64 s[20:21], s[20:21]
; %bb.14071:                            ;   in Loop: Header=BB6_12355 Depth=2
	v_mov_b32_e32 v10, v52
	v_bfe_u32 v1, v52, 23, 1
	v_mov_b32_e32 v11, v53
; %bb.14072:                            ;   in Loop: Header=BB6_12355 Depth=2
	s_or_b64 exec, exec, s[20:21]
	v_lshrrev_b64 v[2:3], 20, v[10:11]
	v_cmp_gt_i32_e32 vcc, 16, v1
	v_cndmask_b32_e32 v3, 0, v3, vcc
	v_cndmask_b32_e32 v2, 7, v2, vcc
	v_cmp_eq_u32_e32 vcc, 0, v1
	v_min_i32_e32 v1, 15, v1
	v_cmp_eq_u64_e64 s[20:21], 0, v[2:3]
	v_lshlrev_b32_e32 v1, 3, v1
	v_and_b32_e32 v1, 0xf8, v1
	v_and_or_b32 v1, v2, 7, v1
	s_and_b64 s[20:21], vcc, s[20:21]
	v_cndmask_b32_e64 v1, v1, 0, s[20:21]
	v_or_b32_e32 v0, v1, v0
	buffer_store_dword v0, off, s[0:3], s33 offset:440 ; 4-byte Folded Spill
.LBB6_14073:                            ;   in Loop: Header=BB6_12355 Depth=2
	s_or_b64 exec, exec, s[88:89]
                                        ; implicit-def: $vgpr0
.LBB6_14074:                            ;   in Loop: Header=BB6_12355 Depth=2
	s_andn2_saveexec_b64 s[20:21], s[78:79]
	s_cbranch_execz .LBB6_14076
; %bb.14075:                            ;   in Loop: Header=BB6_12355 Depth=2
	v_or_b32_e32 v0, 0x7e, v0
	buffer_store_dword v0, off, s[0:3], s33 offset:440 ; 4-byte Folded Spill
.LBB6_14076:                            ;   in Loop: Header=BB6_12355 Depth=2
	s_or_b64 exec, exec, s[20:21]
                                        ; implicit-def: $vgpr1
.LBB6_14077:                            ;   in Loop: Header=BB6_12355 Depth=2
	s_andn2_saveexec_b64 s[20:21], s[76:77]
	s_cbranch_execz .LBB6_14079
; %bb.14078:                            ;   in Loop: Header=BB6_12355 Depth=2
	v_or_b32_sdwa v0, v1, s39 dst_sel:DWORD dst_unused:UNUSED_PAD src0_sel:BYTE_3 src1_sel:DWORD
	buffer_store_dword v0, off, s[0:3], s33 offset:440 ; 4-byte Folded Spill
.LBB6_14079:                            ;   in Loop: Header=BB6_12355 Depth=2
	s_or_b64 exec, exec, s[20:21]
	v_lshrrev_b32_e32 v10, 16, v13
	v_cmp_ne_u16_sdwa s[76:77], v10, v53 src0_sel:BYTE_0 src1_sel:DWORD
	v_mov_b32_e32 v0, 0
	s_and_saveexec_b64 s[20:21], s[76:77]
	s_cbranch_execz .LBB6_14085
; %bb.14080:                            ;   in Loop: Header=BB6_12355 Depth=2
	v_cmp_ne_u16_sdwa s[78:79], v10, s48 src0_sel:BYTE_0 src1_sel:DWORD
	v_bfrev_b32_e32 v0, 1
	s_and_saveexec_b64 s[76:77], s[78:79]
	s_cbranch_execz .LBB6_14084
; %bb.14081:                            ;   in Loop: Header=BB6_12355 Depth=2
	v_bfe_u32 v1, v13, 16, 7
	v_cmp_ne_u32_e32 vcc, s39, v1
	v_mov_b32_e32 v0, 0x7f800001
	s_and_saveexec_b64 s[78:79], vcc
	s_cbranch_execz .LBB6_14083
; %bb.14082:                            ;   in Loop: Header=BB6_12355 Depth=2
	v_and_b32_e32 v2, 7, v10
	v_ffbh_u32_e32 v0, v2
	v_min_u32_e32 v4, 32, v0
	v_subrev_u32_e32 v0, 28, v4
	v_lshrrev_b32_e32 v3, 3, v1
	v_cmp_gt_u32_e32 vcc, 8, v1
	v_lshlrev_b64 v[0:1], v0, v[10:11]
	v_sub_u32_e32 v1, 29, v4
	v_and_b32_e32 v0, 7, v0
	v_cndmask_b32_e32 v1, v3, v1, vcc
	v_cndmask_b32_e32 v0, v2, v0, vcc
	v_lshlrev_b32_e32 v2, 24, v10
	v_bfrev_b32_e32 v3, 60
	v_lshlrev_b32_e32 v0, 20, v0
	v_and_b32_e32 v2, 0x80000000, v2
	v_lshl_add_u32 v1, v1, 23, v3
	v_or3_b32 v0, v2, v1, v0
.LBB6_14083:                            ;   in Loop: Header=BB6_12355 Depth=2
	s_or_b64 exec, exec, s[78:79]
.LBB6_14084:                            ;   in Loop: Header=BB6_12355 Depth=2
	s_or_b64 exec, exec, s[76:77]
.LBB6_14085:                            ;   in Loop: Header=BB6_12355 Depth=2
	s_or_b64 exec, exec, s[20:21]
	v_mul_f32_e32 v1, v19, v0
	v_and_b32_e32 v52, 0x7f800000, v1
	v_cmp_ne_u64_e32 vcc, s[46:47], v[52:53]
                                        ; implicit-def: $vgpr0
                                        ; kill: killed $vgpr0
	s_and_saveexec_b64 s[20:21], vcc
	s_xor_b64 s[76:77], exec, s[20:21]
	s_cbranch_execz .LBB6_14099
; %bb.14086:                            ;   in Loop: Header=BB6_12355 Depth=2
	v_and_b32_e32 v52, 0x7fffffff, v1
	v_cmp_gt_u64_e32 vcc, s[56:57], v[52:53]
	v_and_b32_sdwa v0, v1, s48 dst_sel:DWORD dst_unused:UNUSED_PAD src0_sel:BYTE_3 src1_sel:DWORD
                                        ; implicit-def: $vgpr2
                                        ; kill: killed $vgpr2
	s_and_saveexec_b64 s[20:21], vcc
	s_xor_b64 s[78:79], exec, s[20:21]
	s_cbranch_execz .LBB6_14096
; %bb.14087:                            ;   in Loop: Header=BB6_12355 Depth=2
	v_mov_b32_e32 v2, 0
	v_cmp_ne_u32_e32 vcc, 0, v1
	buffer_store_dword v2, off, s[0:3], s33 offset:444 ; 4-byte Folded Spill
	s_and_saveexec_b64 s[88:89], vcc
	s_cbranch_execz .LBB6_14095
; %bb.14088:                            ;   in Loop: Header=BB6_12355 Depth=2
	v_and_b32_e32 v3, 0x7fffff, v1
	v_bfe_u32 v1, v1, 23, 8
	v_cmp_gt_u32_e64 s[20:21], s49, v1
	v_sub_u32_e32 v2, 0x79, v1
	v_cmp_eq_u32_e32 vcc, 0, v1
	v_cndmask_b32_e64 v2, 0, v2, s[20:21]
	v_mov_b32_e32 v5, 0x78
	v_or_b32_e32 v4, 0x800000, v3
	v_cndmask_b32_e32 v2, v2, v5, vcc
	v_cndmask_b32_e32 v52, v4, v3, vcc
	v_add_u32_e32 v3, 20, v2
	v_lshlrev_b64 v[3:4], v3, -1
	v_add_u32_e32 v5, 19, v2
	v_lshlrev_b64 v[5:6], v5, 1
	v_lshrrev_b64 v[10:11], v2, v[52:53]
	v_bfi_b32 v4, v4, 0, 0
	v_bfi_b32 v3, v3, 0, v52
	v_cmp_eq_u64_e64 s[20:21], v[3:4], v[5:6]
	v_mov_b32_e32 v17, v11
	v_mov_b32_e32 v16, v10
	s_and_saveexec_b64 s[90:91], s[20:21]
; %bb.14089:                            ;   in Loop: Header=BB6_12355 Depth=2
	v_bfe_u32 v3, v10, 20, 1
	v_add_co_u32_e64 v3, s[20:21], v10, v3
	v_add_co_u32_e64 v16, s[20:21], -1, v3
; %bb.14090:                            ;   in Loop: Header=BB6_12355 Depth=2
	s_or_b64 exec, exec, s[90:91]
	v_add_u32_e32 v1, 0xffffff81, v1
	v_mov_b32_e32 v3, 0xffffff82
	v_cndmask_b32_e32 v1, v1, v3, vcc
	v_lshrrev_b32_e32 v3, 23, v10
	v_add3_u32 v3, v2, v1, v3
	v_add_u32_e32 v2, 6, v3
	v_and_b32_e32 v1, 0xfffff, v16
	v_add_u32_e32 v52, v1, v10
	v_cmp_ne_u32_e32 vcc, 0, v2
                                        ; implicit-def: $vgpr10_vgpr11
                                        ; implicit-def: $vgpr1
	s_and_saveexec_b64 s[20:21], vcc
	s_xor_b64 s[20:21], exec, s[20:21]
; %bb.14091:                            ;   in Loop: Header=BB6_12355 Depth=2
	v_cmp_lt_u64_e32 vcc, s[58:59], v[52:53]
	v_add_u32_e32 v1, 7, v3
	v_cndmask_b32_e32 v1, v2, v1, vcc
	v_cndmask_b32_e64 v2, 0, 1, vcc
	v_lshrrev_b64 v[10:11], v2, v[52:53]
; %bb.14092:                            ;   in Loop: Header=BB6_12355 Depth=2
	s_andn2_saveexec_b64 s[20:21], s[20:21]
; %bb.14093:                            ;   in Loop: Header=BB6_12355 Depth=2
	v_mov_b32_e32 v10, v52
	v_bfe_u32 v1, v52, 23, 1
	v_mov_b32_e32 v11, v53
; %bb.14094:                            ;   in Loop: Header=BB6_12355 Depth=2
	s_or_b64 exec, exec, s[20:21]
	v_lshrrev_b64 v[2:3], 20, v[10:11]
	v_cmp_gt_i32_e32 vcc, 16, v1
	v_cndmask_b32_e32 v3, 0, v3, vcc
	v_cndmask_b32_e32 v2, 7, v2, vcc
	v_cmp_eq_u32_e32 vcc, 0, v1
	v_min_i32_e32 v1, 15, v1
	v_cmp_eq_u64_e64 s[20:21], 0, v[2:3]
	v_lshlrev_b32_e32 v1, 3, v1
	v_and_b32_e32 v1, 0xf8, v1
	v_and_or_b32 v1, v2, 7, v1
	s_and_b64 s[20:21], vcc, s[20:21]
	v_cndmask_b32_e64 v1, v1, 0, s[20:21]
	v_or_b32_e32 v0, v1, v0
	buffer_store_dword v0, off, s[0:3], s33 offset:444 ; 4-byte Folded Spill
.LBB6_14095:                            ;   in Loop: Header=BB6_12355 Depth=2
	s_or_b64 exec, exec, s[88:89]
                                        ; implicit-def: $vgpr0
.LBB6_14096:                            ;   in Loop: Header=BB6_12355 Depth=2
	s_andn2_saveexec_b64 s[20:21], s[78:79]
	s_cbranch_execz .LBB6_14098
; %bb.14097:                            ;   in Loop: Header=BB6_12355 Depth=2
	v_or_b32_e32 v0, 0x7e, v0
	buffer_store_dword v0, off, s[0:3], s33 offset:444 ; 4-byte Folded Spill
.LBB6_14098:                            ;   in Loop: Header=BB6_12355 Depth=2
	s_or_b64 exec, exec, s[20:21]
                                        ; implicit-def: $vgpr1
.LBB6_14099:                            ;   in Loop: Header=BB6_12355 Depth=2
	s_andn2_saveexec_b64 s[20:21], s[76:77]
	s_cbranch_execz .LBB6_14101
; %bb.14100:                            ;   in Loop: Header=BB6_12355 Depth=2
	v_or_b32_sdwa v0, v1, s39 dst_sel:DWORD dst_unused:UNUSED_PAD src0_sel:BYTE_3 src1_sel:DWORD
	buffer_store_dword v0, off, s[0:3], s33 offset:444 ; 4-byte Folded Spill
.LBB6_14101:                            ;   in Loop: Header=BB6_12355 Depth=2
	s_or_b64 exec, exec, s[20:21]
	v_cmp_lt_u64_e32 vcc, s[60:61], v[12:13]
	v_mov_b32_e32 v0, 0
	s_and_saveexec_b64 s[20:21], vcc
	s_cbranch_execz .LBB6_14107
; %bb.14102:                            ;   in Loop: Header=BB6_12355 Depth=2
	v_lshrrev_b32_e32 v10, 24, v13
	v_cmp_ne_u32_e32 vcc, s48, v10
	v_bfrev_b32_e32 v0, 1
	s_and_saveexec_b64 s[76:77], vcc
	s_cbranch_execz .LBB6_14106
; %bb.14103:                            ;   in Loop: Header=BB6_12355 Depth=2
	v_bfe_u32 v1, v13, 24, 7
	v_cmp_ne_u32_e32 vcc, s39, v1
	v_mov_b32_e32 v0, 0x7f800001
	s_and_saveexec_b64 s[78:79], vcc
	s_cbranch_execz .LBB6_14105
; %bb.14104:                            ;   in Loop: Header=BB6_12355 Depth=2
	v_and_b32_e32 v2, 7, v10
	v_ffbh_u32_e32 v0, v2
	v_min_u32_e32 v4, 32, v0
	v_subrev_u32_e32 v0, 28, v4
	v_lshrrev_b32_e32 v3, 3, v1
	v_cmp_gt_u32_e32 vcc, 8, v1
	v_lshlrev_b64 v[0:1], v0, v[10:11]
	v_sub_u32_e32 v1, 29, v4
	v_and_b32_e32 v0, 7, v0
	v_cndmask_b32_e32 v1, v3, v1, vcc
	v_cndmask_b32_e32 v0, v2, v0, vcc
	v_lshlrev_b32_e32 v2, 24, v10
	v_bfrev_b32_e32 v3, 60
	v_lshlrev_b32_e32 v0, 20, v0
	v_and_b32_e32 v2, 0x80000000, v2
	v_lshl_add_u32 v1, v1, 23, v3
	v_or3_b32 v0, v2, v1, v0
.LBB6_14105:                            ;   in Loop: Header=BB6_12355 Depth=2
	s_or_b64 exec, exec, s[78:79]
.LBB6_14106:                            ;   in Loop: Header=BB6_12355 Depth=2
	s_or_b64 exec, exec, s[76:77]
.LBB6_14107:                            ;   in Loop: Header=BB6_12355 Depth=2
	s_or_b64 exec, exec, s[20:21]
	v_mul_f32_e32 v1, v19, v0
	v_and_b32_e32 v52, 0x7f800000, v1
	v_cmp_ne_u64_e32 vcc, s[46:47], v[52:53]
                                        ; implicit-def: $vgpr0
                                        ; kill: killed $vgpr0
	s_and_saveexec_b64 s[20:21], vcc
	s_xor_b64 s[76:77], exec, s[20:21]
	s_cbranch_execz .LBB6_14121
; %bb.14108:                            ;   in Loop: Header=BB6_12355 Depth=2
	v_and_b32_e32 v52, 0x7fffffff, v1
	v_cmp_gt_u64_e32 vcc, s[56:57], v[52:53]
	v_and_b32_sdwa v0, v1, s48 dst_sel:DWORD dst_unused:UNUSED_PAD src0_sel:BYTE_3 src1_sel:DWORD
                                        ; implicit-def: $vgpr2
                                        ; kill: killed $vgpr2
	s_and_saveexec_b64 s[20:21], vcc
	s_xor_b64 s[78:79], exec, s[20:21]
	s_cbranch_execz .LBB6_14118
; %bb.14109:                            ;   in Loop: Header=BB6_12355 Depth=2
	v_mov_b32_e32 v2, 0
	v_cmp_ne_u32_e32 vcc, 0, v1
	buffer_store_dword v2, off, s[0:3], s33 offset:448 ; 4-byte Folded Spill
	s_and_saveexec_b64 s[88:89], vcc
	s_cbranch_execz .LBB6_14117
; %bb.14110:                            ;   in Loop: Header=BB6_12355 Depth=2
	v_and_b32_e32 v3, 0x7fffff, v1
	v_bfe_u32 v1, v1, 23, 8
	v_cmp_gt_u32_e64 s[20:21], s49, v1
	v_sub_u32_e32 v2, 0x79, v1
	v_cmp_eq_u32_e32 vcc, 0, v1
	v_cndmask_b32_e64 v2, 0, v2, s[20:21]
	v_mov_b32_e32 v5, 0x78
	v_or_b32_e32 v4, 0x800000, v3
	v_cndmask_b32_e32 v2, v2, v5, vcc
	v_cndmask_b32_e32 v52, v4, v3, vcc
	v_add_u32_e32 v3, 20, v2
	v_lshlrev_b64 v[3:4], v3, -1
	v_add_u32_e32 v5, 19, v2
	v_lshlrev_b64 v[5:6], v5, 1
	v_lshrrev_b64 v[10:11], v2, v[52:53]
	v_bfi_b32 v4, v4, 0, 0
	v_bfi_b32 v3, v3, 0, v52
	v_cmp_eq_u64_e64 s[20:21], v[3:4], v[5:6]
	v_mov_b32_e32 v12, v11
	v_mov_b32_e32 v11, v10
	s_and_saveexec_b64 s[90:91], s[20:21]
; %bb.14111:                            ;   in Loop: Header=BB6_12355 Depth=2
	v_bfe_u32 v3, v10, 20, 1
	v_add_co_u32_e64 v3, s[20:21], v10, v3
	v_add_co_u32_e64 v11, s[20:21], -1, v3
; %bb.14112:                            ;   in Loop: Header=BB6_12355 Depth=2
	s_or_b64 exec, exec, s[90:91]
	v_add_u32_e32 v1, 0xffffff81, v1
	v_mov_b32_e32 v3, 0xffffff82
	v_cndmask_b32_e32 v1, v1, v3, vcc
	v_lshrrev_b32_e32 v3, 23, v10
	v_add3_u32 v3, v2, v1, v3
	v_add_u32_e32 v2, 6, v3
	v_and_b32_e32 v1, 0xfffff, v11
	v_add_u32_e32 v52, v1, v10
	v_cmp_ne_u32_e32 vcc, 0, v2
                                        ; implicit-def: $vgpr10_vgpr11
                                        ; implicit-def: $vgpr1
	s_and_saveexec_b64 s[20:21], vcc
	s_xor_b64 s[20:21], exec, s[20:21]
; %bb.14113:                            ;   in Loop: Header=BB6_12355 Depth=2
	v_cmp_lt_u64_e32 vcc, s[58:59], v[52:53]
	v_add_u32_e32 v1, 7, v3
	v_cndmask_b32_e32 v1, v2, v1, vcc
	v_cndmask_b32_e64 v2, 0, 1, vcc
	v_lshrrev_b64 v[10:11], v2, v[52:53]
; %bb.14114:                            ;   in Loop: Header=BB6_12355 Depth=2
	s_andn2_saveexec_b64 s[20:21], s[20:21]
; %bb.14115:                            ;   in Loop: Header=BB6_12355 Depth=2
	v_mov_b32_e32 v10, v52
	v_bfe_u32 v1, v52, 23, 1
	v_mov_b32_e32 v11, v53
; %bb.14116:                            ;   in Loop: Header=BB6_12355 Depth=2
	s_or_b64 exec, exec, s[20:21]
	v_lshrrev_b64 v[2:3], 20, v[10:11]
	v_cmp_gt_i32_e32 vcc, 16, v1
	v_cndmask_b32_e32 v3, 0, v3, vcc
	v_cndmask_b32_e32 v2, 7, v2, vcc
	v_cmp_eq_u32_e32 vcc, 0, v1
	v_min_i32_e32 v1, 15, v1
	v_cmp_eq_u64_e64 s[20:21], 0, v[2:3]
	v_lshlrev_b32_e32 v1, 3, v1
	v_and_b32_e32 v1, 0xf8, v1
	v_and_or_b32 v1, v2, 7, v1
	s_and_b64 s[20:21], vcc, s[20:21]
	v_cndmask_b32_e64 v1, v1, 0, s[20:21]
	v_or_b32_e32 v0, v1, v0
	buffer_store_dword v0, off, s[0:3], s33 offset:448 ; 4-byte Folded Spill
.LBB6_14117:                            ;   in Loop: Header=BB6_12355 Depth=2
	s_or_b64 exec, exec, s[88:89]
                                        ; implicit-def: $vgpr0
.LBB6_14118:                            ;   in Loop: Header=BB6_12355 Depth=2
	s_andn2_saveexec_b64 s[20:21], s[78:79]
	s_cbranch_execz .LBB6_14120
; %bb.14119:                            ;   in Loop: Header=BB6_12355 Depth=2
	v_or_b32_e32 v0, 0x7e, v0
	buffer_store_dword v0, off, s[0:3], s33 offset:448 ; 4-byte Folded Spill
.LBB6_14120:                            ;   in Loop: Header=BB6_12355 Depth=2
	s_or_b64 exec, exec, s[20:21]
                                        ; implicit-def: $vgpr1
.LBB6_14121:                            ;   in Loop: Header=BB6_12355 Depth=2
	s_andn2_saveexec_b64 s[20:21], s[76:77]
	s_cbranch_execz .LBB6_14123
; %bb.14122:                            ;   in Loop: Header=BB6_12355 Depth=2
	v_or_b32_sdwa v0, v1, s39 dst_sel:DWORD dst_unused:UNUSED_PAD src0_sel:BYTE_3 src1_sel:DWORD
	buffer_store_dword v0, off, s[0:3], s33 offset:448 ; 4-byte Folded Spill
.LBB6_14123:                            ;   in Loop: Header=BB6_12355 Depth=2
	s_or_b64 exec, exec, s[20:21]
	v_add_co_u32_e32 v0, vcc, 0x1000, v14
	v_addc_co_u32_e32 v1, vcc, 0, v15, vcc
	global_load_dwordx4 v[10:13], v[0:1], off offset:1024 glc slc
	v_mov_b32_e32 v0, 0
	s_waitcnt vmcnt(0)
	v_cmp_ne_u16_sdwa s[76:77], v10, v53 src0_sel:BYTE_0 src1_sel:DWORD
	s_and_saveexec_b64 s[20:21], s[76:77]
	s_cbranch_execz .LBB6_14129
; %bb.14124:                            ;   in Loop: Header=BB6_12355 Depth=2
	v_cmp_ne_u16_sdwa s[78:79], v10, s48 src0_sel:BYTE_0 src1_sel:DWORD
	v_bfrev_b32_e32 v0, 1
	s_and_saveexec_b64 s[76:77], s[78:79]
	s_cbranch_execz .LBB6_14128
; %bb.14125:                            ;   in Loop: Header=BB6_12355 Depth=2
	v_and_b32_e32 v1, 0x7f, v10
	v_cmp_ne_u32_e32 vcc, s39, v1
	v_mov_b32_e32 v0, 0x7f800001
	s_and_saveexec_b64 s[78:79], vcc
	s_cbranch_execz .LBB6_14127
; %bb.14126:                            ;   in Loop: Header=BB6_12355 Depth=2
	v_and_b32_e32 v0, 7, v10
	v_ffbh_u32_e32 v0, v0
	v_min_u32_e32 v0, 32, v0
	v_lshrrev_b32_e32 v2, 3, v1
	v_cmp_gt_u32_e32 vcc, 8, v1
	v_subrev_u32_e32 v1, 28, v0
	v_sub_u32_e32 v0, 29, v0
	v_cndmask_b32_e32 v2, v2, v0, vcc
	v_cndmask_b32_e32 v0, 0, v1, vcc
	v_lshlrev_b64 v[0:1], v0, v[10:11]
	v_lshlrev_b32_e32 v1, 24, v10
	v_lshlrev_b32_e32 v0, 20, v0
	v_bfrev_b32_e32 v3, 60
	v_and_b32_e32 v0, 0x700000, v0
	v_and_b32_e32 v1, 0x80000000, v1
	v_lshl_add_u32 v2, v2, 23, v3
	v_or3_b32 v0, v1, v2, v0
.LBB6_14127:                            ;   in Loop: Header=BB6_12355 Depth=2
	s_or_b64 exec, exec, s[78:79]
.LBB6_14128:                            ;   in Loop: Header=BB6_12355 Depth=2
	s_or_b64 exec, exec, s[76:77]
.LBB6_14129:                            ;   in Loop: Header=BB6_12355 Depth=2
	s_or_b64 exec, exec, s[20:21]
	v_mul_f32_e32 v1, v19, v0
	v_and_b32_e32 v52, 0x7f800000, v1
	v_cmp_ne_u64_e32 vcc, s[46:47], v[52:53]
                                        ; implicit-def: $vgpr0
                                        ; kill: killed $vgpr0
	s_and_saveexec_b64 s[20:21], vcc
	s_xor_b64 s[76:77], exec, s[20:21]
	s_cbranch_execz .LBB6_14143
; %bb.14130:                            ;   in Loop: Header=BB6_12355 Depth=2
	v_and_b32_e32 v52, 0x7fffffff, v1
	v_cmp_gt_u64_e32 vcc, s[56:57], v[52:53]
	v_and_b32_sdwa v0, v1, s48 dst_sel:DWORD dst_unused:UNUSED_PAD src0_sel:BYTE_3 src1_sel:DWORD
                                        ; implicit-def: $vgpr2
                                        ; kill: killed $vgpr2
	s_and_saveexec_b64 s[20:21], vcc
	s_xor_b64 s[78:79], exec, s[20:21]
	s_cbranch_execz .LBB6_14140
; %bb.14131:                            ;   in Loop: Header=BB6_12355 Depth=2
	v_mov_b32_e32 v2, 0
	v_cmp_ne_u32_e32 vcc, 0, v1
	buffer_store_dword v2, off, s[0:3], s33 offset:452 ; 4-byte Folded Spill
	s_and_saveexec_b64 s[88:89], vcc
	s_cbranch_execz .LBB6_14139
; %bb.14132:                            ;   in Loop: Header=BB6_12355 Depth=2
	v_and_b32_e32 v3, 0x7fffff, v1
	v_bfe_u32 v1, v1, 23, 8
	v_cmp_gt_u32_e64 s[20:21], s49, v1
	v_sub_u32_e32 v2, 0x79, v1
	v_cmp_eq_u32_e32 vcc, 0, v1
	v_cndmask_b32_e64 v2, 0, v2, s[20:21]
	v_mov_b32_e32 v5, 0x78
	v_or_b32_e32 v4, 0x800000, v3
	v_cndmask_b32_e32 v2, v2, v5, vcc
	v_cndmask_b32_e32 v52, v4, v3, vcc
	v_add_u32_e32 v3, 20, v2
	v_lshlrev_b64 v[3:4], v3, -1
	v_add_u32_e32 v5, 19, v2
	v_lshlrev_b64 v[5:6], v5, 1
	v_lshrrev_b64 v[16:17], v2, v[52:53]
	v_bfi_b32 v4, v4, 0, 0
	v_bfi_b32 v3, v3, 0, v52
	v_cmp_eq_u64_e64 s[20:21], v[3:4], v[5:6]
	v_mov_b32_e32 v18, v17
	v_mov_b32_e32 v17, v16
	s_and_saveexec_b64 s[90:91], s[20:21]
; %bb.14133:                            ;   in Loop: Header=BB6_12355 Depth=2
	v_bfe_u32 v3, v16, 20, 1
	v_add_co_u32_e64 v3, s[20:21], v16, v3
	v_add_co_u32_e64 v17, s[20:21], -1, v3
; %bb.14134:                            ;   in Loop: Header=BB6_12355 Depth=2
	s_or_b64 exec, exec, s[90:91]
	v_add_u32_e32 v1, 0xffffff81, v1
	v_mov_b32_e32 v3, 0xffffff82
	v_cndmask_b32_e32 v1, v1, v3, vcc
	v_lshrrev_b32_e32 v3, 23, v16
	v_add3_u32 v3, v2, v1, v3
	v_add_u32_e32 v2, 6, v3
	v_and_b32_e32 v1, 0xfffff, v17
	v_add_u32_e32 v52, v1, v16
	v_cmp_ne_u32_e32 vcc, 0, v2
                                        ; implicit-def: $vgpr16_vgpr17
                                        ; implicit-def: $vgpr1
	s_and_saveexec_b64 s[20:21], vcc
	s_xor_b64 s[20:21], exec, s[20:21]
; %bb.14135:                            ;   in Loop: Header=BB6_12355 Depth=2
	v_cmp_lt_u64_e32 vcc, s[58:59], v[52:53]
	v_add_u32_e32 v1, 7, v3
	v_cndmask_b32_e32 v1, v2, v1, vcc
	v_cndmask_b32_e64 v2, 0, 1, vcc
	v_lshrrev_b64 v[16:17], v2, v[52:53]
; %bb.14136:                            ;   in Loop: Header=BB6_12355 Depth=2
	s_andn2_saveexec_b64 s[20:21], s[20:21]
; %bb.14137:                            ;   in Loop: Header=BB6_12355 Depth=2
	v_mov_b32_e32 v16, v52
	v_bfe_u32 v1, v52, 23, 1
	v_mov_b32_e32 v17, v53
; %bb.14138:                            ;   in Loop: Header=BB6_12355 Depth=2
	s_or_b64 exec, exec, s[20:21]
	v_lshrrev_b64 v[2:3], 20, v[16:17]
	v_cmp_gt_i32_e32 vcc, 16, v1
	v_cndmask_b32_e32 v3, 0, v3, vcc
	v_cndmask_b32_e32 v2, 7, v2, vcc
	v_cmp_eq_u32_e32 vcc, 0, v1
	v_min_i32_e32 v1, 15, v1
	v_cmp_eq_u64_e64 s[20:21], 0, v[2:3]
	v_lshlrev_b32_e32 v1, 3, v1
	v_and_b32_e32 v1, 0xf8, v1
	v_and_or_b32 v1, v2, 7, v1
	s_and_b64 s[20:21], vcc, s[20:21]
	v_cndmask_b32_e64 v1, v1, 0, s[20:21]
	v_or_b32_e32 v0, v1, v0
	buffer_store_dword v0, off, s[0:3], s33 offset:452 ; 4-byte Folded Spill
.LBB6_14139:                            ;   in Loop: Header=BB6_12355 Depth=2
	s_or_b64 exec, exec, s[88:89]
                                        ; implicit-def: $vgpr0
.LBB6_14140:                            ;   in Loop: Header=BB6_12355 Depth=2
	s_andn2_saveexec_b64 s[20:21], s[78:79]
	s_cbranch_execz .LBB6_14142
; %bb.14141:                            ;   in Loop: Header=BB6_12355 Depth=2
	v_or_b32_e32 v0, 0x7e, v0
	buffer_store_dword v0, off, s[0:3], s33 offset:452 ; 4-byte Folded Spill
.LBB6_14142:                            ;   in Loop: Header=BB6_12355 Depth=2
	s_or_b64 exec, exec, s[20:21]
                                        ; implicit-def: $vgpr1
.LBB6_14143:                            ;   in Loop: Header=BB6_12355 Depth=2
	s_andn2_saveexec_b64 s[20:21], s[76:77]
	s_cbranch_execz .LBB6_14145
; %bb.14144:                            ;   in Loop: Header=BB6_12355 Depth=2
	v_or_b32_sdwa v0, v1, s39 dst_sel:DWORD dst_unused:UNUSED_PAD src0_sel:BYTE_3 src1_sel:DWORD
	buffer_store_dword v0, off, s[0:3], s33 offset:452 ; 4-byte Folded Spill
.LBB6_14145:                            ;   in Loop: Header=BB6_12355 Depth=2
	s_or_b64 exec, exec, s[20:21]
	v_lshrrev_b16_e32 v16, 8, v10
	v_cmp_ne_u16_e32 vcc, 0, v16
	v_mov_b32_e32 v0, 0
	s_and_saveexec_b64 s[20:21], vcc
	s_cbranch_execz .LBB6_14151
; %bb.14146:                            ;   in Loop: Header=BB6_12355 Depth=2
	v_cmp_ne_u16_e32 vcc, s48, v16
	v_bfrev_b32_e32 v0, 1
	s_and_saveexec_b64 s[76:77], vcc
	s_cbranch_execz .LBB6_14150
; %bb.14147:                            ;   in Loop: Header=BB6_12355 Depth=2
	v_and_b32_e32 v1, 0x7f, v16
	v_cmp_ne_u32_e32 vcc, s39, v1
	v_mov_b32_e32 v0, 0x7f800001
	s_and_saveexec_b64 s[78:79], vcc
	s_cbranch_execz .LBB6_14149
; %bb.14148:                            ;   in Loop: Header=BB6_12355 Depth=2
	v_and_b32_e32 v2, 7, v16
	v_ffbh_u32_e32 v0, v2
	v_min_u32_e32 v4, 32, v0
	v_subrev_u32_e32 v0, 28, v4
	v_lshrrev_b32_e32 v3, 3, v1
	v_cmp_gt_u32_e32 vcc, 8, v1
	v_lshlrev_b64 v[0:1], v0, v[16:17]
	v_sub_u32_e32 v1, 29, v4
	v_and_b32_e32 v0, 7, v0
	v_cndmask_b32_e32 v1, v3, v1, vcc
	v_cndmask_b32_e32 v0, v2, v0, vcc
	v_lshlrev_b32_e32 v2, 16, v10
	v_bfrev_b32_e32 v3, 60
	v_lshlrev_b32_e32 v0, 20, v0
	v_and_b32_e32 v2, 0x80000000, v2
	v_lshl_add_u32 v1, v1, 23, v3
	v_or3_b32 v0, v2, v1, v0
.LBB6_14149:                            ;   in Loop: Header=BB6_12355 Depth=2
	s_or_b64 exec, exec, s[78:79]
.LBB6_14150:                            ;   in Loop: Header=BB6_12355 Depth=2
	s_or_b64 exec, exec, s[76:77]
.LBB6_14151:                            ;   in Loop: Header=BB6_12355 Depth=2
	s_or_b64 exec, exec, s[20:21]
	v_mul_f32_e32 v1, v19, v0
	v_and_b32_e32 v52, 0x7f800000, v1
	v_cmp_ne_u64_e32 vcc, s[46:47], v[52:53]
                                        ; implicit-def: $vgpr0
                                        ; kill: killed $vgpr0
	s_and_saveexec_b64 s[20:21], vcc
	s_xor_b64 s[76:77], exec, s[20:21]
	s_cbranch_execz .LBB6_14165
; %bb.14152:                            ;   in Loop: Header=BB6_12355 Depth=2
	v_and_b32_e32 v52, 0x7fffffff, v1
	v_cmp_gt_u64_e32 vcc, s[56:57], v[52:53]
	v_and_b32_sdwa v0, v1, s48 dst_sel:DWORD dst_unused:UNUSED_PAD src0_sel:BYTE_3 src1_sel:DWORD
                                        ; implicit-def: $vgpr2
                                        ; kill: killed $vgpr2
	s_and_saveexec_b64 s[20:21], vcc
	s_xor_b64 s[78:79], exec, s[20:21]
	s_cbranch_execz .LBB6_14162
; %bb.14153:                            ;   in Loop: Header=BB6_12355 Depth=2
	v_mov_b32_e32 v2, 0
	v_cmp_ne_u32_e32 vcc, 0, v1
	buffer_store_dword v2, off, s[0:3], s33 offset:456 ; 4-byte Folded Spill
	s_and_saveexec_b64 s[88:89], vcc
	s_cbranch_execz .LBB6_14161
; %bb.14154:                            ;   in Loop: Header=BB6_12355 Depth=2
	v_and_b32_e32 v3, 0x7fffff, v1
	v_bfe_u32 v1, v1, 23, 8
	v_cmp_gt_u32_e64 s[20:21], s49, v1
	v_sub_u32_e32 v2, 0x79, v1
	v_cmp_eq_u32_e32 vcc, 0, v1
	v_cndmask_b32_e64 v2, 0, v2, s[20:21]
	v_mov_b32_e32 v5, 0x78
	v_or_b32_e32 v4, 0x800000, v3
	v_cndmask_b32_e32 v2, v2, v5, vcc
	v_cndmask_b32_e32 v52, v4, v3, vcc
	v_add_u32_e32 v3, 20, v2
	v_lshlrev_b64 v[3:4], v3, -1
	v_add_u32_e32 v5, 19, v2
	v_lshlrev_b64 v[5:6], v5, 1
	v_lshrrev_b64 v[16:17], v2, v[52:53]
	v_bfi_b32 v4, v4, 0, 0
	v_bfi_b32 v3, v3, 0, v52
	v_cmp_eq_u64_e64 s[20:21], v[3:4], v[5:6]
	v_mov_b32_e32 v18, v17
	v_mov_b32_e32 v17, v16
	s_and_saveexec_b64 s[90:91], s[20:21]
; %bb.14155:                            ;   in Loop: Header=BB6_12355 Depth=2
	v_bfe_u32 v3, v16, 20, 1
	v_add_co_u32_e64 v3, s[20:21], v16, v3
	v_add_co_u32_e64 v17, s[20:21], -1, v3
; %bb.14156:                            ;   in Loop: Header=BB6_12355 Depth=2
	s_or_b64 exec, exec, s[90:91]
	v_add_u32_e32 v1, 0xffffff81, v1
	v_mov_b32_e32 v3, 0xffffff82
	v_cndmask_b32_e32 v1, v1, v3, vcc
	v_lshrrev_b32_e32 v3, 23, v16
	v_add3_u32 v3, v2, v1, v3
	v_add_u32_e32 v2, 6, v3
	v_and_b32_e32 v1, 0xfffff, v17
	v_add_u32_e32 v52, v1, v16
	v_cmp_ne_u32_e32 vcc, 0, v2
                                        ; implicit-def: $vgpr16_vgpr17
                                        ; implicit-def: $vgpr1
	s_and_saveexec_b64 s[20:21], vcc
	s_xor_b64 s[20:21], exec, s[20:21]
; %bb.14157:                            ;   in Loop: Header=BB6_12355 Depth=2
	v_cmp_lt_u64_e32 vcc, s[58:59], v[52:53]
	v_add_u32_e32 v1, 7, v3
	v_cndmask_b32_e32 v1, v2, v1, vcc
	v_cndmask_b32_e64 v2, 0, 1, vcc
	v_lshrrev_b64 v[16:17], v2, v[52:53]
; %bb.14158:                            ;   in Loop: Header=BB6_12355 Depth=2
	s_andn2_saveexec_b64 s[20:21], s[20:21]
; %bb.14159:                            ;   in Loop: Header=BB6_12355 Depth=2
	v_mov_b32_e32 v16, v52
	v_bfe_u32 v1, v52, 23, 1
	v_mov_b32_e32 v17, v53
; %bb.14160:                            ;   in Loop: Header=BB6_12355 Depth=2
	s_or_b64 exec, exec, s[20:21]
	v_lshrrev_b64 v[2:3], 20, v[16:17]
	v_cmp_gt_i32_e32 vcc, 16, v1
	v_cndmask_b32_e32 v3, 0, v3, vcc
	v_cndmask_b32_e32 v2, 7, v2, vcc
	v_cmp_eq_u32_e32 vcc, 0, v1
	v_min_i32_e32 v1, 15, v1
	v_cmp_eq_u64_e64 s[20:21], 0, v[2:3]
	v_lshlrev_b32_e32 v1, 3, v1
	v_and_b32_e32 v1, 0xf8, v1
	v_and_or_b32 v1, v2, 7, v1
	s_and_b64 s[20:21], vcc, s[20:21]
	v_cndmask_b32_e64 v1, v1, 0, s[20:21]
	v_or_b32_e32 v0, v1, v0
	buffer_store_dword v0, off, s[0:3], s33 offset:456 ; 4-byte Folded Spill
.LBB6_14161:                            ;   in Loop: Header=BB6_12355 Depth=2
	s_or_b64 exec, exec, s[88:89]
                                        ; implicit-def: $vgpr0
.LBB6_14162:                            ;   in Loop: Header=BB6_12355 Depth=2
	s_andn2_saveexec_b64 s[20:21], s[78:79]
	s_cbranch_execz .LBB6_14164
; %bb.14163:                            ;   in Loop: Header=BB6_12355 Depth=2
	v_or_b32_e32 v0, 0x7e, v0
	buffer_store_dword v0, off, s[0:3], s33 offset:456 ; 4-byte Folded Spill
.LBB6_14164:                            ;   in Loop: Header=BB6_12355 Depth=2
	s_or_b64 exec, exec, s[20:21]
                                        ; implicit-def: $vgpr1
.LBB6_14165:                            ;   in Loop: Header=BB6_12355 Depth=2
	s_andn2_saveexec_b64 s[20:21], s[76:77]
	s_cbranch_execz .LBB6_14167
; %bb.14166:                            ;   in Loop: Header=BB6_12355 Depth=2
	v_or_b32_sdwa v0, v1, s39 dst_sel:DWORD dst_unused:UNUSED_PAD src0_sel:BYTE_3 src1_sel:DWORD
	buffer_store_dword v0, off, s[0:3], s33 offset:456 ; 4-byte Folded Spill
.LBB6_14167:                            ;   in Loop: Header=BB6_12355 Depth=2
	s_or_b64 exec, exec, s[20:21]
	v_lshrrev_b32_e32 v16, 16, v10
	v_cmp_ne_u16_sdwa s[76:77], v16, v53 src0_sel:BYTE_0 src1_sel:DWORD
	v_mov_b32_e32 v0, 0
	s_and_saveexec_b64 s[20:21], s[76:77]
	s_cbranch_execz .LBB6_14173
; %bb.14168:                            ;   in Loop: Header=BB6_12355 Depth=2
	v_cmp_ne_u16_sdwa s[78:79], v16, s48 src0_sel:BYTE_0 src1_sel:DWORD
	v_bfrev_b32_e32 v0, 1
	s_and_saveexec_b64 s[76:77], s[78:79]
	s_cbranch_execz .LBB6_14172
; %bb.14169:                            ;   in Loop: Header=BB6_12355 Depth=2
	v_bfe_u32 v1, v10, 16, 7
	v_cmp_ne_u32_e32 vcc, s39, v1
	v_mov_b32_e32 v0, 0x7f800001
	s_and_saveexec_b64 s[78:79], vcc
	s_cbranch_execz .LBB6_14171
; %bb.14170:                            ;   in Loop: Header=BB6_12355 Depth=2
	v_and_b32_e32 v2, 7, v16
	v_ffbh_u32_e32 v0, v2
	v_min_u32_e32 v4, 32, v0
	v_subrev_u32_e32 v0, 28, v4
	v_lshrrev_b32_e32 v3, 3, v1
	v_cmp_gt_u32_e32 vcc, 8, v1
	v_lshlrev_b64 v[0:1], v0, v[16:17]
	v_sub_u32_e32 v1, 29, v4
	v_and_b32_e32 v0, 7, v0
	v_cndmask_b32_e32 v1, v3, v1, vcc
	v_cndmask_b32_e32 v0, v2, v0, vcc
	v_lshlrev_b32_e32 v2, 24, v16
	v_bfrev_b32_e32 v3, 60
	v_lshlrev_b32_e32 v0, 20, v0
	v_and_b32_e32 v2, 0x80000000, v2
	v_lshl_add_u32 v1, v1, 23, v3
	v_or3_b32 v0, v2, v1, v0
.LBB6_14171:                            ;   in Loop: Header=BB6_12355 Depth=2
	s_or_b64 exec, exec, s[78:79]
.LBB6_14172:                            ;   in Loop: Header=BB6_12355 Depth=2
	s_or_b64 exec, exec, s[76:77]
.LBB6_14173:                            ;   in Loop: Header=BB6_12355 Depth=2
	s_or_b64 exec, exec, s[20:21]
	v_mul_f32_e32 v1, v19, v0
	v_and_b32_e32 v52, 0x7f800000, v1
	v_cmp_ne_u64_e32 vcc, s[46:47], v[52:53]
                                        ; implicit-def: $vgpr0
                                        ; kill: killed $vgpr0
	s_and_saveexec_b64 s[20:21], vcc
	s_xor_b64 s[76:77], exec, s[20:21]
	s_cbranch_execz .LBB6_14187
; %bb.14174:                            ;   in Loop: Header=BB6_12355 Depth=2
	v_and_b32_e32 v52, 0x7fffffff, v1
	v_cmp_gt_u64_e32 vcc, s[56:57], v[52:53]
	v_and_b32_sdwa v0, v1, s48 dst_sel:DWORD dst_unused:UNUSED_PAD src0_sel:BYTE_3 src1_sel:DWORD
                                        ; implicit-def: $vgpr2
                                        ; kill: killed $vgpr2
	s_and_saveexec_b64 s[20:21], vcc
	s_xor_b64 s[78:79], exec, s[20:21]
	s_cbranch_execz .LBB6_14184
; %bb.14175:                            ;   in Loop: Header=BB6_12355 Depth=2
	v_mov_b32_e32 v2, 0
	v_cmp_ne_u32_e32 vcc, 0, v1
	buffer_store_dword v2, off, s[0:3], s33 offset:460 ; 4-byte Folded Spill
	s_and_saveexec_b64 s[88:89], vcc
	s_cbranch_execz .LBB6_14183
; %bb.14176:                            ;   in Loop: Header=BB6_12355 Depth=2
	v_and_b32_e32 v3, 0x7fffff, v1
	v_bfe_u32 v1, v1, 23, 8
	v_cmp_gt_u32_e64 s[20:21], s49, v1
	v_sub_u32_e32 v2, 0x79, v1
	v_cmp_eq_u32_e32 vcc, 0, v1
	v_cndmask_b32_e64 v2, 0, v2, s[20:21]
	v_mov_b32_e32 v5, 0x78
	v_or_b32_e32 v4, 0x800000, v3
	v_cndmask_b32_e32 v2, v2, v5, vcc
	v_cndmask_b32_e32 v52, v4, v3, vcc
	v_add_u32_e32 v3, 20, v2
	v_lshlrev_b64 v[3:4], v3, -1
	v_add_u32_e32 v5, 19, v2
	v_lshlrev_b64 v[5:6], v5, 1
	v_lshrrev_b64 v[16:17], v2, v[52:53]
	v_bfi_b32 v4, v4, 0, 0
	v_bfi_b32 v3, v3, 0, v52
	v_cmp_eq_u64_e64 s[20:21], v[3:4], v[5:6]
	v_mov_b32_e32 v18, v17
	v_mov_b32_e32 v17, v16
	s_and_saveexec_b64 s[90:91], s[20:21]
; %bb.14177:                            ;   in Loop: Header=BB6_12355 Depth=2
	v_bfe_u32 v3, v16, 20, 1
	v_add_co_u32_e64 v3, s[20:21], v16, v3
	v_add_co_u32_e64 v17, s[20:21], -1, v3
; %bb.14178:                            ;   in Loop: Header=BB6_12355 Depth=2
	s_or_b64 exec, exec, s[90:91]
	v_add_u32_e32 v1, 0xffffff81, v1
	v_mov_b32_e32 v3, 0xffffff82
	v_cndmask_b32_e32 v1, v1, v3, vcc
	v_lshrrev_b32_e32 v3, 23, v16
	v_add3_u32 v3, v2, v1, v3
	v_add_u32_e32 v2, 6, v3
	v_and_b32_e32 v1, 0xfffff, v17
	v_add_u32_e32 v52, v1, v16
	v_cmp_ne_u32_e32 vcc, 0, v2
                                        ; implicit-def: $vgpr16_vgpr17
                                        ; implicit-def: $vgpr1
	s_and_saveexec_b64 s[20:21], vcc
	s_xor_b64 s[20:21], exec, s[20:21]
; %bb.14179:                            ;   in Loop: Header=BB6_12355 Depth=2
	v_cmp_lt_u64_e32 vcc, s[58:59], v[52:53]
	v_add_u32_e32 v1, 7, v3
	v_cndmask_b32_e32 v1, v2, v1, vcc
	v_cndmask_b32_e64 v2, 0, 1, vcc
	v_lshrrev_b64 v[16:17], v2, v[52:53]
; %bb.14180:                            ;   in Loop: Header=BB6_12355 Depth=2
	s_andn2_saveexec_b64 s[20:21], s[20:21]
; %bb.14181:                            ;   in Loop: Header=BB6_12355 Depth=2
	v_mov_b32_e32 v16, v52
	v_bfe_u32 v1, v52, 23, 1
	v_mov_b32_e32 v17, v53
; %bb.14182:                            ;   in Loop: Header=BB6_12355 Depth=2
	s_or_b64 exec, exec, s[20:21]
	v_lshrrev_b64 v[2:3], 20, v[16:17]
	v_cmp_gt_i32_e32 vcc, 16, v1
	v_cndmask_b32_e32 v3, 0, v3, vcc
	v_cndmask_b32_e32 v2, 7, v2, vcc
	v_cmp_eq_u32_e32 vcc, 0, v1
	v_min_i32_e32 v1, 15, v1
	v_cmp_eq_u64_e64 s[20:21], 0, v[2:3]
	v_lshlrev_b32_e32 v1, 3, v1
	v_and_b32_e32 v1, 0xf8, v1
	v_and_or_b32 v1, v2, 7, v1
	s_and_b64 s[20:21], vcc, s[20:21]
	v_cndmask_b32_e64 v1, v1, 0, s[20:21]
	v_or_b32_e32 v0, v1, v0
	buffer_store_dword v0, off, s[0:3], s33 offset:460 ; 4-byte Folded Spill
.LBB6_14183:                            ;   in Loop: Header=BB6_12355 Depth=2
	s_or_b64 exec, exec, s[88:89]
                                        ; implicit-def: $vgpr0
.LBB6_14184:                            ;   in Loop: Header=BB6_12355 Depth=2
	s_andn2_saveexec_b64 s[20:21], s[78:79]
	s_cbranch_execz .LBB6_14186
; %bb.14185:                            ;   in Loop: Header=BB6_12355 Depth=2
	v_or_b32_e32 v0, 0x7e, v0
	buffer_store_dword v0, off, s[0:3], s33 offset:460 ; 4-byte Folded Spill
.LBB6_14186:                            ;   in Loop: Header=BB6_12355 Depth=2
	s_or_b64 exec, exec, s[20:21]
                                        ; implicit-def: $vgpr1
.LBB6_14187:                            ;   in Loop: Header=BB6_12355 Depth=2
	s_andn2_saveexec_b64 s[20:21], s[76:77]
	s_cbranch_execz .LBB6_14189
; %bb.14188:                            ;   in Loop: Header=BB6_12355 Depth=2
	v_or_b32_sdwa v0, v1, s39 dst_sel:DWORD dst_unused:UNUSED_PAD src0_sel:BYTE_3 src1_sel:DWORD
	buffer_store_dword v0, off, s[0:3], s33 offset:460 ; 4-byte Folded Spill
.LBB6_14189:                            ;   in Loop: Header=BB6_12355 Depth=2
	s_or_b64 exec, exec, s[20:21]
	v_cmp_lt_u32_e32 vcc, s61, v10
	v_mov_b32_e32 v0, 0
	s_and_saveexec_b64 s[20:21], vcc
	s_cbranch_execz .LBB6_14195
; %bb.14190:                            ;   in Loop: Header=BB6_12355 Depth=2
	v_lshrrev_b32_e32 v16, 24, v10
	v_cmp_ne_u32_e32 vcc, s48, v16
	v_bfrev_b32_e32 v0, 1
	s_and_saveexec_b64 s[76:77], vcc
	s_cbranch_execz .LBB6_14194
; %bb.14191:                            ;   in Loop: Header=BB6_12355 Depth=2
	v_bfe_u32 v1, v10, 24, 7
	v_cmp_ne_u32_e32 vcc, s39, v1
	v_mov_b32_e32 v0, 0x7f800001
	s_and_saveexec_b64 s[78:79], vcc
	s_cbranch_execz .LBB6_14193
; %bb.14192:                            ;   in Loop: Header=BB6_12355 Depth=2
	v_and_b32_e32 v2, 7, v16
	v_ffbh_u32_e32 v0, v2
	v_min_u32_e32 v4, 32, v0
	v_subrev_u32_e32 v0, 28, v4
	v_lshrrev_b32_e32 v3, 3, v1
	v_cmp_gt_u32_e32 vcc, 8, v1
	v_lshlrev_b64 v[0:1], v0, v[16:17]
	v_sub_u32_e32 v1, 29, v4
	v_and_b32_e32 v0, 7, v0
	v_cndmask_b32_e32 v1, v3, v1, vcc
	v_cndmask_b32_e32 v0, v2, v0, vcc
	v_lshlrev_b32_e32 v2, 24, v16
	v_bfrev_b32_e32 v3, 60
	v_lshlrev_b32_e32 v0, 20, v0
	v_and_b32_e32 v2, 0x80000000, v2
	v_lshl_add_u32 v1, v1, 23, v3
	v_or3_b32 v0, v2, v1, v0
.LBB6_14193:                            ;   in Loop: Header=BB6_12355 Depth=2
	s_or_b64 exec, exec, s[78:79]
.LBB6_14194:                            ;   in Loop: Header=BB6_12355 Depth=2
	s_or_b64 exec, exec, s[76:77]
.LBB6_14195:                            ;   in Loop: Header=BB6_12355 Depth=2
	s_or_b64 exec, exec, s[20:21]
	v_mul_f32_e32 v1, v19, v0
	v_and_b32_e32 v52, 0x7f800000, v1
	v_cmp_ne_u64_e32 vcc, s[46:47], v[52:53]
                                        ; implicit-def: $vgpr0
                                        ; kill: killed $vgpr0
	s_and_saveexec_b64 s[20:21], vcc
	s_xor_b64 s[76:77], exec, s[20:21]
	s_cbranch_execz .LBB6_14209
; %bb.14196:                            ;   in Loop: Header=BB6_12355 Depth=2
	v_and_b32_e32 v52, 0x7fffffff, v1
	v_cmp_gt_u64_e32 vcc, s[56:57], v[52:53]
	v_and_b32_sdwa v0, v1, s48 dst_sel:DWORD dst_unused:UNUSED_PAD src0_sel:BYTE_3 src1_sel:DWORD
                                        ; implicit-def: $vgpr2
                                        ; kill: killed $vgpr2
	s_and_saveexec_b64 s[20:21], vcc
	s_xor_b64 s[78:79], exec, s[20:21]
	s_cbranch_execz .LBB6_14206
; %bb.14197:                            ;   in Loop: Header=BB6_12355 Depth=2
	v_mov_b32_e32 v2, 0
	v_cmp_ne_u32_e32 vcc, 0, v1
	buffer_store_dword v2, off, s[0:3], s33 offset:464 ; 4-byte Folded Spill
	s_and_saveexec_b64 s[88:89], vcc
	s_cbranch_execz .LBB6_14205
; %bb.14198:                            ;   in Loop: Header=BB6_12355 Depth=2
	v_and_b32_e32 v3, 0x7fffff, v1
	v_bfe_u32 v1, v1, 23, 8
	v_cmp_gt_u32_e64 s[20:21], s49, v1
	v_sub_u32_e32 v2, 0x79, v1
	v_cmp_eq_u32_e32 vcc, 0, v1
	v_cndmask_b32_e64 v2, 0, v2, s[20:21]
	v_mov_b32_e32 v5, 0x78
	v_or_b32_e32 v4, 0x800000, v3
	v_cndmask_b32_e32 v2, v2, v5, vcc
	v_cndmask_b32_e32 v52, v4, v3, vcc
	v_add_u32_e32 v3, 20, v2
	v_lshlrev_b64 v[3:4], v3, -1
	v_add_u32_e32 v5, 19, v2
	v_lshlrev_b64 v[5:6], v5, 1
	v_lshrrev_b64 v[16:17], v2, v[52:53]
	v_bfi_b32 v4, v4, 0, 0
	v_bfi_b32 v3, v3, 0, v52
	v_cmp_eq_u64_e64 s[20:21], v[3:4], v[5:6]
	v_mov_b32_e32 v18, v17
	v_mov_b32_e32 v17, v16
	s_and_saveexec_b64 s[90:91], s[20:21]
; %bb.14199:                            ;   in Loop: Header=BB6_12355 Depth=2
	v_bfe_u32 v3, v16, 20, 1
	v_add_co_u32_e64 v3, s[20:21], v16, v3
	v_add_co_u32_e64 v17, s[20:21], -1, v3
; %bb.14200:                            ;   in Loop: Header=BB6_12355 Depth=2
	s_or_b64 exec, exec, s[90:91]
	v_add_u32_e32 v1, 0xffffff81, v1
	v_mov_b32_e32 v3, 0xffffff82
	v_cndmask_b32_e32 v1, v1, v3, vcc
	v_lshrrev_b32_e32 v3, 23, v16
	v_add3_u32 v3, v2, v1, v3
	v_add_u32_e32 v2, 6, v3
	v_and_b32_e32 v1, 0xfffff, v17
	v_add_u32_e32 v52, v1, v16
	v_cmp_ne_u32_e32 vcc, 0, v2
                                        ; implicit-def: $vgpr16_vgpr17
                                        ; implicit-def: $vgpr1
	s_and_saveexec_b64 s[20:21], vcc
	s_xor_b64 s[20:21], exec, s[20:21]
; %bb.14201:                            ;   in Loop: Header=BB6_12355 Depth=2
	v_cmp_lt_u64_e32 vcc, s[58:59], v[52:53]
	v_add_u32_e32 v1, 7, v3
	v_cndmask_b32_e32 v1, v2, v1, vcc
	v_cndmask_b32_e64 v2, 0, 1, vcc
	v_lshrrev_b64 v[16:17], v2, v[52:53]
; %bb.14202:                            ;   in Loop: Header=BB6_12355 Depth=2
	s_andn2_saveexec_b64 s[20:21], s[20:21]
; %bb.14203:                            ;   in Loop: Header=BB6_12355 Depth=2
	v_mov_b32_e32 v16, v52
	v_bfe_u32 v1, v52, 23, 1
	v_mov_b32_e32 v17, v53
; %bb.14204:                            ;   in Loop: Header=BB6_12355 Depth=2
	s_or_b64 exec, exec, s[20:21]
	v_lshrrev_b64 v[2:3], 20, v[16:17]
	v_cmp_gt_i32_e32 vcc, 16, v1
	v_cndmask_b32_e32 v3, 0, v3, vcc
	v_cndmask_b32_e32 v2, 7, v2, vcc
	v_cmp_eq_u32_e32 vcc, 0, v1
	v_min_i32_e32 v1, 15, v1
	v_cmp_eq_u64_e64 s[20:21], 0, v[2:3]
	v_lshlrev_b32_e32 v1, 3, v1
	v_and_b32_e32 v1, 0xf8, v1
	v_and_or_b32 v1, v2, 7, v1
	s_and_b64 s[20:21], vcc, s[20:21]
	v_cndmask_b32_e64 v1, v1, 0, s[20:21]
	v_or_b32_e32 v0, v1, v0
	buffer_store_dword v0, off, s[0:3], s33 offset:464 ; 4-byte Folded Spill
.LBB6_14205:                            ;   in Loop: Header=BB6_12355 Depth=2
	s_or_b64 exec, exec, s[88:89]
                                        ; implicit-def: $vgpr0
.LBB6_14206:                            ;   in Loop: Header=BB6_12355 Depth=2
	s_andn2_saveexec_b64 s[20:21], s[78:79]
	s_cbranch_execz .LBB6_14208
; %bb.14207:                            ;   in Loop: Header=BB6_12355 Depth=2
	v_or_b32_e32 v0, 0x7e, v0
	buffer_store_dword v0, off, s[0:3], s33 offset:464 ; 4-byte Folded Spill
.LBB6_14208:                            ;   in Loop: Header=BB6_12355 Depth=2
	s_or_b64 exec, exec, s[20:21]
                                        ; implicit-def: $vgpr1
.LBB6_14209:                            ;   in Loop: Header=BB6_12355 Depth=2
	s_andn2_saveexec_b64 s[20:21], s[76:77]
	s_cbranch_execz .LBB6_14211
; %bb.14210:                            ;   in Loop: Header=BB6_12355 Depth=2
	v_or_b32_sdwa v0, v1, s39 dst_sel:DWORD dst_unused:UNUSED_PAD src0_sel:BYTE_3 src1_sel:DWORD
	buffer_store_dword v0, off, s[0:3], s33 offset:464 ; 4-byte Folded Spill
.LBB6_14211:                            ;   in Loop: Header=BB6_12355 Depth=2
	s_or_b64 exec, exec, s[20:21]
	v_mov_b32_e32 v52, v11
	v_cmp_ne_u16_sdwa s[76:77], v11, v53 src0_sel:BYTE_0 src1_sel:DWORD
	v_mov_b32_e32 v0, 0
	s_and_saveexec_b64 s[20:21], s[76:77]
	s_cbranch_execz .LBB6_14217
; %bb.14212:                            ;   in Loop: Header=BB6_12355 Depth=2
	v_cmp_ne_u16_sdwa s[78:79], v11, s48 src0_sel:BYTE_0 src1_sel:DWORD
	v_bfrev_b32_e32 v0, 1
	s_and_saveexec_b64 s[76:77], s[78:79]
	s_cbranch_execz .LBB6_14216
; %bb.14213:                            ;   in Loop: Header=BB6_12355 Depth=2
	v_and_b32_e32 v1, 0x7f, v11
	v_cmp_ne_u32_e32 vcc, s39, v1
	v_mov_b32_e32 v0, 0x7f800001
	s_and_saveexec_b64 s[78:79], vcc
	s_cbranch_execz .LBB6_14215
; %bb.14214:                            ;   in Loop: Header=BB6_12355 Depth=2
	v_and_b32_e32 v0, 7, v11
	v_ffbh_u32_e32 v0, v0
	v_min_u32_e32 v0, 32, v0
	v_lshrrev_b32_e32 v2, 3, v1
	v_cmp_gt_u32_e32 vcc, 8, v1
	v_subrev_u32_e32 v1, 28, v0
	v_sub_u32_e32 v0, 29, v0
	v_cndmask_b32_e32 v2, v2, v0, vcc
	v_cndmask_b32_e32 v0, 0, v1, vcc
	v_lshlrev_b64 v[0:1], v0, v[52:53]
	v_lshlrev_b32_e32 v1, 24, v52
	v_lshlrev_b32_e32 v0, 20, v0
	v_bfrev_b32_e32 v3, 60
	v_and_b32_e32 v0, 0x700000, v0
	v_and_b32_e32 v1, 0x80000000, v1
	v_lshl_add_u32 v2, v2, 23, v3
	v_or3_b32 v0, v1, v2, v0
.LBB6_14215:                            ;   in Loop: Header=BB6_12355 Depth=2
	s_or_b64 exec, exec, s[78:79]
.LBB6_14216:                            ;   in Loop: Header=BB6_12355 Depth=2
	s_or_b64 exec, exec, s[76:77]
.LBB6_14217:                            ;   in Loop: Header=BB6_12355 Depth=2
	s_or_b64 exec, exec, s[20:21]
	v_mul_f32_e32 v1, v19, v0
	v_and_b32_e32 v2, 0x7f800000, v1
	v_mov_b32_e32 v3, v53
	v_cmp_ne_u64_e32 vcc, s[46:47], v[2:3]
                                        ; implicit-def: $vgpr0
                                        ; kill: killed $vgpr0
	s_and_saveexec_b64 s[20:21], vcc
	s_xor_b64 s[76:77], exec, s[20:21]
	s_cbranch_execz .LBB6_14231
; %bb.14218:                            ;   in Loop: Header=BB6_12355 Depth=2
	v_and_b32_e32 v2, 0x7fffffff, v1
	v_mov_b32_e32 v3, v53
	v_cmp_gt_u64_e32 vcc, s[56:57], v[2:3]
	v_and_b32_sdwa v0, v1, s48 dst_sel:DWORD dst_unused:UNUSED_PAD src0_sel:BYTE_3 src1_sel:DWORD
                                        ; implicit-def: $vgpr2
                                        ; kill: killed $vgpr2
	s_and_saveexec_b64 s[20:21], vcc
	s_xor_b64 s[78:79], exec, s[20:21]
	s_cbranch_execz .LBB6_14228
; %bb.14219:                            ;   in Loop: Header=BB6_12355 Depth=2
	v_mov_b32_e32 v2, 0
	v_cmp_ne_u32_e32 vcc, 0, v1
	buffer_store_dword v2, off, s[0:3], s33 offset:468 ; 4-byte Folded Spill
	s_and_saveexec_b64 s[88:89], vcc
	s_cbranch_execz .LBB6_14227
; %bb.14220:                            ;   in Loop: Header=BB6_12355 Depth=2
	v_and_b32_e32 v3, 0x7fffff, v1
	v_bfe_u32 v1, v1, 23, 8
	v_cmp_gt_u32_e64 s[20:21], s49, v1
	v_sub_u32_e32 v2, 0x79, v1
	v_cmp_eq_u32_e32 vcc, 0, v1
	v_cndmask_b32_e64 v2, 0, v2, s[20:21]
	v_mov_b32_e32 v5, 0x78
	v_cndmask_b32_e32 v2, v2, v5, vcc
	v_add_u32_e32 v5, 20, v2
	v_or_b32_e32 v4, 0x800000, v3
	v_lshlrev_b64 v[5:6], v5, -1
	v_add_u32_e32 v7, 19, v2
	v_cndmask_b32_e32 v3, v4, v3, vcc
	v_lshlrev_b64 v[16:17], v7, 1
	v_mov_b32_e32 v4, v53
	v_bfi_b32 v6, v6, 0, 0
	v_bfi_b32 v5, v5, 0, v3
	v_cmp_eq_u64_e64 s[20:21], v[5:6], v[16:17]
	v_lshrrev_b64 v[16:17], v2, v[3:4]
	v_mov_b32_e32 v18, v17
	v_mov_b32_e32 v17, v16
	s_and_saveexec_b64 s[90:91], s[20:21]
; %bb.14221:                            ;   in Loop: Header=BB6_12355 Depth=2
	v_bfe_u32 v3, v16, 20, 1
	v_add_co_u32_e64 v3, s[20:21], v16, v3
	v_add_co_u32_e64 v17, s[20:21], -1, v3
; %bb.14222:                            ;   in Loop: Header=BB6_12355 Depth=2
	s_or_b64 exec, exec, s[90:91]
	v_add_u32_e32 v1, 0xffffff81, v1
	v_mov_b32_e32 v3, 0xffffff82
	v_cndmask_b32_e32 v1, v1, v3, vcc
	v_lshrrev_b32_e32 v3, 23, v16
	v_add3_u32 v3, v2, v1, v3
	v_add_u32_e32 v2, 6, v3
	v_and_b32_e32 v1, 0xfffff, v17
	v_add_u32_e32 v16, v1, v16
	v_mov_b32_e32 v17, v53
	v_cmp_ne_u32_e32 vcc, 0, v2
                                        ; implicit-def: $vgpr1
	s_and_saveexec_b64 s[20:21], vcc
	s_xor_b64 s[20:21], exec, s[20:21]
; %bb.14223:                            ;   in Loop: Header=BB6_12355 Depth=2
	v_cmp_lt_u64_e32 vcc, s[58:59], v[16:17]
	v_add_u32_e32 v1, 7, v3
	v_cndmask_b32_e32 v1, v2, v1, vcc
	v_cndmask_b32_e64 v2, 0, 1, vcc
	v_lshrrev_b64 v[16:17], v2, v[16:17]
; %bb.14224:                            ;   in Loop: Header=BB6_12355 Depth=2
	s_andn2_saveexec_b64 s[20:21], s[20:21]
; %bb.14225:                            ;   in Loop: Header=BB6_12355 Depth=2
	v_bfe_u32 v1, v16, 23, 1
; %bb.14226:                            ;   in Loop: Header=BB6_12355 Depth=2
	s_or_b64 exec, exec, s[20:21]
	v_lshrrev_b64 v[2:3], 20, v[16:17]
	v_cmp_gt_i32_e32 vcc, 16, v1
	v_cndmask_b32_e32 v3, 0, v3, vcc
	v_cndmask_b32_e32 v2, 7, v2, vcc
	v_cmp_eq_u32_e32 vcc, 0, v1
	v_min_i32_e32 v1, 15, v1
	v_cmp_eq_u64_e64 s[20:21], 0, v[2:3]
	v_lshlrev_b32_e32 v1, 3, v1
	v_and_b32_e32 v1, 0xf8, v1
	v_and_or_b32 v1, v2, 7, v1
	s_and_b64 s[20:21], vcc, s[20:21]
	v_cndmask_b32_e64 v1, v1, 0, s[20:21]
	v_or_b32_e32 v0, v1, v0
	buffer_store_dword v0, off, s[0:3], s33 offset:468 ; 4-byte Folded Spill
.LBB6_14227:                            ;   in Loop: Header=BB6_12355 Depth=2
	s_or_b64 exec, exec, s[88:89]
                                        ; implicit-def: $vgpr0
.LBB6_14228:                            ;   in Loop: Header=BB6_12355 Depth=2
	s_andn2_saveexec_b64 s[20:21], s[78:79]
	s_cbranch_execz .LBB6_14230
; %bb.14229:                            ;   in Loop: Header=BB6_12355 Depth=2
	v_or_b32_e32 v0, 0x7e, v0
	buffer_store_dword v0, off, s[0:3], s33 offset:468 ; 4-byte Folded Spill
.LBB6_14230:                            ;   in Loop: Header=BB6_12355 Depth=2
	s_or_b64 exec, exec, s[20:21]
                                        ; implicit-def: $vgpr1
.LBB6_14231:                            ;   in Loop: Header=BB6_12355 Depth=2
	s_andn2_saveexec_b64 s[20:21], s[76:77]
	s_cbranch_execz .LBB6_14233
; %bb.14232:                            ;   in Loop: Header=BB6_12355 Depth=2
	v_or_b32_sdwa v0, v1, s39 dst_sel:DWORD dst_unused:UNUSED_PAD src0_sel:BYTE_3 src1_sel:DWORD
	buffer_store_dword v0, off, s[0:3], s33 offset:468 ; 4-byte Folded Spill
.LBB6_14233:                            ;   in Loop: Header=BB6_12355 Depth=2
	s_or_b64 exec, exec, s[20:21]
	v_lshrrev_b16_e32 v16, 8, v52
	v_cmp_ne_u16_e32 vcc, 0, v16
	v_mov_b32_e32 v0, 0
	s_and_saveexec_b64 s[20:21], vcc
	s_cbranch_execz .LBB6_14239
; %bb.14234:                            ;   in Loop: Header=BB6_12355 Depth=2
	v_cmp_ne_u16_e32 vcc, s48, v16
	v_bfrev_b32_e32 v0, 1
	s_and_saveexec_b64 s[76:77], vcc
	s_cbranch_execz .LBB6_14238
; %bb.14235:                            ;   in Loop: Header=BB6_12355 Depth=2
	v_and_b32_e32 v1, 0x7f, v16
	v_cmp_ne_u32_e32 vcc, s39, v1
	v_mov_b32_e32 v0, 0x7f800001
	s_and_saveexec_b64 s[78:79], vcc
	s_cbranch_execz .LBB6_14237
; %bb.14236:                            ;   in Loop: Header=BB6_12355 Depth=2
	v_and_b32_e32 v2, 7, v16
	v_ffbh_u32_e32 v0, v2
	v_min_u32_e32 v4, 32, v0
	v_subrev_u32_e32 v0, 28, v4
	v_lshrrev_b32_e32 v3, 3, v1
	v_cmp_gt_u32_e32 vcc, 8, v1
	v_lshlrev_b64 v[0:1], v0, v[16:17]
	v_sub_u32_e32 v1, 29, v4
	v_and_b32_e32 v0, 7, v0
	v_cndmask_b32_e32 v1, v3, v1, vcc
	v_cndmask_b32_e32 v0, v2, v0, vcc
	v_lshlrev_b32_e32 v2, 16, v52
	v_bfrev_b32_e32 v3, 60
	v_lshlrev_b32_e32 v0, 20, v0
	v_and_b32_e32 v2, 0x80000000, v2
	v_lshl_add_u32 v1, v1, 23, v3
	v_or3_b32 v0, v2, v1, v0
.LBB6_14237:                            ;   in Loop: Header=BB6_12355 Depth=2
	s_or_b64 exec, exec, s[78:79]
.LBB6_14238:                            ;   in Loop: Header=BB6_12355 Depth=2
	s_or_b64 exec, exec, s[76:77]
.LBB6_14239:                            ;   in Loop: Header=BB6_12355 Depth=2
	s_or_b64 exec, exec, s[20:21]
	v_mul_f32_e32 v1, v19, v0
	v_and_b32_e32 v52, 0x7f800000, v1
	v_cmp_ne_u64_e32 vcc, s[46:47], v[52:53]
                                        ; implicit-def: $vgpr0
                                        ; kill: killed $vgpr0
	s_and_saveexec_b64 s[20:21], vcc
	s_xor_b64 s[76:77], exec, s[20:21]
	s_cbranch_execz .LBB6_14253
; %bb.14240:                            ;   in Loop: Header=BB6_12355 Depth=2
	v_and_b32_e32 v52, 0x7fffffff, v1
	v_cmp_gt_u64_e32 vcc, s[56:57], v[52:53]
	v_and_b32_sdwa v0, v1, s48 dst_sel:DWORD dst_unused:UNUSED_PAD src0_sel:BYTE_3 src1_sel:DWORD
                                        ; implicit-def: $vgpr2
                                        ; kill: killed $vgpr2
	s_and_saveexec_b64 s[20:21], vcc
	s_xor_b64 s[78:79], exec, s[20:21]
	s_cbranch_execz .LBB6_14250
; %bb.14241:                            ;   in Loop: Header=BB6_12355 Depth=2
	v_mov_b32_e32 v2, 0
	v_cmp_ne_u32_e32 vcc, 0, v1
	buffer_store_dword v2, off, s[0:3], s33 offset:472 ; 4-byte Folded Spill
	s_and_saveexec_b64 s[88:89], vcc
	s_cbranch_execz .LBB6_14249
; %bb.14242:                            ;   in Loop: Header=BB6_12355 Depth=2
	v_and_b32_e32 v3, 0x7fffff, v1
	v_bfe_u32 v1, v1, 23, 8
	v_cmp_gt_u32_e64 s[20:21], s49, v1
	v_sub_u32_e32 v2, 0x79, v1
	v_cmp_eq_u32_e32 vcc, 0, v1
	v_cndmask_b32_e64 v2, 0, v2, s[20:21]
	v_mov_b32_e32 v5, 0x78
	v_or_b32_e32 v4, 0x800000, v3
	v_cndmask_b32_e32 v2, v2, v5, vcc
	v_cndmask_b32_e32 v52, v4, v3, vcc
	v_add_u32_e32 v3, 20, v2
	v_lshlrev_b64 v[3:4], v3, -1
	v_add_u32_e32 v5, 19, v2
	v_lshlrev_b64 v[5:6], v5, 1
	v_lshrrev_b64 v[16:17], v2, v[52:53]
	v_bfi_b32 v4, v4, 0, 0
	v_bfi_b32 v3, v3, 0, v52
	v_cmp_eq_u64_e64 s[20:21], v[3:4], v[5:6]
	v_mov_b32_e32 v18, v17
	v_mov_b32_e32 v17, v16
	s_and_saveexec_b64 s[90:91], s[20:21]
; %bb.14243:                            ;   in Loop: Header=BB6_12355 Depth=2
	v_bfe_u32 v3, v16, 20, 1
	v_add_co_u32_e64 v3, s[20:21], v16, v3
	v_add_co_u32_e64 v17, s[20:21], -1, v3
; %bb.14244:                            ;   in Loop: Header=BB6_12355 Depth=2
	s_or_b64 exec, exec, s[90:91]
	v_add_u32_e32 v1, 0xffffff81, v1
	v_mov_b32_e32 v3, 0xffffff82
	v_cndmask_b32_e32 v1, v1, v3, vcc
	v_lshrrev_b32_e32 v3, 23, v16
	v_add3_u32 v3, v2, v1, v3
	v_add_u32_e32 v2, 6, v3
	v_and_b32_e32 v1, 0xfffff, v17
	v_add_u32_e32 v52, v1, v16
	v_cmp_ne_u32_e32 vcc, 0, v2
                                        ; implicit-def: $vgpr16_vgpr17
                                        ; implicit-def: $vgpr1
	s_and_saveexec_b64 s[20:21], vcc
	s_xor_b64 s[20:21], exec, s[20:21]
; %bb.14245:                            ;   in Loop: Header=BB6_12355 Depth=2
	v_cmp_lt_u64_e32 vcc, s[58:59], v[52:53]
	v_add_u32_e32 v1, 7, v3
	v_cndmask_b32_e32 v1, v2, v1, vcc
	v_cndmask_b32_e64 v2, 0, 1, vcc
	v_lshrrev_b64 v[16:17], v2, v[52:53]
; %bb.14246:                            ;   in Loop: Header=BB6_12355 Depth=2
	s_andn2_saveexec_b64 s[20:21], s[20:21]
; %bb.14247:                            ;   in Loop: Header=BB6_12355 Depth=2
	v_mov_b32_e32 v16, v52
	v_bfe_u32 v1, v52, 23, 1
	v_mov_b32_e32 v17, v53
; %bb.14248:                            ;   in Loop: Header=BB6_12355 Depth=2
	s_or_b64 exec, exec, s[20:21]
	v_lshrrev_b64 v[2:3], 20, v[16:17]
	v_cmp_gt_i32_e32 vcc, 16, v1
	v_cndmask_b32_e32 v3, 0, v3, vcc
	v_cndmask_b32_e32 v2, 7, v2, vcc
	v_cmp_eq_u32_e32 vcc, 0, v1
	v_min_i32_e32 v1, 15, v1
	v_cmp_eq_u64_e64 s[20:21], 0, v[2:3]
	v_lshlrev_b32_e32 v1, 3, v1
	v_and_b32_e32 v1, 0xf8, v1
	v_and_or_b32 v1, v2, 7, v1
	s_and_b64 s[20:21], vcc, s[20:21]
	v_cndmask_b32_e64 v1, v1, 0, s[20:21]
	v_or_b32_e32 v0, v1, v0
	buffer_store_dword v0, off, s[0:3], s33 offset:472 ; 4-byte Folded Spill
.LBB6_14249:                            ;   in Loop: Header=BB6_12355 Depth=2
	s_or_b64 exec, exec, s[88:89]
                                        ; implicit-def: $vgpr0
.LBB6_14250:                            ;   in Loop: Header=BB6_12355 Depth=2
	s_andn2_saveexec_b64 s[20:21], s[78:79]
	s_cbranch_execz .LBB6_14252
; %bb.14251:                            ;   in Loop: Header=BB6_12355 Depth=2
	v_or_b32_e32 v0, 0x7e, v0
	buffer_store_dword v0, off, s[0:3], s33 offset:472 ; 4-byte Folded Spill
.LBB6_14252:                            ;   in Loop: Header=BB6_12355 Depth=2
	s_or_b64 exec, exec, s[20:21]
                                        ; implicit-def: $vgpr1
.LBB6_14253:                            ;   in Loop: Header=BB6_12355 Depth=2
	s_andn2_saveexec_b64 s[20:21], s[76:77]
	s_cbranch_execz .LBB6_14255
; %bb.14254:                            ;   in Loop: Header=BB6_12355 Depth=2
	v_or_b32_sdwa v0, v1, s39 dst_sel:DWORD dst_unused:UNUSED_PAD src0_sel:BYTE_3 src1_sel:DWORD
	buffer_store_dword v0, off, s[0:3], s33 offset:472 ; 4-byte Folded Spill
.LBB6_14255:                            ;   in Loop: Header=BB6_12355 Depth=2
	s_or_b64 exec, exec, s[20:21]
	v_lshrrev_b32_e32 v16, 16, v11
	v_cmp_ne_u16_sdwa s[76:77], v16, v53 src0_sel:BYTE_0 src1_sel:DWORD
	v_mov_b32_e32 v0, 0
	s_and_saveexec_b64 s[20:21], s[76:77]
	s_cbranch_execz .LBB6_14261
; %bb.14256:                            ;   in Loop: Header=BB6_12355 Depth=2
	v_cmp_ne_u16_sdwa s[78:79], v16, s48 src0_sel:BYTE_0 src1_sel:DWORD
	v_bfrev_b32_e32 v0, 1
	s_and_saveexec_b64 s[76:77], s[78:79]
	s_cbranch_execz .LBB6_14260
; %bb.14257:                            ;   in Loop: Header=BB6_12355 Depth=2
	v_bfe_u32 v1, v11, 16, 7
	v_cmp_ne_u32_e32 vcc, s39, v1
	v_mov_b32_e32 v0, 0x7f800001
	s_and_saveexec_b64 s[78:79], vcc
	s_cbranch_execz .LBB6_14259
; %bb.14258:                            ;   in Loop: Header=BB6_12355 Depth=2
	v_and_b32_e32 v2, 7, v16
	v_ffbh_u32_e32 v0, v2
	v_min_u32_e32 v4, 32, v0
	v_subrev_u32_e32 v0, 28, v4
	v_lshrrev_b32_e32 v3, 3, v1
	v_cmp_gt_u32_e32 vcc, 8, v1
	v_lshlrev_b64 v[0:1], v0, v[16:17]
	v_sub_u32_e32 v1, 29, v4
	v_and_b32_e32 v0, 7, v0
	v_cndmask_b32_e32 v1, v3, v1, vcc
	v_cndmask_b32_e32 v0, v2, v0, vcc
	v_lshlrev_b32_e32 v2, 24, v16
	v_bfrev_b32_e32 v3, 60
	v_lshlrev_b32_e32 v0, 20, v0
	v_and_b32_e32 v2, 0x80000000, v2
	v_lshl_add_u32 v1, v1, 23, v3
	v_or3_b32 v0, v2, v1, v0
.LBB6_14259:                            ;   in Loop: Header=BB6_12355 Depth=2
	s_or_b64 exec, exec, s[78:79]
.LBB6_14260:                            ;   in Loop: Header=BB6_12355 Depth=2
	s_or_b64 exec, exec, s[76:77]
.LBB6_14261:                            ;   in Loop: Header=BB6_12355 Depth=2
	s_or_b64 exec, exec, s[20:21]
	v_mul_f32_e32 v1, v19, v0
	v_and_b32_e32 v52, 0x7f800000, v1
	v_cmp_ne_u64_e32 vcc, s[46:47], v[52:53]
                                        ; implicit-def: $vgpr0
                                        ; kill: killed $vgpr0
	s_and_saveexec_b64 s[20:21], vcc
	s_xor_b64 s[76:77], exec, s[20:21]
	s_cbranch_execz .LBB6_14275
; %bb.14262:                            ;   in Loop: Header=BB6_12355 Depth=2
	v_and_b32_e32 v52, 0x7fffffff, v1
	v_cmp_gt_u64_e32 vcc, s[56:57], v[52:53]
	v_and_b32_sdwa v0, v1, s48 dst_sel:DWORD dst_unused:UNUSED_PAD src0_sel:BYTE_3 src1_sel:DWORD
                                        ; implicit-def: $vgpr2
                                        ; kill: killed $vgpr2
	s_and_saveexec_b64 s[20:21], vcc
	s_xor_b64 s[78:79], exec, s[20:21]
	s_cbranch_execz .LBB6_14272
; %bb.14263:                            ;   in Loop: Header=BB6_12355 Depth=2
	v_mov_b32_e32 v2, 0
	v_cmp_ne_u32_e32 vcc, 0, v1
	buffer_store_dword v2, off, s[0:3], s33 offset:476 ; 4-byte Folded Spill
	s_and_saveexec_b64 s[88:89], vcc
	s_cbranch_execz .LBB6_14271
; %bb.14264:                            ;   in Loop: Header=BB6_12355 Depth=2
	v_and_b32_e32 v3, 0x7fffff, v1
	v_bfe_u32 v1, v1, 23, 8
	v_cmp_gt_u32_e64 s[20:21], s49, v1
	v_sub_u32_e32 v2, 0x79, v1
	v_cmp_eq_u32_e32 vcc, 0, v1
	v_cndmask_b32_e64 v2, 0, v2, s[20:21]
	v_mov_b32_e32 v5, 0x78
	v_or_b32_e32 v4, 0x800000, v3
	v_cndmask_b32_e32 v2, v2, v5, vcc
	v_cndmask_b32_e32 v52, v4, v3, vcc
	v_add_u32_e32 v3, 20, v2
	v_lshlrev_b64 v[3:4], v3, -1
	v_add_u32_e32 v5, 19, v2
	v_lshlrev_b64 v[5:6], v5, 1
	v_lshrrev_b64 v[16:17], v2, v[52:53]
	v_bfi_b32 v4, v4, 0, 0
	v_bfi_b32 v3, v3, 0, v52
	v_cmp_eq_u64_e64 s[20:21], v[3:4], v[5:6]
	v_mov_b32_e32 v18, v17
	v_mov_b32_e32 v17, v16
	s_and_saveexec_b64 s[90:91], s[20:21]
; %bb.14265:                            ;   in Loop: Header=BB6_12355 Depth=2
	v_bfe_u32 v3, v16, 20, 1
	v_add_co_u32_e64 v3, s[20:21], v16, v3
	v_add_co_u32_e64 v17, s[20:21], -1, v3
; %bb.14266:                            ;   in Loop: Header=BB6_12355 Depth=2
	s_or_b64 exec, exec, s[90:91]
	v_add_u32_e32 v1, 0xffffff81, v1
	v_mov_b32_e32 v3, 0xffffff82
	v_cndmask_b32_e32 v1, v1, v3, vcc
	v_lshrrev_b32_e32 v3, 23, v16
	v_add3_u32 v3, v2, v1, v3
	v_add_u32_e32 v2, 6, v3
	v_and_b32_e32 v1, 0xfffff, v17
	v_add_u32_e32 v52, v1, v16
	v_cmp_ne_u32_e32 vcc, 0, v2
                                        ; implicit-def: $vgpr16_vgpr17
                                        ; implicit-def: $vgpr1
	s_and_saveexec_b64 s[20:21], vcc
	s_xor_b64 s[20:21], exec, s[20:21]
; %bb.14267:                            ;   in Loop: Header=BB6_12355 Depth=2
	v_cmp_lt_u64_e32 vcc, s[58:59], v[52:53]
	v_add_u32_e32 v1, 7, v3
	v_cndmask_b32_e32 v1, v2, v1, vcc
	v_cndmask_b32_e64 v2, 0, 1, vcc
	v_lshrrev_b64 v[16:17], v2, v[52:53]
; %bb.14268:                            ;   in Loop: Header=BB6_12355 Depth=2
	s_andn2_saveexec_b64 s[20:21], s[20:21]
; %bb.14269:                            ;   in Loop: Header=BB6_12355 Depth=2
	v_mov_b32_e32 v16, v52
	v_bfe_u32 v1, v52, 23, 1
	v_mov_b32_e32 v17, v53
; %bb.14270:                            ;   in Loop: Header=BB6_12355 Depth=2
	s_or_b64 exec, exec, s[20:21]
	v_lshrrev_b64 v[2:3], 20, v[16:17]
	v_cmp_gt_i32_e32 vcc, 16, v1
	v_cndmask_b32_e32 v3, 0, v3, vcc
	v_cndmask_b32_e32 v2, 7, v2, vcc
	v_cmp_eq_u32_e32 vcc, 0, v1
	v_min_i32_e32 v1, 15, v1
	v_cmp_eq_u64_e64 s[20:21], 0, v[2:3]
	v_lshlrev_b32_e32 v1, 3, v1
	v_and_b32_e32 v1, 0xf8, v1
	v_and_or_b32 v1, v2, 7, v1
	s_and_b64 s[20:21], vcc, s[20:21]
	v_cndmask_b32_e64 v1, v1, 0, s[20:21]
	v_or_b32_e32 v0, v1, v0
	buffer_store_dword v0, off, s[0:3], s33 offset:476 ; 4-byte Folded Spill
.LBB6_14271:                            ;   in Loop: Header=BB6_12355 Depth=2
	s_or_b64 exec, exec, s[88:89]
                                        ; implicit-def: $vgpr0
.LBB6_14272:                            ;   in Loop: Header=BB6_12355 Depth=2
	s_andn2_saveexec_b64 s[20:21], s[78:79]
	s_cbranch_execz .LBB6_14274
; %bb.14273:                            ;   in Loop: Header=BB6_12355 Depth=2
	v_or_b32_e32 v0, 0x7e, v0
	buffer_store_dword v0, off, s[0:3], s33 offset:476 ; 4-byte Folded Spill
.LBB6_14274:                            ;   in Loop: Header=BB6_12355 Depth=2
	s_or_b64 exec, exec, s[20:21]
                                        ; implicit-def: $vgpr1
.LBB6_14275:                            ;   in Loop: Header=BB6_12355 Depth=2
	s_andn2_saveexec_b64 s[20:21], s[76:77]
	s_cbranch_execz .LBB6_14277
; %bb.14276:                            ;   in Loop: Header=BB6_12355 Depth=2
	v_or_b32_sdwa v0, v1, s39 dst_sel:DWORD dst_unused:UNUSED_PAD src0_sel:BYTE_3 src1_sel:DWORD
	buffer_store_dword v0, off, s[0:3], s33 offset:476 ; 4-byte Folded Spill
.LBB6_14277:                            ;   in Loop: Header=BB6_12355 Depth=2
	s_or_b64 exec, exec, s[20:21]
	v_cmp_lt_u64_e32 vcc, s[60:61], v[10:11]
	v_mov_b32_e32 v0, 0
	s_and_saveexec_b64 s[20:21], vcc
	s_cbranch_execz .LBB6_14283
; %bb.14278:                            ;   in Loop: Header=BB6_12355 Depth=2
	v_lshrrev_b32_e32 v10, 24, v11
	v_cmp_ne_u32_e32 vcc, s48, v10
	v_bfrev_b32_e32 v0, 1
	s_and_saveexec_b64 s[76:77], vcc
	s_cbranch_execz .LBB6_14282
; %bb.14279:                            ;   in Loop: Header=BB6_12355 Depth=2
	v_bfe_u32 v1, v11, 24, 7
	v_cmp_ne_u32_e32 vcc, s39, v1
	v_mov_b32_e32 v0, 0x7f800001
	s_and_saveexec_b64 s[78:79], vcc
	s_cbranch_execz .LBB6_14281
; %bb.14280:                            ;   in Loop: Header=BB6_12355 Depth=2
	v_and_b32_e32 v2, 7, v10
	v_ffbh_u32_e32 v0, v2
	v_min_u32_e32 v4, 32, v0
	v_subrev_u32_e32 v0, 28, v4
	v_lshrrev_b32_e32 v3, 3, v1
	v_cmp_gt_u32_e32 vcc, 8, v1
	v_lshlrev_b64 v[0:1], v0, v[10:11]
	v_sub_u32_e32 v1, 29, v4
	v_and_b32_e32 v0, 7, v0
	v_cndmask_b32_e32 v1, v3, v1, vcc
	v_cndmask_b32_e32 v0, v2, v0, vcc
	v_lshlrev_b32_e32 v2, 24, v10
	v_bfrev_b32_e32 v3, 60
	v_lshlrev_b32_e32 v0, 20, v0
	v_and_b32_e32 v2, 0x80000000, v2
	v_lshl_add_u32 v1, v1, 23, v3
	v_or3_b32 v0, v2, v1, v0
.LBB6_14281:                            ;   in Loop: Header=BB6_12355 Depth=2
	s_or_b64 exec, exec, s[78:79]
.LBB6_14282:                            ;   in Loop: Header=BB6_12355 Depth=2
	s_or_b64 exec, exec, s[76:77]
.LBB6_14283:                            ;   in Loop: Header=BB6_12355 Depth=2
	s_or_b64 exec, exec, s[20:21]
	v_mul_f32_e32 v1, v19, v0
	v_and_b32_e32 v52, 0x7f800000, v1
	v_cmp_ne_u64_e32 vcc, s[46:47], v[52:53]
                                        ; implicit-def: $vgpr0
                                        ; kill: killed $vgpr0
	s_and_saveexec_b64 s[20:21], vcc
	s_xor_b64 s[76:77], exec, s[20:21]
	s_cbranch_execz .LBB6_14297
; %bb.14284:                            ;   in Loop: Header=BB6_12355 Depth=2
	v_and_b32_e32 v52, 0x7fffffff, v1
	v_cmp_gt_u64_e32 vcc, s[56:57], v[52:53]
	v_and_b32_sdwa v0, v1, s48 dst_sel:DWORD dst_unused:UNUSED_PAD src0_sel:BYTE_3 src1_sel:DWORD
                                        ; implicit-def: $vgpr2
                                        ; kill: killed $vgpr2
	s_and_saveexec_b64 s[20:21], vcc
	s_xor_b64 s[78:79], exec, s[20:21]
	s_cbranch_execz .LBB6_14294
; %bb.14285:                            ;   in Loop: Header=BB6_12355 Depth=2
	v_mov_b32_e32 v2, 0
	v_cmp_ne_u32_e32 vcc, 0, v1
	buffer_store_dword v2, off, s[0:3], s33 offset:480 ; 4-byte Folded Spill
	s_and_saveexec_b64 s[88:89], vcc
	s_cbranch_execz .LBB6_14293
; %bb.14286:                            ;   in Loop: Header=BB6_12355 Depth=2
	v_and_b32_e32 v3, 0x7fffff, v1
	v_bfe_u32 v1, v1, 23, 8
	v_cmp_gt_u32_e64 s[20:21], s49, v1
	v_sub_u32_e32 v2, 0x79, v1
	v_cmp_eq_u32_e32 vcc, 0, v1
	v_cndmask_b32_e64 v2, 0, v2, s[20:21]
	v_mov_b32_e32 v5, 0x78
	v_or_b32_e32 v4, 0x800000, v3
	v_cndmask_b32_e32 v2, v2, v5, vcc
	v_cndmask_b32_e32 v52, v4, v3, vcc
	v_add_u32_e32 v3, 20, v2
	v_lshlrev_b64 v[3:4], v3, -1
	v_add_u32_e32 v5, 19, v2
	v_lshlrev_b64 v[5:6], v5, 1
	v_lshrrev_b64 v[10:11], v2, v[52:53]
	v_bfi_b32 v4, v4, 0, 0
	v_bfi_b32 v3, v3, 0, v52
	v_cmp_eq_u64_e64 s[20:21], v[3:4], v[5:6]
	v_mov_b32_e32 v17, v11
	v_mov_b32_e32 v16, v10
	s_and_saveexec_b64 s[90:91], s[20:21]
; %bb.14287:                            ;   in Loop: Header=BB6_12355 Depth=2
	v_bfe_u32 v3, v10, 20, 1
	v_add_co_u32_e64 v3, s[20:21], v10, v3
	v_add_co_u32_e64 v16, s[20:21], -1, v3
; %bb.14288:                            ;   in Loop: Header=BB6_12355 Depth=2
	s_or_b64 exec, exec, s[90:91]
	v_add_u32_e32 v1, 0xffffff81, v1
	v_mov_b32_e32 v3, 0xffffff82
	v_cndmask_b32_e32 v1, v1, v3, vcc
	v_lshrrev_b32_e32 v3, 23, v10
	v_add3_u32 v3, v2, v1, v3
	v_add_u32_e32 v2, 6, v3
	v_and_b32_e32 v1, 0xfffff, v16
	v_add_u32_e32 v52, v1, v10
	v_cmp_ne_u32_e32 vcc, 0, v2
                                        ; implicit-def: $vgpr10_vgpr11
                                        ; implicit-def: $vgpr1
	s_and_saveexec_b64 s[20:21], vcc
	s_xor_b64 s[20:21], exec, s[20:21]
; %bb.14289:                            ;   in Loop: Header=BB6_12355 Depth=2
	v_cmp_lt_u64_e32 vcc, s[58:59], v[52:53]
	v_add_u32_e32 v1, 7, v3
	v_cndmask_b32_e32 v1, v2, v1, vcc
	v_cndmask_b32_e64 v2, 0, 1, vcc
	v_lshrrev_b64 v[10:11], v2, v[52:53]
; %bb.14290:                            ;   in Loop: Header=BB6_12355 Depth=2
	s_andn2_saveexec_b64 s[20:21], s[20:21]
; %bb.14291:                            ;   in Loop: Header=BB6_12355 Depth=2
	v_mov_b32_e32 v10, v52
	v_bfe_u32 v1, v52, 23, 1
	v_mov_b32_e32 v11, v53
; %bb.14292:                            ;   in Loop: Header=BB6_12355 Depth=2
	s_or_b64 exec, exec, s[20:21]
	v_lshrrev_b64 v[2:3], 20, v[10:11]
	v_cmp_gt_i32_e32 vcc, 16, v1
	v_cndmask_b32_e32 v3, 0, v3, vcc
	v_cndmask_b32_e32 v2, 7, v2, vcc
	v_cmp_eq_u32_e32 vcc, 0, v1
	v_min_i32_e32 v1, 15, v1
	v_cmp_eq_u64_e64 s[20:21], 0, v[2:3]
	v_lshlrev_b32_e32 v1, 3, v1
	v_and_b32_e32 v1, 0xf8, v1
	v_and_or_b32 v1, v2, 7, v1
	s_and_b64 s[20:21], vcc, s[20:21]
	v_cndmask_b32_e64 v1, v1, 0, s[20:21]
	v_or_b32_e32 v0, v1, v0
	buffer_store_dword v0, off, s[0:3], s33 offset:480 ; 4-byte Folded Spill
.LBB6_14293:                            ;   in Loop: Header=BB6_12355 Depth=2
	s_or_b64 exec, exec, s[88:89]
                                        ; implicit-def: $vgpr0
.LBB6_14294:                            ;   in Loop: Header=BB6_12355 Depth=2
	s_andn2_saveexec_b64 s[20:21], s[78:79]
	s_cbranch_execz .LBB6_14296
; %bb.14295:                            ;   in Loop: Header=BB6_12355 Depth=2
	v_or_b32_e32 v0, 0x7e, v0
	buffer_store_dword v0, off, s[0:3], s33 offset:480 ; 4-byte Folded Spill
.LBB6_14296:                            ;   in Loop: Header=BB6_12355 Depth=2
	s_or_b64 exec, exec, s[20:21]
                                        ; implicit-def: $vgpr1
.LBB6_14297:                            ;   in Loop: Header=BB6_12355 Depth=2
	s_andn2_saveexec_b64 s[20:21], s[76:77]
	s_cbranch_execz .LBB6_14299
; %bb.14298:                            ;   in Loop: Header=BB6_12355 Depth=2
	v_or_b32_sdwa v0, v1, s39 dst_sel:DWORD dst_unused:UNUSED_PAD src0_sel:BYTE_3 src1_sel:DWORD
	buffer_store_dword v0, off, s[0:3], s33 offset:480 ; 4-byte Folded Spill
.LBB6_14299:                            ;   in Loop: Header=BB6_12355 Depth=2
	s_or_b64 exec, exec, s[20:21]
	v_cmp_ne_u16_sdwa s[76:77], v12, v53 src0_sel:BYTE_0 src1_sel:DWORD
	v_mov_b32_e32 v0, 0
	s_and_saveexec_b64 s[20:21], s[76:77]
	s_cbranch_execz .LBB6_14305
; %bb.14300:                            ;   in Loop: Header=BB6_12355 Depth=2
	v_cmp_ne_u16_sdwa s[78:79], v12, s48 src0_sel:BYTE_0 src1_sel:DWORD
	v_bfrev_b32_e32 v0, 1
	s_and_saveexec_b64 s[76:77], s[78:79]
	s_cbranch_execz .LBB6_14304
; %bb.14301:                            ;   in Loop: Header=BB6_12355 Depth=2
	v_and_b32_e32 v1, 0x7f, v12
	v_cmp_ne_u32_e32 vcc, s39, v1
	v_mov_b32_e32 v0, 0x7f800001
	s_and_saveexec_b64 s[78:79], vcc
	s_cbranch_execz .LBB6_14303
; %bb.14302:                            ;   in Loop: Header=BB6_12355 Depth=2
	v_and_b32_e32 v0, 7, v12
	v_ffbh_u32_e32 v0, v0
	v_min_u32_e32 v0, 32, v0
	v_lshrrev_b32_e32 v2, 3, v1
	v_cmp_gt_u32_e32 vcc, 8, v1
	v_subrev_u32_e32 v1, 28, v0
	v_sub_u32_e32 v0, 29, v0
	v_cndmask_b32_e32 v2, v2, v0, vcc
	v_cndmask_b32_e32 v0, 0, v1, vcc
	v_lshlrev_b64 v[0:1], v0, v[12:13]
	v_lshlrev_b32_e32 v1, 24, v12
	v_lshlrev_b32_e32 v0, 20, v0
	v_bfrev_b32_e32 v3, 60
	v_and_b32_e32 v0, 0x700000, v0
	v_and_b32_e32 v1, 0x80000000, v1
	v_lshl_add_u32 v2, v2, 23, v3
	v_or3_b32 v0, v1, v2, v0
.LBB6_14303:                            ;   in Loop: Header=BB6_12355 Depth=2
	s_or_b64 exec, exec, s[78:79]
.LBB6_14304:                            ;   in Loop: Header=BB6_12355 Depth=2
	s_or_b64 exec, exec, s[76:77]
.LBB6_14305:                            ;   in Loop: Header=BB6_12355 Depth=2
	s_or_b64 exec, exec, s[20:21]
	v_mul_f32_e32 v1, v19, v0
	v_and_b32_e32 v52, 0x7f800000, v1
	v_cmp_ne_u64_e32 vcc, s[46:47], v[52:53]
                                        ; implicit-def: $vgpr22
	s_and_saveexec_b64 s[20:21], vcc
	s_xor_b64 s[76:77], exec, s[20:21]
	s_cbranch_execz .LBB6_14319
; %bb.14306:                            ;   in Loop: Header=BB6_12355 Depth=2
	v_and_b32_e32 v52, 0x7fffffff, v1
	v_cmp_gt_u64_e32 vcc, s[56:57], v[52:53]
	v_and_b32_sdwa v0, v1, s48 dst_sel:DWORD dst_unused:UNUSED_PAD src0_sel:BYTE_3 src1_sel:DWORD
                                        ; implicit-def: $vgpr22
	s_and_saveexec_b64 s[20:21], vcc
	s_xor_b64 s[78:79], exec, s[20:21]
	s_cbranch_execz .LBB6_14316
; %bb.14307:                            ;   in Loop: Header=BB6_12355 Depth=2
	v_mov_b32_e32 v22, 0
	v_cmp_ne_u32_e32 vcc, 0, v1
	s_and_saveexec_b64 s[88:89], vcc
	s_cbranch_execz .LBB6_14315
; %bb.14308:                            ;   in Loop: Header=BB6_12355 Depth=2
	v_and_b32_e32 v3, 0x7fffff, v1
	v_bfe_u32 v1, v1, 23, 8
	v_cmp_gt_u32_e64 s[20:21], s49, v1
	v_sub_u32_e32 v2, 0x79, v1
	v_cmp_eq_u32_e32 vcc, 0, v1
	v_cndmask_b32_e64 v2, 0, v2, s[20:21]
	v_mov_b32_e32 v5, 0x78
	v_or_b32_e32 v4, 0x800000, v3
	v_cndmask_b32_e32 v2, v2, v5, vcc
	v_cndmask_b32_e32 v52, v4, v3, vcc
	v_add_u32_e32 v3, 20, v2
	v_lshlrev_b64 v[3:4], v3, -1
	v_add_u32_e32 v5, 19, v2
	v_lshlrev_b64 v[5:6], v5, 1
	v_lshrrev_b64 v[10:11], v2, v[52:53]
	v_bfi_b32 v4, v4, 0, 0
	v_bfi_b32 v3, v3, 0, v52
	v_cmp_eq_u64_e64 s[20:21], v[3:4], v[5:6]
	v_mov_b32_e32 v17, v11
	v_mov_b32_e32 v16, v10
	s_and_saveexec_b64 s[90:91], s[20:21]
; %bb.14309:                            ;   in Loop: Header=BB6_12355 Depth=2
	v_bfe_u32 v3, v10, 20, 1
	v_add_co_u32_e64 v3, s[20:21], v10, v3
	v_add_co_u32_e64 v16, s[20:21], -1, v3
; %bb.14310:                            ;   in Loop: Header=BB6_12355 Depth=2
	s_or_b64 exec, exec, s[90:91]
	v_add_u32_e32 v1, 0xffffff81, v1
	v_mov_b32_e32 v3, 0xffffff82
	v_cndmask_b32_e32 v1, v1, v3, vcc
	v_lshrrev_b32_e32 v3, 23, v10
	v_add3_u32 v3, v2, v1, v3
	v_add_u32_e32 v2, 6, v3
	v_and_b32_e32 v1, 0xfffff, v16
	v_add_u32_e32 v52, v1, v10
	v_cmp_ne_u32_e32 vcc, 0, v2
                                        ; implicit-def: $vgpr10_vgpr11
                                        ; implicit-def: $vgpr1
	s_and_saveexec_b64 s[20:21], vcc
	s_xor_b64 s[20:21], exec, s[20:21]
; %bb.14311:                            ;   in Loop: Header=BB6_12355 Depth=2
	v_cmp_lt_u64_e32 vcc, s[58:59], v[52:53]
	v_add_u32_e32 v1, 7, v3
	v_cndmask_b32_e32 v1, v2, v1, vcc
	v_cndmask_b32_e64 v2, 0, 1, vcc
	v_lshrrev_b64 v[10:11], v2, v[52:53]
; %bb.14312:                            ;   in Loop: Header=BB6_12355 Depth=2
	s_andn2_saveexec_b64 s[20:21], s[20:21]
; %bb.14313:                            ;   in Loop: Header=BB6_12355 Depth=2
	v_mov_b32_e32 v10, v52
	v_bfe_u32 v1, v52, 23, 1
	v_mov_b32_e32 v11, v53
; %bb.14314:                            ;   in Loop: Header=BB6_12355 Depth=2
	s_or_b64 exec, exec, s[20:21]
	v_lshrrev_b64 v[2:3], 20, v[10:11]
	v_cmp_gt_i32_e32 vcc, 16, v1
	v_cndmask_b32_e32 v3, 0, v3, vcc
	v_cndmask_b32_e32 v2, 7, v2, vcc
	v_cmp_eq_u32_e32 vcc, 0, v1
	v_min_i32_e32 v1, 15, v1
	v_cmp_eq_u64_e64 s[20:21], 0, v[2:3]
	v_lshlrev_b32_e32 v1, 3, v1
	v_and_b32_e32 v1, 0xf8, v1
	v_and_or_b32 v1, v2, 7, v1
	s_and_b64 s[20:21], vcc, s[20:21]
	v_cndmask_b32_e64 v1, v1, 0, s[20:21]
	v_or_b32_e32 v22, v1, v0
.LBB6_14315:                            ;   in Loop: Header=BB6_12355 Depth=2
	s_or_b64 exec, exec, s[88:89]
                                        ; implicit-def: $vgpr0
.LBB6_14316:                            ;   in Loop: Header=BB6_12355 Depth=2
	s_andn2_saveexec_b64 s[20:21], s[78:79]
; %bb.14317:                            ;   in Loop: Header=BB6_12355 Depth=2
	v_or_b32_e32 v22, 0x7e, v0
; %bb.14318:                            ;   in Loop: Header=BB6_12355 Depth=2
	s_or_b64 exec, exec, s[20:21]
                                        ; implicit-def: $vgpr1
.LBB6_14319:                            ;   in Loop: Header=BB6_12355 Depth=2
	s_andn2_saveexec_b64 s[20:21], s[76:77]
; %bb.14320:                            ;   in Loop: Header=BB6_12355 Depth=2
	v_or_b32_sdwa v22, v1, s39 dst_sel:DWORD dst_unused:UNUSED_PAD src0_sel:BYTE_3 src1_sel:DWORD
; %bb.14321:                            ;   in Loop: Header=BB6_12355 Depth=2
	s_or_b64 exec, exec, s[20:21]
	v_lshrrev_b16_e32 v10, 8, v12
	v_cmp_ne_u16_e32 vcc, 0, v10
	v_mov_b32_e32 v0, 0
	s_and_saveexec_b64 s[20:21], vcc
	s_cbranch_execz .LBB6_14327
; %bb.14322:                            ;   in Loop: Header=BB6_12355 Depth=2
	v_cmp_ne_u16_e32 vcc, s48, v10
	v_bfrev_b32_e32 v0, 1
	s_and_saveexec_b64 s[76:77], vcc
	s_cbranch_execz .LBB6_14326
; %bb.14323:                            ;   in Loop: Header=BB6_12355 Depth=2
	v_and_b32_e32 v1, 0x7f, v10
	v_cmp_ne_u32_e32 vcc, s39, v1
	v_mov_b32_e32 v0, 0x7f800001
	s_and_saveexec_b64 s[78:79], vcc
	s_cbranch_execz .LBB6_14325
; %bb.14324:                            ;   in Loop: Header=BB6_12355 Depth=2
	v_and_b32_e32 v2, 7, v10
	v_ffbh_u32_e32 v0, v2
	v_min_u32_e32 v4, 32, v0
	v_subrev_u32_e32 v0, 28, v4
	v_lshrrev_b32_e32 v3, 3, v1
	v_cmp_gt_u32_e32 vcc, 8, v1
	v_lshlrev_b64 v[0:1], v0, v[10:11]
	v_sub_u32_e32 v1, 29, v4
	v_and_b32_e32 v0, 7, v0
	v_cndmask_b32_e32 v1, v3, v1, vcc
	v_cndmask_b32_e32 v0, v2, v0, vcc
	v_lshlrev_b32_e32 v2, 16, v12
	v_bfrev_b32_e32 v3, 60
	v_lshlrev_b32_e32 v0, 20, v0
	v_and_b32_e32 v2, 0x80000000, v2
	v_lshl_add_u32 v1, v1, 23, v3
	v_or3_b32 v0, v2, v1, v0
.LBB6_14325:                            ;   in Loop: Header=BB6_12355 Depth=2
	s_or_b64 exec, exec, s[78:79]
.LBB6_14326:                            ;   in Loop: Header=BB6_12355 Depth=2
	s_or_b64 exec, exec, s[76:77]
.LBB6_14327:                            ;   in Loop: Header=BB6_12355 Depth=2
	s_or_b64 exec, exec, s[20:21]
	v_mul_f32_e32 v1, v19, v0
	v_and_b32_e32 v52, 0x7f800000, v1
	v_cmp_ne_u64_e32 vcc, s[46:47], v[52:53]
                                        ; implicit-def: $vgpr24
	s_and_saveexec_b64 s[20:21], vcc
	s_xor_b64 s[76:77], exec, s[20:21]
	s_cbranch_execz .LBB6_14341
; %bb.14328:                            ;   in Loop: Header=BB6_12355 Depth=2
	v_and_b32_e32 v52, 0x7fffffff, v1
	v_cmp_gt_u64_e32 vcc, s[56:57], v[52:53]
	v_and_b32_sdwa v0, v1, s48 dst_sel:DWORD dst_unused:UNUSED_PAD src0_sel:BYTE_3 src1_sel:DWORD
                                        ; implicit-def: $vgpr24
	s_and_saveexec_b64 s[20:21], vcc
	s_xor_b64 s[78:79], exec, s[20:21]
	s_cbranch_execz .LBB6_14338
; %bb.14329:                            ;   in Loop: Header=BB6_12355 Depth=2
	v_mov_b32_e32 v24, 0
	v_cmp_ne_u32_e32 vcc, 0, v1
	s_and_saveexec_b64 s[88:89], vcc
	s_cbranch_execz .LBB6_14337
; %bb.14330:                            ;   in Loop: Header=BB6_12355 Depth=2
	v_and_b32_e32 v3, 0x7fffff, v1
	v_bfe_u32 v1, v1, 23, 8
	v_cmp_gt_u32_e64 s[20:21], s49, v1
	v_sub_u32_e32 v2, 0x79, v1
	v_cmp_eq_u32_e32 vcc, 0, v1
	v_cndmask_b32_e64 v2, 0, v2, s[20:21]
	v_mov_b32_e32 v5, 0x78
	v_or_b32_e32 v4, 0x800000, v3
	v_cndmask_b32_e32 v2, v2, v5, vcc
	v_cndmask_b32_e32 v52, v4, v3, vcc
	v_add_u32_e32 v3, 20, v2
	v_lshlrev_b64 v[3:4], v3, -1
	v_add_u32_e32 v5, 19, v2
	v_lshlrev_b64 v[5:6], v5, 1
	v_lshrrev_b64 v[10:11], v2, v[52:53]
	v_bfi_b32 v4, v4, 0, 0
	v_bfi_b32 v3, v3, 0, v52
	v_cmp_eq_u64_e64 s[20:21], v[3:4], v[5:6]
	v_mov_b32_e32 v17, v11
	v_mov_b32_e32 v16, v10
	s_and_saveexec_b64 s[90:91], s[20:21]
; %bb.14331:                            ;   in Loop: Header=BB6_12355 Depth=2
	v_bfe_u32 v3, v10, 20, 1
	v_add_co_u32_e64 v3, s[20:21], v10, v3
	v_add_co_u32_e64 v16, s[20:21], -1, v3
; %bb.14332:                            ;   in Loop: Header=BB6_12355 Depth=2
	s_or_b64 exec, exec, s[90:91]
	v_add_u32_e32 v1, 0xffffff81, v1
	v_mov_b32_e32 v3, 0xffffff82
	v_cndmask_b32_e32 v1, v1, v3, vcc
	v_lshrrev_b32_e32 v3, 23, v10
	v_add3_u32 v3, v2, v1, v3
	v_add_u32_e32 v2, 6, v3
	v_and_b32_e32 v1, 0xfffff, v16
	v_add_u32_e32 v52, v1, v10
	v_cmp_ne_u32_e32 vcc, 0, v2
                                        ; implicit-def: $vgpr10_vgpr11
                                        ; implicit-def: $vgpr1
	s_and_saveexec_b64 s[20:21], vcc
	s_xor_b64 s[20:21], exec, s[20:21]
; %bb.14333:                            ;   in Loop: Header=BB6_12355 Depth=2
	v_cmp_lt_u64_e32 vcc, s[58:59], v[52:53]
	v_add_u32_e32 v1, 7, v3
	v_cndmask_b32_e32 v1, v2, v1, vcc
	v_cndmask_b32_e64 v2, 0, 1, vcc
	v_lshrrev_b64 v[10:11], v2, v[52:53]
; %bb.14334:                            ;   in Loop: Header=BB6_12355 Depth=2
	s_andn2_saveexec_b64 s[20:21], s[20:21]
; %bb.14335:                            ;   in Loop: Header=BB6_12355 Depth=2
	v_mov_b32_e32 v10, v52
	v_bfe_u32 v1, v52, 23, 1
	v_mov_b32_e32 v11, v53
; %bb.14336:                            ;   in Loop: Header=BB6_12355 Depth=2
	s_or_b64 exec, exec, s[20:21]
	v_lshrrev_b64 v[2:3], 20, v[10:11]
	v_cmp_gt_i32_e32 vcc, 16, v1
	v_cndmask_b32_e32 v3, 0, v3, vcc
	v_cndmask_b32_e32 v2, 7, v2, vcc
	v_cmp_eq_u32_e32 vcc, 0, v1
	v_min_i32_e32 v1, 15, v1
	v_cmp_eq_u64_e64 s[20:21], 0, v[2:3]
	v_lshlrev_b32_e32 v1, 3, v1
	v_and_b32_e32 v1, 0xf8, v1
	v_and_or_b32 v1, v2, 7, v1
	s_and_b64 s[20:21], vcc, s[20:21]
	v_cndmask_b32_e64 v1, v1, 0, s[20:21]
	v_or_b32_e32 v24, v1, v0
.LBB6_14337:                            ;   in Loop: Header=BB6_12355 Depth=2
	s_or_b64 exec, exec, s[88:89]
                                        ; implicit-def: $vgpr0
.LBB6_14338:                            ;   in Loop: Header=BB6_12355 Depth=2
	s_andn2_saveexec_b64 s[20:21], s[78:79]
; %bb.14339:                            ;   in Loop: Header=BB6_12355 Depth=2
	v_or_b32_e32 v24, 0x7e, v0
; %bb.14340:                            ;   in Loop: Header=BB6_12355 Depth=2
	s_or_b64 exec, exec, s[20:21]
                                        ; implicit-def: $vgpr1
.LBB6_14341:                            ;   in Loop: Header=BB6_12355 Depth=2
	s_andn2_saveexec_b64 s[20:21], s[76:77]
; %bb.14342:                            ;   in Loop: Header=BB6_12355 Depth=2
	v_or_b32_sdwa v24, v1, s39 dst_sel:DWORD dst_unused:UNUSED_PAD src0_sel:BYTE_3 src1_sel:DWORD
; %bb.14343:                            ;   in Loop: Header=BB6_12355 Depth=2
	s_or_b64 exec, exec, s[20:21]
	v_lshrrev_b32_e32 v10, 16, v12
	v_cmp_ne_u16_sdwa s[76:77], v10, v53 src0_sel:BYTE_0 src1_sel:DWORD
	v_mov_b32_e32 v0, 0
	s_and_saveexec_b64 s[20:21], s[76:77]
	s_cbranch_execz .LBB6_14349
; %bb.14344:                            ;   in Loop: Header=BB6_12355 Depth=2
	v_cmp_ne_u16_sdwa s[78:79], v10, s48 src0_sel:BYTE_0 src1_sel:DWORD
	v_bfrev_b32_e32 v0, 1
	s_and_saveexec_b64 s[76:77], s[78:79]
	s_cbranch_execz .LBB6_14348
; %bb.14345:                            ;   in Loop: Header=BB6_12355 Depth=2
	v_bfe_u32 v1, v12, 16, 7
	v_cmp_ne_u32_e32 vcc, s39, v1
	v_mov_b32_e32 v0, 0x7f800001
	s_and_saveexec_b64 s[78:79], vcc
	s_cbranch_execz .LBB6_14347
; %bb.14346:                            ;   in Loop: Header=BB6_12355 Depth=2
	v_and_b32_e32 v2, 7, v10
	v_ffbh_u32_e32 v0, v2
	v_min_u32_e32 v4, 32, v0
	v_subrev_u32_e32 v0, 28, v4
	v_lshrrev_b32_e32 v3, 3, v1
	v_cmp_gt_u32_e32 vcc, 8, v1
	v_lshlrev_b64 v[0:1], v0, v[10:11]
	v_sub_u32_e32 v1, 29, v4
	v_and_b32_e32 v0, 7, v0
	v_cndmask_b32_e32 v1, v3, v1, vcc
	v_cndmask_b32_e32 v0, v2, v0, vcc
	v_lshlrev_b32_e32 v2, 24, v10
	v_bfrev_b32_e32 v3, 60
	v_lshlrev_b32_e32 v0, 20, v0
	v_and_b32_e32 v2, 0x80000000, v2
	v_lshl_add_u32 v1, v1, 23, v3
	v_or3_b32 v0, v2, v1, v0
.LBB6_14347:                            ;   in Loop: Header=BB6_12355 Depth=2
	s_or_b64 exec, exec, s[78:79]
.LBB6_14348:                            ;   in Loop: Header=BB6_12355 Depth=2
	s_or_b64 exec, exec, s[76:77]
.LBB6_14349:                            ;   in Loop: Header=BB6_12355 Depth=2
	s_or_b64 exec, exec, s[20:21]
	v_mul_f32_e32 v1, v19, v0
	v_and_b32_e32 v52, 0x7f800000, v1
	v_cmp_ne_u64_e32 vcc, s[46:47], v[52:53]
                                        ; implicit-def: $vgpr25
	s_and_saveexec_b64 s[20:21], vcc
	s_xor_b64 s[76:77], exec, s[20:21]
	s_cbranch_execz .LBB6_14363
; %bb.14350:                            ;   in Loop: Header=BB6_12355 Depth=2
	v_and_b32_e32 v52, 0x7fffffff, v1
	v_cmp_gt_u64_e32 vcc, s[56:57], v[52:53]
	v_and_b32_sdwa v0, v1, s48 dst_sel:DWORD dst_unused:UNUSED_PAD src0_sel:BYTE_3 src1_sel:DWORD
                                        ; implicit-def: $vgpr25
	s_and_saveexec_b64 s[20:21], vcc
	s_xor_b64 s[78:79], exec, s[20:21]
	s_cbranch_execz .LBB6_14360
; %bb.14351:                            ;   in Loop: Header=BB6_12355 Depth=2
	v_mov_b32_e32 v25, 0
	v_cmp_ne_u32_e32 vcc, 0, v1
	s_and_saveexec_b64 s[88:89], vcc
	s_cbranch_execz .LBB6_14359
; %bb.14352:                            ;   in Loop: Header=BB6_12355 Depth=2
	v_and_b32_e32 v3, 0x7fffff, v1
	v_bfe_u32 v1, v1, 23, 8
	v_cmp_gt_u32_e64 s[20:21], s49, v1
	v_sub_u32_e32 v2, 0x79, v1
	v_cmp_eq_u32_e32 vcc, 0, v1
	v_cndmask_b32_e64 v2, 0, v2, s[20:21]
	v_mov_b32_e32 v5, 0x78
	v_or_b32_e32 v4, 0x800000, v3
	v_cndmask_b32_e32 v2, v2, v5, vcc
	v_cndmask_b32_e32 v52, v4, v3, vcc
	v_add_u32_e32 v3, 20, v2
	v_lshlrev_b64 v[3:4], v3, -1
	v_add_u32_e32 v5, 19, v2
	v_lshlrev_b64 v[5:6], v5, 1
	v_lshrrev_b64 v[10:11], v2, v[52:53]
	v_bfi_b32 v4, v4, 0, 0
	v_bfi_b32 v3, v3, 0, v52
	v_cmp_eq_u64_e64 s[20:21], v[3:4], v[5:6]
	v_mov_b32_e32 v17, v11
	v_mov_b32_e32 v16, v10
	s_and_saveexec_b64 s[90:91], s[20:21]
; %bb.14353:                            ;   in Loop: Header=BB6_12355 Depth=2
	v_bfe_u32 v3, v10, 20, 1
	v_add_co_u32_e64 v3, s[20:21], v10, v3
	v_add_co_u32_e64 v16, s[20:21], -1, v3
; %bb.14354:                            ;   in Loop: Header=BB6_12355 Depth=2
	s_or_b64 exec, exec, s[90:91]
	v_add_u32_e32 v1, 0xffffff81, v1
	v_mov_b32_e32 v3, 0xffffff82
	v_cndmask_b32_e32 v1, v1, v3, vcc
	v_lshrrev_b32_e32 v3, 23, v10
	v_add3_u32 v3, v2, v1, v3
	v_add_u32_e32 v2, 6, v3
	v_and_b32_e32 v1, 0xfffff, v16
	v_add_u32_e32 v52, v1, v10
	v_cmp_ne_u32_e32 vcc, 0, v2
                                        ; implicit-def: $vgpr10_vgpr11
                                        ; implicit-def: $vgpr1
	s_and_saveexec_b64 s[20:21], vcc
	s_xor_b64 s[20:21], exec, s[20:21]
; %bb.14355:                            ;   in Loop: Header=BB6_12355 Depth=2
	v_cmp_lt_u64_e32 vcc, s[58:59], v[52:53]
	v_add_u32_e32 v1, 7, v3
	v_cndmask_b32_e32 v1, v2, v1, vcc
	v_cndmask_b32_e64 v2, 0, 1, vcc
	v_lshrrev_b64 v[10:11], v2, v[52:53]
; %bb.14356:                            ;   in Loop: Header=BB6_12355 Depth=2
	s_andn2_saveexec_b64 s[20:21], s[20:21]
; %bb.14357:                            ;   in Loop: Header=BB6_12355 Depth=2
	v_mov_b32_e32 v10, v52
	v_bfe_u32 v1, v52, 23, 1
	v_mov_b32_e32 v11, v53
; %bb.14358:                            ;   in Loop: Header=BB6_12355 Depth=2
	s_or_b64 exec, exec, s[20:21]
	v_lshrrev_b64 v[2:3], 20, v[10:11]
	v_cmp_gt_i32_e32 vcc, 16, v1
	v_cndmask_b32_e32 v3, 0, v3, vcc
	v_cndmask_b32_e32 v2, 7, v2, vcc
	v_cmp_eq_u32_e32 vcc, 0, v1
	v_min_i32_e32 v1, 15, v1
	v_cmp_eq_u64_e64 s[20:21], 0, v[2:3]
	v_lshlrev_b32_e32 v1, 3, v1
	v_and_b32_e32 v1, 0xf8, v1
	v_and_or_b32 v1, v2, 7, v1
	s_and_b64 s[20:21], vcc, s[20:21]
	v_cndmask_b32_e64 v1, v1, 0, s[20:21]
	v_or_b32_e32 v25, v1, v0
.LBB6_14359:                            ;   in Loop: Header=BB6_12355 Depth=2
	s_or_b64 exec, exec, s[88:89]
                                        ; implicit-def: $vgpr0
.LBB6_14360:                            ;   in Loop: Header=BB6_12355 Depth=2
	s_andn2_saveexec_b64 s[20:21], s[78:79]
; %bb.14361:                            ;   in Loop: Header=BB6_12355 Depth=2
	v_or_b32_e32 v25, 0x7e, v0
; %bb.14362:                            ;   in Loop: Header=BB6_12355 Depth=2
	s_or_b64 exec, exec, s[20:21]
                                        ; implicit-def: $vgpr1
.LBB6_14363:                            ;   in Loop: Header=BB6_12355 Depth=2
	s_andn2_saveexec_b64 s[20:21], s[76:77]
; %bb.14364:                            ;   in Loop: Header=BB6_12355 Depth=2
	v_or_b32_sdwa v25, v1, s39 dst_sel:DWORD dst_unused:UNUSED_PAD src0_sel:BYTE_3 src1_sel:DWORD
; %bb.14365:                            ;   in Loop: Header=BB6_12355 Depth=2
	s_or_b64 exec, exec, s[20:21]
	v_cmp_lt_u32_e32 vcc, s61, v12
	v_mov_b32_e32 v0, 0
	s_and_saveexec_b64 s[20:21], vcc
	s_cbranch_execz .LBB6_14371
; %bb.14366:                            ;   in Loop: Header=BB6_12355 Depth=2
	v_lshrrev_b32_e32 v10, 24, v12
	v_cmp_ne_u32_e32 vcc, s48, v10
	v_bfrev_b32_e32 v0, 1
	s_and_saveexec_b64 s[76:77], vcc
	s_cbranch_execz .LBB6_14370
; %bb.14367:                            ;   in Loop: Header=BB6_12355 Depth=2
	v_bfe_u32 v1, v12, 24, 7
	v_cmp_ne_u32_e32 vcc, s39, v1
	v_mov_b32_e32 v0, 0x7f800001
	s_and_saveexec_b64 s[78:79], vcc
	s_cbranch_execz .LBB6_14369
; %bb.14368:                            ;   in Loop: Header=BB6_12355 Depth=2
	v_and_b32_e32 v2, 7, v10
	v_ffbh_u32_e32 v0, v2
	v_min_u32_e32 v4, 32, v0
	v_subrev_u32_e32 v0, 28, v4
	v_lshrrev_b32_e32 v3, 3, v1
	v_cmp_gt_u32_e32 vcc, 8, v1
	v_lshlrev_b64 v[0:1], v0, v[10:11]
	v_sub_u32_e32 v1, 29, v4
	v_and_b32_e32 v0, 7, v0
	v_cndmask_b32_e32 v1, v3, v1, vcc
	v_cndmask_b32_e32 v0, v2, v0, vcc
	v_lshlrev_b32_e32 v2, 24, v10
	v_bfrev_b32_e32 v3, 60
	v_lshlrev_b32_e32 v0, 20, v0
	v_and_b32_e32 v2, 0x80000000, v2
	v_lshl_add_u32 v1, v1, 23, v3
	v_or3_b32 v0, v2, v1, v0
.LBB6_14369:                            ;   in Loop: Header=BB6_12355 Depth=2
	s_or_b64 exec, exec, s[78:79]
.LBB6_14370:                            ;   in Loop: Header=BB6_12355 Depth=2
	s_or_b64 exec, exec, s[76:77]
.LBB6_14371:                            ;   in Loop: Header=BB6_12355 Depth=2
	s_or_b64 exec, exec, s[20:21]
	v_mul_f32_e32 v1, v19, v0
	v_and_b32_e32 v52, 0x7f800000, v1
	v_cmp_ne_u64_e32 vcc, s[46:47], v[52:53]
                                        ; implicit-def: $vgpr39
	s_and_saveexec_b64 s[20:21], vcc
	s_xor_b64 s[76:77], exec, s[20:21]
	s_cbranch_execz .LBB6_14385
; %bb.14372:                            ;   in Loop: Header=BB6_12355 Depth=2
	v_and_b32_e32 v52, 0x7fffffff, v1
	v_cmp_gt_u64_e32 vcc, s[56:57], v[52:53]
	v_and_b32_sdwa v0, v1, s48 dst_sel:DWORD dst_unused:UNUSED_PAD src0_sel:BYTE_3 src1_sel:DWORD
                                        ; implicit-def: $vgpr39
	s_and_saveexec_b64 s[20:21], vcc
	s_xor_b64 s[78:79], exec, s[20:21]
	s_cbranch_execz .LBB6_14382
; %bb.14373:                            ;   in Loop: Header=BB6_12355 Depth=2
	v_mov_b32_e32 v39, 0
	v_cmp_ne_u32_e32 vcc, 0, v1
	s_and_saveexec_b64 s[88:89], vcc
	s_cbranch_execz .LBB6_14381
; %bb.14374:                            ;   in Loop: Header=BB6_12355 Depth=2
	v_and_b32_e32 v3, 0x7fffff, v1
	v_bfe_u32 v1, v1, 23, 8
	v_cmp_gt_u32_e64 s[20:21], s49, v1
	v_sub_u32_e32 v2, 0x79, v1
	v_cmp_eq_u32_e32 vcc, 0, v1
	v_cndmask_b32_e64 v2, 0, v2, s[20:21]
	v_mov_b32_e32 v5, 0x78
	v_or_b32_e32 v4, 0x800000, v3
	v_cndmask_b32_e32 v2, v2, v5, vcc
	v_cndmask_b32_e32 v52, v4, v3, vcc
	v_add_u32_e32 v3, 20, v2
	v_lshlrev_b64 v[3:4], v3, -1
	v_add_u32_e32 v5, 19, v2
	v_lshlrev_b64 v[5:6], v5, 1
	v_lshrrev_b64 v[10:11], v2, v[52:53]
	v_bfi_b32 v4, v4, 0, 0
	v_bfi_b32 v3, v3, 0, v52
	v_cmp_eq_u64_e64 s[20:21], v[3:4], v[5:6]
	v_mov_b32_e32 v17, v11
	v_mov_b32_e32 v16, v10
	s_and_saveexec_b64 s[90:91], s[20:21]
; %bb.14375:                            ;   in Loop: Header=BB6_12355 Depth=2
	v_bfe_u32 v3, v10, 20, 1
	v_add_co_u32_e64 v3, s[20:21], v10, v3
	v_add_co_u32_e64 v16, s[20:21], -1, v3
; %bb.14376:                            ;   in Loop: Header=BB6_12355 Depth=2
	s_or_b64 exec, exec, s[90:91]
	v_add_u32_e32 v1, 0xffffff81, v1
	v_mov_b32_e32 v3, 0xffffff82
	v_cndmask_b32_e32 v1, v1, v3, vcc
	v_lshrrev_b32_e32 v3, 23, v10
	v_add3_u32 v3, v2, v1, v3
	v_add_u32_e32 v2, 6, v3
	v_and_b32_e32 v1, 0xfffff, v16
	v_add_u32_e32 v52, v1, v10
	v_cmp_ne_u32_e32 vcc, 0, v2
                                        ; implicit-def: $vgpr10_vgpr11
                                        ; implicit-def: $vgpr1
	s_and_saveexec_b64 s[20:21], vcc
	s_xor_b64 s[20:21], exec, s[20:21]
; %bb.14377:                            ;   in Loop: Header=BB6_12355 Depth=2
	v_cmp_lt_u64_e32 vcc, s[58:59], v[52:53]
	v_add_u32_e32 v1, 7, v3
	v_cndmask_b32_e32 v1, v2, v1, vcc
	v_cndmask_b32_e64 v2, 0, 1, vcc
	v_lshrrev_b64 v[10:11], v2, v[52:53]
; %bb.14378:                            ;   in Loop: Header=BB6_12355 Depth=2
	s_andn2_saveexec_b64 s[20:21], s[20:21]
; %bb.14379:                            ;   in Loop: Header=BB6_12355 Depth=2
	v_mov_b32_e32 v10, v52
	v_bfe_u32 v1, v52, 23, 1
	v_mov_b32_e32 v11, v53
; %bb.14380:                            ;   in Loop: Header=BB6_12355 Depth=2
	s_or_b64 exec, exec, s[20:21]
	v_lshrrev_b64 v[2:3], 20, v[10:11]
	v_cmp_gt_i32_e32 vcc, 16, v1
	v_cndmask_b32_e32 v3, 0, v3, vcc
	v_cndmask_b32_e32 v2, 7, v2, vcc
	v_cmp_eq_u32_e32 vcc, 0, v1
	v_min_i32_e32 v1, 15, v1
	v_cmp_eq_u64_e64 s[20:21], 0, v[2:3]
	v_lshlrev_b32_e32 v1, 3, v1
	v_and_b32_e32 v1, 0xf8, v1
	v_and_or_b32 v1, v2, 7, v1
	s_and_b64 s[20:21], vcc, s[20:21]
	v_cndmask_b32_e64 v1, v1, 0, s[20:21]
	v_or_b32_e32 v39, v1, v0
.LBB6_14381:                            ;   in Loop: Header=BB6_12355 Depth=2
	s_or_b64 exec, exec, s[88:89]
                                        ; implicit-def: $vgpr0
.LBB6_14382:                            ;   in Loop: Header=BB6_12355 Depth=2
	s_andn2_saveexec_b64 s[20:21], s[78:79]
; %bb.14383:                            ;   in Loop: Header=BB6_12355 Depth=2
	v_or_b32_e32 v39, 0x7e, v0
; %bb.14384:                            ;   in Loop: Header=BB6_12355 Depth=2
	s_or_b64 exec, exec, s[20:21]
                                        ; implicit-def: $vgpr1
.LBB6_14385:                            ;   in Loop: Header=BB6_12355 Depth=2
	s_andn2_saveexec_b64 s[20:21], s[76:77]
; %bb.14386:                            ;   in Loop: Header=BB6_12355 Depth=2
	v_or_b32_sdwa v39, v1, s39 dst_sel:DWORD dst_unused:UNUSED_PAD src0_sel:BYTE_3 src1_sel:DWORD
; %bb.14387:                            ;   in Loop: Header=BB6_12355 Depth=2
	s_or_b64 exec, exec, s[20:21]
	v_mov_b32_e32 v52, v13
	v_cmp_ne_u16_sdwa s[76:77], v13, v53 src0_sel:BYTE_0 src1_sel:DWORD
	v_mov_b32_e32 v0, 0
	s_and_saveexec_b64 s[20:21], s[76:77]
	s_cbranch_execz .LBB6_14393
; %bb.14388:                            ;   in Loop: Header=BB6_12355 Depth=2
	v_cmp_ne_u16_sdwa s[78:79], v13, s48 src0_sel:BYTE_0 src1_sel:DWORD
	v_bfrev_b32_e32 v0, 1
	s_and_saveexec_b64 s[76:77], s[78:79]
	s_cbranch_execz .LBB6_14392
; %bb.14389:                            ;   in Loop: Header=BB6_12355 Depth=2
	v_and_b32_e32 v1, 0x7f, v13
	v_cmp_ne_u32_e32 vcc, s39, v1
	v_mov_b32_e32 v0, 0x7f800001
	s_and_saveexec_b64 s[78:79], vcc
	s_cbranch_execz .LBB6_14391
; %bb.14390:                            ;   in Loop: Header=BB6_12355 Depth=2
	v_and_b32_e32 v0, 7, v13
	v_ffbh_u32_e32 v0, v0
	v_min_u32_e32 v0, 32, v0
	v_lshrrev_b32_e32 v2, 3, v1
	v_cmp_gt_u32_e32 vcc, 8, v1
	v_subrev_u32_e32 v1, 28, v0
	v_sub_u32_e32 v0, 29, v0
	v_cndmask_b32_e32 v2, v2, v0, vcc
	v_cndmask_b32_e32 v0, 0, v1, vcc
	v_lshlrev_b64 v[0:1], v0, v[52:53]
	v_lshlrev_b32_e32 v1, 24, v52
	v_lshlrev_b32_e32 v0, 20, v0
	v_bfrev_b32_e32 v3, 60
	v_and_b32_e32 v0, 0x700000, v0
	v_and_b32_e32 v1, 0x80000000, v1
	v_lshl_add_u32 v2, v2, 23, v3
	v_or3_b32 v0, v1, v2, v0
.LBB6_14391:                            ;   in Loop: Header=BB6_12355 Depth=2
	s_or_b64 exec, exec, s[78:79]
.LBB6_14392:                            ;   in Loop: Header=BB6_12355 Depth=2
	s_or_b64 exec, exec, s[76:77]
.LBB6_14393:                            ;   in Loop: Header=BB6_12355 Depth=2
	s_or_b64 exec, exec, s[20:21]
	v_mul_f32_e32 v1, v19, v0
	v_and_b32_e32 v2, 0x7f800000, v1
	v_mov_b32_e32 v3, v53
	v_cmp_ne_u64_e32 vcc, s[46:47], v[2:3]
                                        ; implicit-def: $vgpr54
	s_and_saveexec_b64 s[20:21], vcc
	s_xor_b64 s[76:77], exec, s[20:21]
	s_cbranch_execz .LBB6_14407
; %bb.14394:                            ;   in Loop: Header=BB6_12355 Depth=2
	v_and_b32_e32 v2, 0x7fffffff, v1
	v_mov_b32_e32 v3, v53
	v_cmp_gt_u64_e32 vcc, s[56:57], v[2:3]
	v_and_b32_sdwa v0, v1, s48 dst_sel:DWORD dst_unused:UNUSED_PAD src0_sel:BYTE_3 src1_sel:DWORD
                                        ; implicit-def: $vgpr54
	s_and_saveexec_b64 s[20:21], vcc
	s_xor_b64 s[78:79], exec, s[20:21]
	s_cbranch_execz .LBB6_14404
; %bb.14395:                            ;   in Loop: Header=BB6_12355 Depth=2
	v_mov_b32_e32 v54, 0
	v_cmp_ne_u32_e32 vcc, 0, v1
	s_and_saveexec_b64 s[88:89], vcc
	s_cbranch_execz .LBB6_14403
; %bb.14396:                            ;   in Loop: Header=BB6_12355 Depth=2
	v_and_b32_e32 v3, 0x7fffff, v1
	v_bfe_u32 v1, v1, 23, 8
	v_cmp_gt_u32_e64 s[20:21], s49, v1
	v_sub_u32_e32 v2, 0x79, v1
	v_cmp_eq_u32_e32 vcc, 0, v1
	v_cndmask_b32_e64 v2, 0, v2, s[20:21]
	v_mov_b32_e32 v5, 0x78
	v_cndmask_b32_e32 v2, v2, v5, vcc
	v_add_u32_e32 v5, 20, v2
	v_or_b32_e32 v4, 0x800000, v3
	v_lshlrev_b64 v[5:6], v5, -1
	v_add_u32_e32 v7, 19, v2
	v_cndmask_b32_e32 v3, v4, v3, vcc
	v_lshlrev_b64 v[10:11], v7, 1
	v_mov_b32_e32 v4, v53
	v_bfi_b32 v6, v6, 0, 0
	v_bfi_b32 v5, v5, 0, v3
	v_cmp_eq_u64_e64 s[20:21], v[5:6], v[10:11]
	v_lshrrev_b64 v[10:11], v2, v[3:4]
	v_mov_b32_e32 v17, v11
	v_mov_b32_e32 v16, v10
	s_and_saveexec_b64 s[90:91], s[20:21]
; %bb.14397:                            ;   in Loop: Header=BB6_12355 Depth=2
	v_bfe_u32 v3, v10, 20, 1
	v_add_co_u32_e64 v3, s[20:21], v10, v3
	v_add_co_u32_e64 v16, s[20:21], -1, v3
; %bb.14398:                            ;   in Loop: Header=BB6_12355 Depth=2
	s_or_b64 exec, exec, s[90:91]
	v_add_u32_e32 v1, 0xffffff81, v1
	v_mov_b32_e32 v3, 0xffffff82
	v_cndmask_b32_e32 v1, v1, v3, vcc
	v_lshrrev_b32_e32 v3, 23, v10
	v_add3_u32 v3, v2, v1, v3
	v_add_u32_e32 v2, 6, v3
	v_and_b32_e32 v1, 0xfffff, v16
	v_add_u32_e32 v10, v1, v10
	v_mov_b32_e32 v11, v53
	v_cmp_ne_u32_e32 vcc, 0, v2
                                        ; implicit-def: $vgpr1
	s_and_saveexec_b64 s[20:21], vcc
	s_xor_b64 s[20:21], exec, s[20:21]
; %bb.14399:                            ;   in Loop: Header=BB6_12355 Depth=2
	v_cmp_lt_u64_e32 vcc, s[58:59], v[10:11]
	v_add_u32_e32 v1, 7, v3
	v_cndmask_b32_e32 v1, v2, v1, vcc
	v_cndmask_b32_e64 v2, 0, 1, vcc
	v_lshrrev_b64 v[10:11], v2, v[10:11]
; %bb.14400:                            ;   in Loop: Header=BB6_12355 Depth=2
	s_andn2_saveexec_b64 s[20:21], s[20:21]
; %bb.14401:                            ;   in Loop: Header=BB6_12355 Depth=2
	v_bfe_u32 v1, v10, 23, 1
; %bb.14402:                            ;   in Loop: Header=BB6_12355 Depth=2
	s_or_b64 exec, exec, s[20:21]
	v_lshrrev_b64 v[2:3], 20, v[10:11]
	v_cmp_gt_i32_e32 vcc, 16, v1
	v_cndmask_b32_e32 v3, 0, v3, vcc
	v_cndmask_b32_e32 v2, 7, v2, vcc
	v_cmp_eq_u32_e32 vcc, 0, v1
	v_min_i32_e32 v1, 15, v1
	v_cmp_eq_u64_e64 s[20:21], 0, v[2:3]
	v_lshlrev_b32_e32 v1, 3, v1
	v_and_b32_e32 v1, 0xf8, v1
	v_and_or_b32 v1, v2, 7, v1
	s_and_b64 s[20:21], vcc, s[20:21]
	v_cndmask_b32_e64 v1, v1, 0, s[20:21]
	v_or_b32_e32 v54, v1, v0
.LBB6_14403:                            ;   in Loop: Header=BB6_12355 Depth=2
	s_or_b64 exec, exec, s[88:89]
                                        ; implicit-def: $vgpr0
.LBB6_14404:                            ;   in Loop: Header=BB6_12355 Depth=2
	s_andn2_saveexec_b64 s[20:21], s[78:79]
; %bb.14405:                            ;   in Loop: Header=BB6_12355 Depth=2
	v_or_b32_e32 v54, 0x7e, v0
; %bb.14406:                            ;   in Loop: Header=BB6_12355 Depth=2
	s_or_b64 exec, exec, s[20:21]
                                        ; implicit-def: $vgpr1
.LBB6_14407:                            ;   in Loop: Header=BB6_12355 Depth=2
	s_andn2_saveexec_b64 s[20:21], s[76:77]
; %bb.14408:                            ;   in Loop: Header=BB6_12355 Depth=2
	v_or_b32_sdwa v54, v1, s39 dst_sel:DWORD dst_unused:UNUSED_PAD src0_sel:BYTE_3 src1_sel:DWORD
; %bb.14409:                            ;   in Loop: Header=BB6_12355 Depth=2
	s_or_b64 exec, exec, s[20:21]
	v_lshrrev_b16_e32 v10, 8, v52
	v_cmp_ne_u16_e32 vcc, 0, v10
	v_mov_b32_e32 v0, 0
	s_and_saveexec_b64 s[20:21], vcc
	s_cbranch_execz .LBB6_14415
; %bb.14410:                            ;   in Loop: Header=BB6_12355 Depth=2
	v_cmp_ne_u16_e32 vcc, s48, v10
	v_bfrev_b32_e32 v0, 1
	s_and_saveexec_b64 s[76:77], vcc
	s_cbranch_execz .LBB6_14414
; %bb.14411:                            ;   in Loop: Header=BB6_12355 Depth=2
	v_and_b32_e32 v1, 0x7f, v10
	v_cmp_ne_u32_e32 vcc, s39, v1
	v_mov_b32_e32 v0, 0x7f800001
	s_and_saveexec_b64 s[78:79], vcc
	s_cbranch_execz .LBB6_14413
; %bb.14412:                            ;   in Loop: Header=BB6_12355 Depth=2
	v_and_b32_e32 v2, 7, v10
	v_ffbh_u32_e32 v0, v2
	v_min_u32_e32 v4, 32, v0
	v_subrev_u32_e32 v0, 28, v4
	v_lshrrev_b32_e32 v3, 3, v1
	v_cmp_gt_u32_e32 vcc, 8, v1
	v_lshlrev_b64 v[0:1], v0, v[10:11]
	v_sub_u32_e32 v1, 29, v4
	v_and_b32_e32 v0, 7, v0
	v_cndmask_b32_e32 v1, v3, v1, vcc
	v_cndmask_b32_e32 v0, v2, v0, vcc
	v_lshlrev_b32_e32 v2, 16, v52
	v_bfrev_b32_e32 v3, 60
	v_lshlrev_b32_e32 v0, 20, v0
	v_and_b32_e32 v2, 0x80000000, v2
	v_lshl_add_u32 v1, v1, 23, v3
	v_or3_b32 v0, v2, v1, v0
.LBB6_14413:                            ;   in Loop: Header=BB6_12355 Depth=2
	s_or_b64 exec, exec, s[78:79]
.LBB6_14414:                            ;   in Loop: Header=BB6_12355 Depth=2
	s_or_b64 exec, exec, s[76:77]
.LBB6_14415:                            ;   in Loop: Header=BB6_12355 Depth=2
	s_or_b64 exec, exec, s[20:21]
	v_mul_f32_e32 v1, v19, v0
	v_and_b32_e32 v52, 0x7f800000, v1
	v_cmp_ne_u64_e32 vcc, s[46:47], v[52:53]
                                        ; implicit-def: $vgpr55
	s_and_saveexec_b64 s[20:21], vcc
	s_xor_b64 s[76:77], exec, s[20:21]
	s_cbranch_execz .LBB6_14429
; %bb.14416:                            ;   in Loop: Header=BB6_12355 Depth=2
	v_and_b32_e32 v52, 0x7fffffff, v1
	v_cmp_gt_u64_e32 vcc, s[56:57], v[52:53]
	v_and_b32_sdwa v0, v1, s48 dst_sel:DWORD dst_unused:UNUSED_PAD src0_sel:BYTE_3 src1_sel:DWORD
                                        ; implicit-def: $vgpr55
	s_and_saveexec_b64 s[20:21], vcc
	s_xor_b64 s[78:79], exec, s[20:21]
	s_cbranch_execz .LBB6_14426
; %bb.14417:                            ;   in Loop: Header=BB6_12355 Depth=2
	v_mov_b32_e32 v55, 0
	v_cmp_ne_u32_e32 vcc, 0, v1
	s_and_saveexec_b64 s[88:89], vcc
	s_cbranch_execz .LBB6_14425
; %bb.14418:                            ;   in Loop: Header=BB6_12355 Depth=2
	v_and_b32_e32 v3, 0x7fffff, v1
	v_bfe_u32 v1, v1, 23, 8
	v_cmp_gt_u32_e64 s[20:21], s49, v1
	v_sub_u32_e32 v2, 0x79, v1
	v_cmp_eq_u32_e32 vcc, 0, v1
	v_cndmask_b32_e64 v2, 0, v2, s[20:21]
	v_mov_b32_e32 v5, 0x78
	v_or_b32_e32 v4, 0x800000, v3
	v_cndmask_b32_e32 v2, v2, v5, vcc
	v_cndmask_b32_e32 v52, v4, v3, vcc
	v_add_u32_e32 v3, 20, v2
	v_lshlrev_b64 v[3:4], v3, -1
	v_add_u32_e32 v5, 19, v2
	v_lshlrev_b64 v[5:6], v5, 1
	v_lshrrev_b64 v[10:11], v2, v[52:53]
	v_bfi_b32 v4, v4, 0, 0
	v_bfi_b32 v3, v3, 0, v52
	v_cmp_eq_u64_e64 s[20:21], v[3:4], v[5:6]
	v_mov_b32_e32 v17, v11
	v_mov_b32_e32 v16, v10
	s_and_saveexec_b64 s[90:91], s[20:21]
; %bb.14419:                            ;   in Loop: Header=BB6_12355 Depth=2
	v_bfe_u32 v3, v10, 20, 1
	v_add_co_u32_e64 v3, s[20:21], v10, v3
	v_add_co_u32_e64 v16, s[20:21], -1, v3
; %bb.14420:                            ;   in Loop: Header=BB6_12355 Depth=2
	s_or_b64 exec, exec, s[90:91]
	v_add_u32_e32 v1, 0xffffff81, v1
	v_mov_b32_e32 v3, 0xffffff82
	v_cndmask_b32_e32 v1, v1, v3, vcc
	v_lshrrev_b32_e32 v3, 23, v10
	v_add3_u32 v3, v2, v1, v3
	v_add_u32_e32 v2, 6, v3
	v_and_b32_e32 v1, 0xfffff, v16
	v_add_u32_e32 v52, v1, v10
	v_cmp_ne_u32_e32 vcc, 0, v2
                                        ; implicit-def: $vgpr10_vgpr11
                                        ; implicit-def: $vgpr1
	s_and_saveexec_b64 s[20:21], vcc
	s_xor_b64 s[20:21], exec, s[20:21]
; %bb.14421:                            ;   in Loop: Header=BB6_12355 Depth=2
	v_cmp_lt_u64_e32 vcc, s[58:59], v[52:53]
	v_add_u32_e32 v1, 7, v3
	v_cndmask_b32_e32 v1, v2, v1, vcc
	v_cndmask_b32_e64 v2, 0, 1, vcc
	v_lshrrev_b64 v[10:11], v2, v[52:53]
; %bb.14422:                            ;   in Loop: Header=BB6_12355 Depth=2
	s_andn2_saveexec_b64 s[20:21], s[20:21]
; %bb.14423:                            ;   in Loop: Header=BB6_12355 Depth=2
	v_mov_b32_e32 v10, v52
	v_bfe_u32 v1, v52, 23, 1
	v_mov_b32_e32 v11, v53
; %bb.14424:                            ;   in Loop: Header=BB6_12355 Depth=2
	s_or_b64 exec, exec, s[20:21]
	v_lshrrev_b64 v[2:3], 20, v[10:11]
	v_cmp_gt_i32_e32 vcc, 16, v1
	v_cndmask_b32_e32 v3, 0, v3, vcc
	v_cndmask_b32_e32 v2, 7, v2, vcc
	v_cmp_eq_u32_e32 vcc, 0, v1
	v_min_i32_e32 v1, 15, v1
	v_cmp_eq_u64_e64 s[20:21], 0, v[2:3]
	v_lshlrev_b32_e32 v1, 3, v1
	v_and_b32_e32 v1, 0xf8, v1
	v_and_or_b32 v1, v2, 7, v1
	s_and_b64 s[20:21], vcc, s[20:21]
	v_cndmask_b32_e64 v1, v1, 0, s[20:21]
	v_or_b32_e32 v55, v1, v0
.LBB6_14425:                            ;   in Loop: Header=BB6_12355 Depth=2
	s_or_b64 exec, exec, s[88:89]
                                        ; implicit-def: $vgpr0
.LBB6_14426:                            ;   in Loop: Header=BB6_12355 Depth=2
	s_andn2_saveexec_b64 s[20:21], s[78:79]
; %bb.14427:                            ;   in Loop: Header=BB6_12355 Depth=2
	v_or_b32_e32 v55, 0x7e, v0
; %bb.14428:                            ;   in Loop: Header=BB6_12355 Depth=2
	s_or_b64 exec, exec, s[20:21]
                                        ; implicit-def: $vgpr1
.LBB6_14429:                            ;   in Loop: Header=BB6_12355 Depth=2
	s_andn2_saveexec_b64 s[20:21], s[76:77]
; %bb.14430:                            ;   in Loop: Header=BB6_12355 Depth=2
	v_or_b32_sdwa v55, v1, s39 dst_sel:DWORD dst_unused:UNUSED_PAD src0_sel:BYTE_3 src1_sel:DWORD
; %bb.14431:                            ;   in Loop: Header=BB6_12355 Depth=2
	s_or_b64 exec, exec, s[20:21]
	v_lshrrev_b32_e32 v10, 16, v13
	v_cmp_ne_u16_sdwa s[76:77], v10, v53 src0_sel:BYTE_0 src1_sel:DWORD
	v_mov_b32_e32 v0, 0
	s_and_saveexec_b64 s[20:21], s[76:77]
	s_cbranch_execz .LBB6_14437
; %bb.14432:                            ;   in Loop: Header=BB6_12355 Depth=2
	v_cmp_ne_u16_sdwa s[78:79], v10, s48 src0_sel:BYTE_0 src1_sel:DWORD
	v_bfrev_b32_e32 v0, 1
	s_and_saveexec_b64 s[76:77], s[78:79]
	s_cbranch_execz .LBB6_14436
; %bb.14433:                            ;   in Loop: Header=BB6_12355 Depth=2
	v_bfe_u32 v1, v13, 16, 7
	v_cmp_ne_u32_e32 vcc, s39, v1
	v_mov_b32_e32 v0, 0x7f800001
	s_and_saveexec_b64 s[78:79], vcc
	s_cbranch_execz .LBB6_14435
; %bb.14434:                            ;   in Loop: Header=BB6_12355 Depth=2
	v_and_b32_e32 v2, 7, v10
	v_ffbh_u32_e32 v0, v2
	v_min_u32_e32 v4, 32, v0
	v_subrev_u32_e32 v0, 28, v4
	v_lshrrev_b32_e32 v3, 3, v1
	v_cmp_gt_u32_e32 vcc, 8, v1
	v_lshlrev_b64 v[0:1], v0, v[10:11]
	v_sub_u32_e32 v1, 29, v4
	v_and_b32_e32 v0, 7, v0
	v_cndmask_b32_e32 v1, v3, v1, vcc
	v_cndmask_b32_e32 v0, v2, v0, vcc
	v_lshlrev_b32_e32 v2, 24, v10
	v_bfrev_b32_e32 v3, 60
	v_lshlrev_b32_e32 v0, 20, v0
	v_and_b32_e32 v2, 0x80000000, v2
	v_lshl_add_u32 v1, v1, 23, v3
	v_or3_b32 v0, v2, v1, v0
.LBB6_14435:                            ;   in Loop: Header=BB6_12355 Depth=2
	s_or_b64 exec, exec, s[78:79]
.LBB6_14436:                            ;   in Loop: Header=BB6_12355 Depth=2
	s_or_b64 exec, exec, s[76:77]
.LBB6_14437:                            ;   in Loop: Header=BB6_12355 Depth=2
	s_or_b64 exec, exec, s[20:21]
	v_mul_f32_e32 v1, v19, v0
	v_and_b32_e32 v52, 0x7f800000, v1
	v_cmp_ne_u64_e32 vcc, s[46:47], v[52:53]
                                        ; implicit-def: $vgpr56
	s_and_saveexec_b64 s[20:21], vcc
	s_xor_b64 s[76:77], exec, s[20:21]
	s_cbranch_execz .LBB6_14451
; %bb.14438:                            ;   in Loop: Header=BB6_12355 Depth=2
	v_and_b32_e32 v52, 0x7fffffff, v1
	v_cmp_gt_u64_e32 vcc, s[56:57], v[52:53]
	v_and_b32_sdwa v0, v1, s48 dst_sel:DWORD dst_unused:UNUSED_PAD src0_sel:BYTE_3 src1_sel:DWORD
                                        ; implicit-def: $vgpr56
	s_and_saveexec_b64 s[20:21], vcc
	s_xor_b64 s[78:79], exec, s[20:21]
	s_cbranch_execz .LBB6_14448
; %bb.14439:                            ;   in Loop: Header=BB6_12355 Depth=2
	v_mov_b32_e32 v56, 0
	v_cmp_ne_u32_e32 vcc, 0, v1
	s_and_saveexec_b64 s[88:89], vcc
	s_cbranch_execz .LBB6_14447
; %bb.14440:                            ;   in Loop: Header=BB6_12355 Depth=2
	v_and_b32_e32 v3, 0x7fffff, v1
	v_bfe_u32 v1, v1, 23, 8
	v_cmp_gt_u32_e64 s[20:21], s49, v1
	v_sub_u32_e32 v2, 0x79, v1
	v_cmp_eq_u32_e32 vcc, 0, v1
	v_cndmask_b32_e64 v2, 0, v2, s[20:21]
	v_mov_b32_e32 v5, 0x78
	v_or_b32_e32 v4, 0x800000, v3
	v_cndmask_b32_e32 v2, v2, v5, vcc
	v_cndmask_b32_e32 v52, v4, v3, vcc
	v_add_u32_e32 v3, 20, v2
	v_lshlrev_b64 v[3:4], v3, -1
	v_add_u32_e32 v5, 19, v2
	v_lshlrev_b64 v[5:6], v5, 1
	v_lshrrev_b64 v[10:11], v2, v[52:53]
	v_bfi_b32 v4, v4, 0, 0
	v_bfi_b32 v3, v3, 0, v52
	v_cmp_eq_u64_e64 s[20:21], v[3:4], v[5:6]
	v_mov_b32_e32 v17, v11
	v_mov_b32_e32 v16, v10
	s_and_saveexec_b64 s[90:91], s[20:21]
; %bb.14441:                            ;   in Loop: Header=BB6_12355 Depth=2
	v_bfe_u32 v3, v10, 20, 1
	v_add_co_u32_e64 v3, s[20:21], v10, v3
	v_add_co_u32_e64 v16, s[20:21], -1, v3
; %bb.14442:                            ;   in Loop: Header=BB6_12355 Depth=2
	s_or_b64 exec, exec, s[90:91]
	v_add_u32_e32 v1, 0xffffff81, v1
	v_mov_b32_e32 v3, 0xffffff82
	v_cndmask_b32_e32 v1, v1, v3, vcc
	v_lshrrev_b32_e32 v3, 23, v10
	v_add3_u32 v3, v2, v1, v3
	v_add_u32_e32 v2, 6, v3
	v_and_b32_e32 v1, 0xfffff, v16
	v_add_u32_e32 v52, v1, v10
	v_cmp_ne_u32_e32 vcc, 0, v2
                                        ; implicit-def: $vgpr10_vgpr11
                                        ; implicit-def: $vgpr1
	s_and_saveexec_b64 s[20:21], vcc
	s_xor_b64 s[20:21], exec, s[20:21]
; %bb.14443:                            ;   in Loop: Header=BB6_12355 Depth=2
	v_cmp_lt_u64_e32 vcc, s[58:59], v[52:53]
	v_add_u32_e32 v1, 7, v3
	v_cndmask_b32_e32 v1, v2, v1, vcc
	v_cndmask_b32_e64 v2, 0, 1, vcc
	v_lshrrev_b64 v[10:11], v2, v[52:53]
; %bb.14444:                            ;   in Loop: Header=BB6_12355 Depth=2
	s_andn2_saveexec_b64 s[20:21], s[20:21]
; %bb.14445:                            ;   in Loop: Header=BB6_12355 Depth=2
	v_mov_b32_e32 v10, v52
	v_bfe_u32 v1, v52, 23, 1
	v_mov_b32_e32 v11, v53
; %bb.14446:                            ;   in Loop: Header=BB6_12355 Depth=2
	s_or_b64 exec, exec, s[20:21]
	v_lshrrev_b64 v[2:3], 20, v[10:11]
	v_cmp_gt_i32_e32 vcc, 16, v1
	v_cndmask_b32_e32 v3, 0, v3, vcc
	v_cndmask_b32_e32 v2, 7, v2, vcc
	v_cmp_eq_u32_e32 vcc, 0, v1
	v_min_i32_e32 v1, 15, v1
	v_cmp_eq_u64_e64 s[20:21], 0, v[2:3]
	v_lshlrev_b32_e32 v1, 3, v1
	v_and_b32_e32 v1, 0xf8, v1
	v_and_or_b32 v1, v2, 7, v1
	s_and_b64 s[20:21], vcc, s[20:21]
	v_cndmask_b32_e64 v1, v1, 0, s[20:21]
	v_or_b32_e32 v56, v1, v0
.LBB6_14447:                            ;   in Loop: Header=BB6_12355 Depth=2
	s_or_b64 exec, exec, s[88:89]
                                        ; implicit-def: $vgpr0
.LBB6_14448:                            ;   in Loop: Header=BB6_12355 Depth=2
	s_andn2_saveexec_b64 s[20:21], s[78:79]
; %bb.14449:                            ;   in Loop: Header=BB6_12355 Depth=2
	v_or_b32_e32 v56, 0x7e, v0
; %bb.14450:                            ;   in Loop: Header=BB6_12355 Depth=2
	s_or_b64 exec, exec, s[20:21]
                                        ; implicit-def: $vgpr1
.LBB6_14451:                            ;   in Loop: Header=BB6_12355 Depth=2
	s_andn2_saveexec_b64 s[20:21], s[76:77]
; %bb.14452:                            ;   in Loop: Header=BB6_12355 Depth=2
	v_or_b32_sdwa v56, v1, s39 dst_sel:DWORD dst_unused:UNUSED_PAD src0_sel:BYTE_3 src1_sel:DWORD
; %bb.14453:                            ;   in Loop: Header=BB6_12355 Depth=2
	s_or_b64 exec, exec, s[20:21]
	v_cmp_lt_u64_e32 vcc, s[60:61], v[12:13]
	v_mov_b32_e32 v0, 0
	s_and_saveexec_b64 s[20:21], vcc
	s_cbranch_execz .LBB6_14459
; %bb.14454:                            ;   in Loop: Header=BB6_12355 Depth=2
	v_lshrrev_b32_e32 v10, 24, v13
	v_cmp_ne_u32_e32 vcc, s48, v10
	v_bfrev_b32_e32 v0, 1
	s_and_saveexec_b64 s[76:77], vcc
	s_cbranch_execz .LBB6_14458
; %bb.14455:                            ;   in Loop: Header=BB6_12355 Depth=2
	v_bfe_u32 v1, v13, 24, 7
	v_cmp_ne_u32_e32 vcc, s39, v1
	v_mov_b32_e32 v0, 0x7f800001
	s_and_saveexec_b64 s[78:79], vcc
	s_cbranch_execz .LBB6_14457
; %bb.14456:                            ;   in Loop: Header=BB6_12355 Depth=2
	v_and_b32_e32 v2, 7, v10
	v_ffbh_u32_e32 v0, v2
	v_min_u32_e32 v4, 32, v0
	v_subrev_u32_e32 v0, 28, v4
	v_lshrrev_b32_e32 v3, 3, v1
	v_cmp_gt_u32_e32 vcc, 8, v1
	v_lshlrev_b64 v[0:1], v0, v[10:11]
	v_sub_u32_e32 v1, 29, v4
	v_and_b32_e32 v0, 7, v0
	v_cndmask_b32_e32 v1, v3, v1, vcc
	v_cndmask_b32_e32 v0, v2, v0, vcc
	v_lshlrev_b32_e32 v2, 24, v10
	v_bfrev_b32_e32 v3, 60
	v_lshlrev_b32_e32 v0, 20, v0
	v_and_b32_e32 v2, 0x80000000, v2
	v_lshl_add_u32 v1, v1, 23, v3
	v_or3_b32 v0, v2, v1, v0
.LBB6_14457:                            ;   in Loop: Header=BB6_12355 Depth=2
	s_or_b64 exec, exec, s[78:79]
.LBB6_14458:                            ;   in Loop: Header=BB6_12355 Depth=2
	s_or_b64 exec, exec, s[76:77]
.LBB6_14459:                            ;   in Loop: Header=BB6_12355 Depth=2
	s_or_b64 exec, exec, s[20:21]
	v_mul_f32_e32 v1, v19, v0
	v_and_b32_e32 v52, 0x7f800000, v1
	v_cmp_ne_u64_e32 vcc, s[46:47], v[52:53]
                                        ; implicit-def: $vgpr44
	s_and_saveexec_b64 s[20:21], vcc
	s_xor_b64 s[76:77], exec, s[20:21]
	s_cbranch_execz .LBB6_14473
; %bb.14460:                            ;   in Loop: Header=BB6_12355 Depth=2
	v_and_b32_e32 v52, 0x7fffffff, v1
	v_cmp_gt_u64_e32 vcc, s[56:57], v[52:53]
	v_and_b32_sdwa v0, v1, s48 dst_sel:DWORD dst_unused:UNUSED_PAD src0_sel:BYTE_3 src1_sel:DWORD
                                        ; implicit-def: $vgpr44
	s_and_saveexec_b64 s[20:21], vcc
	s_xor_b64 s[78:79], exec, s[20:21]
	s_cbranch_execz .LBB6_14470
; %bb.14461:                            ;   in Loop: Header=BB6_12355 Depth=2
	v_mov_b32_e32 v44, 0
	v_cmp_ne_u32_e32 vcc, 0, v1
	s_and_saveexec_b64 s[88:89], vcc
	s_cbranch_execz .LBB6_14469
; %bb.14462:                            ;   in Loop: Header=BB6_12355 Depth=2
	v_and_b32_e32 v3, 0x7fffff, v1
	v_bfe_u32 v1, v1, 23, 8
	v_cmp_gt_u32_e64 s[20:21], s49, v1
	v_sub_u32_e32 v2, 0x79, v1
	v_cmp_eq_u32_e32 vcc, 0, v1
	v_cndmask_b32_e64 v2, 0, v2, s[20:21]
	v_mov_b32_e32 v5, 0x78
	v_or_b32_e32 v4, 0x800000, v3
	v_cndmask_b32_e32 v2, v2, v5, vcc
	v_cndmask_b32_e32 v52, v4, v3, vcc
	v_add_u32_e32 v3, 20, v2
	v_lshlrev_b64 v[3:4], v3, -1
	v_add_u32_e32 v5, 19, v2
	v_lshlrev_b64 v[5:6], v5, 1
	v_lshrrev_b64 v[10:11], v2, v[52:53]
	v_bfi_b32 v4, v4, 0, 0
	v_bfi_b32 v3, v3, 0, v52
	v_cmp_eq_u64_e64 s[20:21], v[3:4], v[5:6]
	v_mov_b32_e32 v12, v11
	v_mov_b32_e32 v11, v10
	s_and_saveexec_b64 s[90:91], s[20:21]
; %bb.14463:                            ;   in Loop: Header=BB6_12355 Depth=2
	v_bfe_u32 v3, v10, 20, 1
	v_add_co_u32_e64 v3, s[20:21], v10, v3
	v_add_co_u32_e64 v11, s[20:21], -1, v3
; %bb.14464:                            ;   in Loop: Header=BB6_12355 Depth=2
	s_or_b64 exec, exec, s[90:91]
	v_add_u32_e32 v1, 0xffffff81, v1
	v_mov_b32_e32 v3, 0xffffff82
	v_cndmask_b32_e32 v1, v1, v3, vcc
	v_lshrrev_b32_e32 v3, 23, v10
	v_add3_u32 v3, v2, v1, v3
	v_add_u32_e32 v2, 6, v3
	v_and_b32_e32 v1, 0xfffff, v11
	v_add_u32_e32 v52, v1, v10
	v_cmp_ne_u32_e32 vcc, 0, v2
                                        ; implicit-def: $vgpr10_vgpr11
                                        ; implicit-def: $vgpr1
	s_and_saveexec_b64 s[20:21], vcc
	s_xor_b64 s[20:21], exec, s[20:21]
; %bb.14465:                            ;   in Loop: Header=BB6_12355 Depth=2
	v_cmp_lt_u64_e32 vcc, s[58:59], v[52:53]
	v_add_u32_e32 v1, 7, v3
	v_cndmask_b32_e32 v1, v2, v1, vcc
	v_cndmask_b32_e64 v2, 0, 1, vcc
	v_lshrrev_b64 v[10:11], v2, v[52:53]
; %bb.14466:                            ;   in Loop: Header=BB6_12355 Depth=2
	s_andn2_saveexec_b64 s[20:21], s[20:21]
; %bb.14467:                            ;   in Loop: Header=BB6_12355 Depth=2
	v_mov_b32_e32 v10, v52
	v_bfe_u32 v1, v52, 23, 1
	v_mov_b32_e32 v11, v53
; %bb.14468:                            ;   in Loop: Header=BB6_12355 Depth=2
	s_or_b64 exec, exec, s[20:21]
	v_lshrrev_b64 v[2:3], 20, v[10:11]
	v_cmp_gt_i32_e32 vcc, 16, v1
	v_cndmask_b32_e32 v3, 0, v3, vcc
	v_cndmask_b32_e32 v2, 7, v2, vcc
	v_cmp_eq_u32_e32 vcc, 0, v1
	v_min_i32_e32 v1, 15, v1
	v_cmp_eq_u64_e64 s[20:21], 0, v[2:3]
	v_lshlrev_b32_e32 v1, 3, v1
	v_and_b32_e32 v1, 0xf8, v1
	v_and_or_b32 v1, v2, 7, v1
	s_and_b64 s[20:21], vcc, s[20:21]
	v_cndmask_b32_e64 v1, v1, 0, s[20:21]
	v_or_b32_e32 v44, v1, v0
.LBB6_14469:                            ;   in Loop: Header=BB6_12355 Depth=2
	s_or_b64 exec, exec, s[88:89]
                                        ; implicit-def: $vgpr0
.LBB6_14470:                            ;   in Loop: Header=BB6_12355 Depth=2
	s_andn2_saveexec_b64 s[20:21], s[78:79]
; %bb.14471:                            ;   in Loop: Header=BB6_12355 Depth=2
	v_or_b32_e32 v44, 0x7e, v0
; %bb.14472:                            ;   in Loop: Header=BB6_12355 Depth=2
	s_or_b64 exec, exec, s[20:21]
                                        ; implicit-def: $vgpr1
.LBB6_14473:                            ;   in Loop: Header=BB6_12355 Depth=2
	s_andn2_saveexec_b64 s[20:21], s[76:77]
; %bb.14474:                            ;   in Loop: Header=BB6_12355 Depth=2
	v_or_b32_sdwa v44, v1, s39 dst_sel:DWORD dst_unused:UNUSED_PAD src0_sel:BYTE_3 src1_sel:DWORD
; %bb.14475:                            ;   in Loop: Header=BB6_12355 Depth=2
	s_or_b64 exec, exec, s[20:21]
	v_add_co_u32_e32 v0, vcc, 0x1000, v14
	v_addc_co_u32_e32 v1, vcc, 0, v15, vcc
	global_load_dwordx4 v[10:13], v[0:1], off offset:2048 glc slc
	v_mov_b32_e32 v0, 0
	s_waitcnt vmcnt(0)
	v_cmp_ne_u16_sdwa s[76:77], v10, v53 src0_sel:BYTE_0 src1_sel:DWORD
	s_and_saveexec_b64 s[20:21], s[76:77]
	s_cbranch_execz .LBB6_14481
; %bb.14476:                            ;   in Loop: Header=BB6_12355 Depth=2
	v_cmp_ne_u16_sdwa s[78:79], v10, s48 src0_sel:BYTE_0 src1_sel:DWORD
	v_bfrev_b32_e32 v0, 1
	s_and_saveexec_b64 s[76:77], s[78:79]
	s_cbranch_execz .LBB6_14480
; %bb.14477:                            ;   in Loop: Header=BB6_12355 Depth=2
	v_and_b32_e32 v1, 0x7f, v10
	v_cmp_ne_u32_e32 vcc, s39, v1
	v_mov_b32_e32 v0, 0x7f800001
	s_and_saveexec_b64 s[78:79], vcc
	s_cbranch_execz .LBB6_14479
; %bb.14478:                            ;   in Loop: Header=BB6_12355 Depth=2
	v_and_b32_e32 v0, 7, v10
	v_ffbh_u32_e32 v0, v0
	v_min_u32_e32 v0, 32, v0
	v_lshrrev_b32_e32 v2, 3, v1
	v_cmp_gt_u32_e32 vcc, 8, v1
	v_subrev_u32_e32 v1, 28, v0
	v_sub_u32_e32 v0, 29, v0
	v_cndmask_b32_e32 v2, v2, v0, vcc
	v_cndmask_b32_e32 v0, 0, v1, vcc
	v_lshlrev_b64 v[0:1], v0, v[10:11]
	v_lshlrev_b32_e32 v1, 24, v10
	v_lshlrev_b32_e32 v0, 20, v0
	v_bfrev_b32_e32 v3, 60
	v_and_b32_e32 v0, 0x700000, v0
	v_and_b32_e32 v1, 0x80000000, v1
	v_lshl_add_u32 v2, v2, 23, v3
	v_or3_b32 v0, v1, v2, v0
.LBB6_14479:                            ;   in Loop: Header=BB6_12355 Depth=2
	s_or_b64 exec, exec, s[78:79]
.LBB6_14480:                            ;   in Loop: Header=BB6_12355 Depth=2
	s_or_b64 exec, exec, s[76:77]
.LBB6_14481:                            ;   in Loop: Header=BB6_12355 Depth=2
	s_or_b64 exec, exec, s[20:21]
	v_mul_f32_e32 v1, v19, v0
	v_and_b32_e32 v52, 0x7f800000, v1
	v_cmp_ne_u64_e32 vcc, s[46:47], v[52:53]
                                        ; implicit-def: $vgpr2
	s_and_saveexec_b64 s[20:21], vcc
	s_xor_b64 s[76:77], exec, s[20:21]
	s_cbranch_execz .LBB6_14495
; %bb.14482:                            ;   in Loop: Header=BB6_12355 Depth=2
	v_and_b32_e32 v52, 0x7fffffff, v1
	v_cmp_gt_u64_e32 vcc, s[56:57], v[52:53]
	v_and_b32_sdwa v0, v1, s48 dst_sel:DWORD dst_unused:UNUSED_PAD src0_sel:BYTE_3 src1_sel:DWORD
                                        ; implicit-def: $vgpr2
	s_and_saveexec_b64 s[20:21], vcc
	s_xor_b64 s[78:79], exec, s[20:21]
	s_cbranch_execz .LBB6_14492
; %bb.14483:                            ;   in Loop: Header=BB6_12355 Depth=2
	v_mov_b32_e32 v2, 0
	v_cmp_ne_u32_e32 vcc, 0, v1
	s_and_saveexec_b64 s[88:89], vcc
	s_cbranch_execz .LBB6_14491
; %bb.14484:                            ;   in Loop: Header=BB6_12355 Depth=2
	v_and_b32_e32 v3, 0x7fffff, v1
	v_bfe_u32 v1, v1, 23, 8
	v_cmp_gt_u32_e64 s[20:21], s49, v1
	v_sub_u32_e32 v2, 0x79, v1
	v_cmp_eq_u32_e32 vcc, 0, v1
	v_cndmask_b32_e64 v2, 0, v2, s[20:21]
	v_mov_b32_e32 v5, 0x78
	v_or_b32_e32 v4, 0x800000, v3
	v_cndmask_b32_e32 v2, v2, v5, vcc
	v_cndmask_b32_e32 v52, v4, v3, vcc
	v_add_u32_e32 v3, 20, v2
	v_lshlrev_b64 v[3:4], v3, -1
	v_add_u32_e32 v5, 19, v2
	v_lshlrev_b64 v[5:6], v5, 1
	v_lshrrev_b64 v[16:17], v2, v[52:53]
	v_bfi_b32 v4, v4, 0, 0
	v_bfi_b32 v3, v3, 0, v52
	v_cmp_eq_u64_e64 s[20:21], v[3:4], v[5:6]
	v_mov_b32_e32 v18, v17
	v_mov_b32_e32 v17, v16
	s_and_saveexec_b64 s[90:91], s[20:21]
; %bb.14485:                            ;   in Loop: Header=BB6_12355 Depth=2
	v_bfe_u32 v3, v16, 20, 1
	v_add_co_u32_e64 v3, s[20:21], v16, v3
	v_add_co_u32_e64 v17, s[20:21], -1, v3
; %bb.14486:                            ;   in Loop: Header=BB6_12355 Depth=2
	s_or_b64 exec, exec, s[90:91]
	v_add_u32_e32 v1, 0xffffff81, v1
	v_mov_b32_e32 v3, 0xffffff82
	v_cndmask_b32_e32 v1, v1, v3, vcc
	v_lshrrev_b32_e32 v3, 23, v16
	v_add3_u32 v3, v2, v1, v3
	v_add_u32_e32 v2, 6, v3
	v_and_b32_e32 v1, 0xfffff, v17
	v_add_u32_e32 v52, v1, v16
	v_cmp_ne_u32_e32 vcc, 0, v2
                                        ; implicit-def: $vgpr16_vgpr17
                                        ; implicit-def: $vgpr1
	s_and_saveexec_b64 s[20:21], vcc
	s_xor_b64 s[20:21], exec, s[20:21]
; %bb.14487:                            ;   in Loop: Header=BB6_12355 Depth=2
	v_cmp_lt_u64_e32 vcc, s[58:59], v[52:53]
	v_add_u32_e32 v1, 7, v3
	v_cndmask_b32_e32 v1, v2, v1, vcc
	v_cndmask_b32_e64 v2, 0, 1, vcc
	v_lshrrev_b64 v[16:17], v2, v[52:53]
; %bb.14488:                            ;   in Loop: Header=BB6_12355 Depth=2
	s_andn2_saveexec_b64 s[20:21], s[20:21]
; %bb.14489:                            ;   in Loop: Header=BB6_12355 Depth=2
	v_mov_b32_e32 v16, v52
	v_bfe_u32 v1, v52, 23, 1
	v_mov_b32_e32 v17, v53
; %bb.14490:                            ;   in Loop: Header=BB6_12355 Depth=2
	s_or_b64 exec, exec, s[20:21]
	v_lshrrev_b64 v[2:3], 20, v[16:17]
	v_cmp_gt_i32_e32 vcc, 16, v1
	v_cndmask_b32_e32 v3, 0, v3, vcc
	v_cndmask_b32_e32 v2, 7, v2, vcc
	v_cmp_eq_u32_e32 vcc, 0, v1
	v_min_i32_e32 v1, 15, v1
	v_cmp_eq_u64_e64 s[20:21], 0, v[2:3]
	v_lshlrev_b32_e32 v1, 3, v1
	v_and_b32_e32 v1, 0xf8, v1
	v_and_or_b32 v1, v2, 7, v1
	s_and_b64 s[20:21], vcc, s[20:21]
	v_cndmask_b32_e64 v1, v1, 0, s[20:21]
	v_or_b32_e32 v2, v1, v0
.LBB6_14491:                            ;   in Loop: Header=BB6_12355 Depth=2
	s_or_b64 exec, exec, s[88:89]
                                        ; implicit-def: $vgpr0
.LBB6_14492:                            ;   in Loop: Header=BB6_12355 Depth=2
	s_andn2_saveexec_b64 s[20:21], s[78:79]
; %bb.14493:                            ;   in Loop: Header=BB6_12355 Depth=2
	v_or_b32_e32 v2, 0x7e, v0
; %bb.14494:                            ;   in Loop: Header=BB6_12355 Depth=2
	s_or_b64 exec, exec, s[20:21]
                                        ; implicit-def: $vgpr1
.LBB6_14495:                            ;   in Loop: Header=BB6_12355 Depth=2
	s_andn2_saveexec_b64 s[20:21], s[76:77]
; %bb.14496:                            ;   in Loop: Header=BB6_12355 Depth=2
	v_or_b32_sdwa v2, v1, s39 dst_sel:DWORD dst_unused:UNUSED_PAD src0_sel:BYTE_3 src1_sel:DWORD
; %bb.14497:                            ;   in Loop: Header=BB6_12355 Depth=2
	s_or_b64 exec, exec, s[20:21]
	v_lshrrev_b16_e32 v16, 8, v10
	v_cmp_ne_u16_e32 vcc, 0, v16
	v_mov_b32_e32 v0, 0
	s_and_saveexec_b64 s[20:21], vcc
	s_cbranch_execz .LBB6_14503
; %bb.14498:                            ;   in Loop: Header=BB6_12355 Depth=2
	v_cmp_ne_u16_e32 vcc, s48, v16
	v_bfrev_b32_e32 v0, 1
	s_and_saveexec_b64 s[76:77], vcc
	s_cbranch_execz .LBB6_14502
; %bb.14499:                            ;   in Loop: Header=BB6_12355 Depth=2
	v_and_b32_e32 v1, 0x7f, v16
	v_cmp_ne_u32_e32 vcc, s39, v1
	v_mov_b32_e32 v0, 0x7f800001
	s_and_saveexec_b64 s[78:79], vcc
	s_cbranch_execz .LBB6_14501
; %bb.14500:                            ;   in Loop: Header=BB6_12355 Depth=2
	v_and_b32_e32 v3, 7, v16
	v_ffbh_u32_e32 v0, v3
	v_min_u32_e32 v5, 32, v0
	v_subrev_u32_e32 v0, 28, v5
	v_lshrrev_b32_e32 v4, 3, v1
	v_cmp_gt_u32_e32 vcc, 8, v1
	v_lshlrev_b64 v[0:1], v0, v[16:17]
	v_sub_u32_e32 v1, 29, v5
	v_and_b32_e32 v0, 7, v0
	v_cndmask_b32_e32 v1, v4, v1, vcc
	v_cndmask_b32_e32 v0, v3, v0, vcc
	v_lshlrev_b32_e32 v3, 16, v10
	v_bfrev_b32_e32 v4, 60
	v_lshlrev_b32_e32 v0, 20, v0
	v_and_b32_e32 v3, 0x80000000, v3
	v_lshl_add_u32 v1, v1, 23, v4
	v_or3_b32 v0, v3, v1, v0
.LBB6_14501:                            ;   in Loop: Header=BB6_12355 Depth=2
	s_or_b64 exec, exec, s[78:79]
.LBB6_14502:                            ;   in Loop: Header=BB6_12355 Depth=2
	s_or_b64 exec, exec, s[76:77]
.LBB6_14503:                            ;   in Loop: Header=BB6_12355 Depth=2
	s_or_b64 exec, exec, s[20:21]
	v_mul_f32_e32 v3, v19, v0
	v_and_b32_e32 v52, 0x7f800000, v3
	v_cmp_ne_u64_e32 vcc, s[46:47], v[52:53]
                                        ; implicit-def: $vgpr1
	s_and_saveexec_b64 s[20:21], vcc
	s_xor_b64 s[76:77], exec, s[20:21]
	s_cbranch_execz .LBB6_14517
; %bb.14504:                            ;   in Loop: Header=BB6_12355 Depth=2
	v_and_b32_e32 v52, 0x7fffffff, v3
	v_cmp_gt_u64_e32 vcc, s[56:57], v[52:53]
	v_and_b32_sdwa v0, v3, s48 dst_sel:DWORD dst_unused:UNUSED_PAD src0_sel:BYTE_3 src1_sel:DWORD
                                        ; implicit-def: $vgpr1
	s_and_saveexec_b64 s[20:21], vcc
	s_xor_b64 s[78:79], exec, s[20:21]
	s_cbranch_execz .LBB6_14514
; %bb.14505:                            ;   in Loop: Header=BB6_12355 Depth=2
	v_mov_b32_e32 v1, 0
	v_cmp_ne_u32_e32 vcc, 0, v3
	s_and_saveexec_b64 s[88:89], vcc
	s_cbranch_execz .LBB6_14513
; %bb.14506:                            ;   in Loop: Header=BB6_12355 Depth=2
	v_bfe_u32 v1, v3, 23, 8
	v_and_b32_e32 v4, 0x7fffff, v3
	v_cmp_gt_u32_e64 s[20:21], s49, v1
	v_sub_u32_e32 v3, 0x79, v1
	v_cmp_eq_u32_e32 vcc, 0, v1
	v_cndmask_b32_e64 v3, 0, v3, s[20:21]
	v_mov_b32_e32 v6, 0x78
	v_or_b32_e32 v5, 0x800000, v4
	v_cndmask_b32_e32 v3, v3, v6, vcc
	v_cndmask_b32_e32 v52, v5, v4, vcc
	v_add_u32_e32 v4, 20, v3
	v_lshlrev_b64 v[4:5], v4, -1
	v_add_u32_e32 v6, 19, v3
	v_lshlrev_b64 v[6:7], v6, 1
	v_lshrrev_b64 v[16:17], v3, v[52:53]
	v_bfi_b32 v5, v5, 0, 0
	v_bfi_b32 v4, v4, 0, v52
	v_cmp_eq_u64_e64 s[20:21], v[4:5], v[6:7]
	v_mov_b32_e32 v18, v17
	v_mov_b32_e32 v17, v16
	s_and_saveexec_b64 s[90:91], s[20:21]
; %bb.14507:                            ;   in Loop: Header=BB6_12355 Depth=2
	v_bfe_u32 v4, v16, 20, 1
	v_add_co_u32_e64 v4, s[20:21], v16, v4
	v_add_co_u32_e64 v17, s[20:21], -1, v4
; %bb.14508:                            ;   in Loop: Header=BB6_12355 Depth=2
	s_or_b64 exec, exec, s[90:91]
	v_add_u32_e32 v1, 0xffffff81, v1
	v_mov_b32_e32 v4, 0xffffff82
	v_cndmask_b32_e32 v1, v1, v4, vcc
	v_lshrrev_b32_e32 v4, 23, v16
	v_add3_u32 v4, v3, v1, v4
	v_add_u32_e32 v3, 6, v4
	v_and_b32_e32 v1, 0xfffff, v17
	v_add_u32_e32 v52, v1, v16
	v_cmp_ne_u32_e32 vcc, 0, v3
                                        ; implicit-def: $vgpr16_vgpr17
                                        ; implicit-def: $vgpr1
	s_and_saveexec_b64 s[20:21], vcc
	s_xor_b64 s[20:21], exec, s[20:21]
; %bb.14509:                            ;   in Loop: Header=BB6_12355 Depth=2
	v_cmp_lt_u64_e32 vcc, s[58:59], v[52:53]
	v_add_u32_e32 v1, 7, v4
	v_cndmask_b32_e32 v1, v3, v1, vcc
	v_cndmask_b32_e64 v3, 0, 1, vcc
	v_lshrrev_b64 v[16:17], v3, v[52:53]
; %bb.14510:                            ;   in Loop: Header=BB6_12355 Depth=2
	s_andn2_saveexec_b64 s[20:21], s[20:21]
; %bb.14511:                            ;   in Loop: Header=BB6_12355 Depth=2
	v_mov_b32_e32 v16, v52
	v_bfe_u32 v1, v52, 23, 1
	v_mov_b32_e32 v17, v53
; %bb.14512:                            ;   in Loop: Header=BB6_12355 Depth=2
	s_or_b64 exec, exec, s[20:21]
	v_lshrrev_b64 v[3:4], 20, v[16:17]
	v_cmp_gt_i32_e32 vcc, 16, v1
	v_cndmask_b32_e32 v4, 0, v4, vcc
	v_cndmask_b32_e32 v3, 7, v3, vcc
	v_cmp_eq_u32_e32 vcc, 0, v1
	v_min_i32_e32 v1, 15, v1
	v_cmp_eq_u64_e64 s[20:21], 0, v[3:4]
	v_lshlrev_b32_e32 v1, 3, v1
	v_and_b32_e32 v1, 0xf8, v1
	v_and_or_b32 v1, v3, 7, v1
	s_and_b64 s[20:21], vcc, s[20:21]
	v_cndmask_b32_e64 v1, v1, 0, s[20:21]
	v_or_b32_e32 v1, v1, v0
.LBB6_14513:                            ;   in Loop: Header=BB6_12355 Depth=2
	s_or_b64 exec, exec, s[88:89]
                                        ; implicit-def: $vgpr0
.LBB6_14514:                            ;   in Loop: Header=BB6_12355 Depth=2
	s_andn2_saveexec_b64 s[20:21], s[78:79]
; %bb.14515:                            ;   in Loop: Header=BB6_12355 Depth=2
	v_or_b32_e32 v1, 0x7e, v0
; %bb.14516:                            ;   in Loop: Header=BB6_12355 Depth=2
	s_or_b64 exec, exec, s[20:21]
                                        ; implicit-def: $vgpr3
.LBB6_14517:                            ;   in Loop: Header=BB6_12355 Depth=2
	s_andn2_saveexec_b64 s[20:21], s[76:77]
; %bb.14518:                            ;   in Loop: Header=BB6_12355 Depth=2
	v_or_b32_sdwa v1, v3, s39 dst_sel:DWORD dst_unused:UNUSED_PAD src0_sel:BYTE_3 src1_sel:DWORD
; %bb.14519:                            ;   in Loop: Header=BB6_12355 Depth=2
	s_or_b64 exec, exec, s[20:21]
	v_lshrrev_b32_e32 v16, 16, v10
	v_cmp_ne_u16_sdwa s[76:77], v16, v53 src0_sel:BYTE_0 src1_sel:DWORD
	v_mov_b32_e32 v0, 0
	s_and_saveexec_b64 s[20:21], s[76:77]
	s_cbranch_execz .LBB6_14525
; %bb.14520:                            ;   in Loop: Header=BB6_12355 Depth=2
	v_cmp_ne_u16_sdwa s[78:79], v16, s48 src0_sel:BYTE_0 src1_sel:DWORD
	v_bfrev_b32_e32 v0, 1
	s_and_saveexec_b64 s[76:77], s[78:79]
	s_cbranch_execz .LBB6_14524
; %bb.14521:                            ;   in Loop: Header=BB6_12355 Depth=2
	v_bfe_u32 v3, v10, 16, 7
	v_cmp_ne_u32_e32 vcc, s39, v3
	v_mov_b32_e32 v0, 0x7f800001
	s_and_saveexec_b64 s[78:79], vcc
	s_cbranch_execz .LBB6_14523
; %bb.14522:                            ;   in Loop: Header=BB6_12355 Depth=2
	v_and_b32_e32 v0, 7, v16
	v_lshrrev_b32_e32 v5, 3, v3
	v_cmp_gt_u32_e32 vcc, 8, v3
	v_ffbh_u32_e32 v3, v0
	v_min_u32_e32 v6, 32, v3
	v_subrev_u32_e32 v3, 28, v6
	v_lshlrev_b64 v[3:4], v3, v[16:17]
	v_sub_u32_e32 v4, 29, v6
	v_and_b32_e32 v3, 7, v3
	v_cndmask_b32_e32 v4, v5, v4, vcc
	v_cndmask_b32_e32 v0, v0, v3, vcc
	v_lshlrev_b32_e32 v3, 24, v16
	v_bfrev_b32_e32 v5, 60
	v_lshlrev_b32_e32 v0, 20, v0
	v_and_b32_e32 v3, 0x80000000, v3
	v_lshl_add_u32 v4, v4, 23, v5
	v_or3_b32 v0, v3, v4, v0
.LBB6_14523:                            ;   in Loop: Header=BB6_12355 Depth=2
	s_or_b64 exec, exec, s[78:79]
.LBB6_14524:                            ;   in Loop: Header=BB6_12355 Depth=2
	s_or_b64 exec, exec, s[76:77]
.LBB6_14525:                            ;   in Loop: Header=BB6_12355 Depth=2
	s_or_b64 exec, exec, s[20:21]
	v_mul_f32_e32 v3, v19, v0
	v_and_b32_e32 v52, 0x7f800000, v3
	v_cmp_ne_u64_e32 vcc, s[46:47], v[52:53]
                                        ; implicit-def: $vgpr31
	s_and_saveexec_b64 s[20:21], vcc
	s_xor_b64 s[76:77], exec, s[20:21]
	s_cbranch_execz .LBB6_14539
; %bb.14526:                            ;   in Loop: Header=BB6_12355 Depth=2
	v_and_b32_e32 v52, 0x7fffffff, v3
	v_cmp_gt_u64_e32 vcc, s[56:57], v[52:53]
	v_and_b32_sdwa v0, v3, s48 dst_sel:DWORD dst_unused:UNUSED_PAD src0_sel:BYTE_3 src1_sel:DWORD
                                        ; implicit-def: $vgpr31
	s_and_saveexec_b64 s[20:21], vcc
	s_xor_b64 s[78:79], exec, s[20:21]
	s_cbranch_execz .LBB6_14536
; %bb.14527:                            ;   in Loop: Header=BB6_12355 Depth=2
	v_mov_b32_e32 v31, 0
	v_cmp_ne_u32_e32 vcc, 0, v3
	s_and_saveexec_b64 s[88:89], vcc
	s_cbranch_execz .LBB6_14535
; %bb.14528:                            ;   in Loop: Header=BB6_12355 Depth=2
	v_and_b32_e32 v5, 0x7fffff, v3
	v_bfe_u32 v3, v3, 23, 8
	v_cmp_gt_u32_e64 s[20:21], s49, v3
	v_sub_u32_e32 v4, 0x79, v3
	v_cmp_eq_u32_e32 vcc, 0, v3
	v_cndmask_b32_e64 v4, 0, v4, s[20:21]
	v_mov_b32_e32 v7, 0x78
	v_or_b32_e32 v6, 0x800000, v5
	v_cndmask_b32_e32 v4, v4, v7, vcc
	v_cndmask_b32_e32 v52, v6, v5, vcc
	v_add_u32_e32 v5, 20, v4
	v_lshlrev_b64 v[5:6], v5, -1
	v_add_u32_e32 v7, 19, v4
	v_lshlrev_b64 v[16:17], v7, 1
	v_bfi_b32 v6, v6, 0, 0
	v_bfi_b32 v5, v5, 0, v52
	v_cmp_eq_u64_e64 s[20:21], v[5:6], v[16:17]
	v_lshrrev_b64 v[16:17], v4, v[52:53]
	v_mov_b32_e32 v18, v17
	v_mov_b32_e32 v17, v16
	s_and_saveexec_b64 s[90:91], s[20:21]
; %bb.14529:                            ;   in Loop: Header=BB6_12355 Depth=2
	v_bfe_u32 v5, v16, 20, 1
	v_add_co_u32_e64 v5, s[20:21], v16, v5
	v_add_co_u32_e64 v17, s[20:21], -1, v5
; %bb.14530:                            ;   in Loop: Header=BB6_12355 Depth=2
	s_or_b64 exec, exec, s[90:91]
	v_add_u32_e32 v3, 0xffffff81, v3
	v_mov_b32_e32 v5, 0xffffff82
	v_cndmask_b32_e32 v3, v3, v5, vcc
	v_lshrrev_b32_e32 v5, 23, v16
	v_add3_u32 v5, v4, v3, v5
	v_add_u32_e32 v4, 6, v5
	v_and_b32_e32 v3, 0xfffff, v17
	v_add_u32_e32 v52, v3, v16
	v_cmp_ne_u32_e32 vcc, 0, v4
                                        ; implicit-def: $vgpr16_vgpr17
                                        ; implicit-def: $vgpr3
	s_and_saveexec_b64 s[20:21], vcc
	s_xor_b64 s[20:21], exec, s[20:21]
; %bb.14531:                            ;   in Loop: Header=BB6_12355 Depth=2
	v_cmp_lt_u64_e32 vcc, s[58:59], v[52:53]
	v_add_u32_e32 v3, 7, v5
	v_cndmask_b32_e32 v3, v4, v3, vcc
	v_cndmask_b32_e64 v4, 0, 1, vcc
	v_lshrrev_b64 v[16:17], v4, v[52:53]
; %bb.14532:                            ;   in Loop: Header=BB6_12355 Depth=2
	s_andn2_saveexec_b64 s[20:21], s[20:21]
; %bb.14533:                            ;   in Loop: Header=BB6_12355 Depth=2
	v_mov_b32_e32 v16, v52
	v_bfe_u32 v3, v52, 23, 1
	v_mov_b32_e32 v17, v53
; %bb.14534:                            ;   in Loop: Header=BB6_12355 Depth=2
	s_or_b64 exec, exec, s[20:21]
	v_lshrrev_b64 v[4:5], 20, v[16:17]
	v_cmp_gt_i32_e32 vcc, 16, v3
	v_cndmask_b32_e32 v5, 0, v5, vcc
	v_cndmask_b32_e32 v4, 7, v4, vcc
	v_cmp_eq_u32_e32 vcc, 0, v3
	v_min_i32_e32 v3, 15, v3
	v_cmp_eq_u64_e64 s[20:21], 0, v[4:5]
	v_lshlrev_b32_e32 v3, 3, v3
	v_and_b32_e32 v3, 0xf8, v3
	v_and_or_b32 v3, v4, 7, v3
	s_and_b64 s[20:21], vcc, s[20:21]
	v_cndmask_b32_e64 v3, v3, 0, s[20:21]
	v_or_b32_e32 v31, v3, v0
.LBB6_14535:                            ;   in Loop: Header=BB6_12355 Depth=2
	s_or_b64 exec, exec, s[88:89]
                                        ; implicit-def: $vgpr0
.LBB6_14536:                            ;   in Loop: Header=BB6_12355 Depth=2
	s_andn2_saveexec_b64 s[20:21], s[78:79]
; %bb.14537:                            ;   in Loop: Header=BB6_12355 Depth=2
	v_or_b32_e32 v31, 0x7e, v0
; %bb.14538:                            ;   in Loop: Header=BB6_12355 Depth=2
	s_or_b64 exec, exec, s[20:21]
                                        ; implicit-def: $vgpr3
.LBB6_14539:                            ;   in Loop: Header=BB6_12355 Depth=2
	s_andn2_saveexec_b64 s[20:21], s[76:77]
; %bb.14540:                            ;   in Loop: Header=BB6_12355 Depth=2
	v_or_b32_sdwa v31, v3, s39 dst_sel:DWORD dst_unused:UNUSED_PAD src0_sel:BYTE_3 src1_sel:DWORD
; %bb.14541:                            ;   in Loop: Header=BB6_12355 Depth=2
	s_or_b64 exec, exec, s[20:21]
	v_cmp_lt_u32_e32 vcc, s61, v10
	v_mov_b32_e32 v0, 0
	s_and_saveexec_b64 s[20:21], vcc
	s_cbranch_execz .LBB6_14547
; %bb.14542:                            ;   in Loop: Header=BB6_12355 Depth=2
	v_lshrrev_b32_e32 v16, 24, v10
	v_cmp_ne_u32_e32 vcc, s48, v16
	v_bfrev_b32_e32 v0, 1
	s_and_saveexec_b64 s[76:77], vcc
	s_cbranch_execz .LBB6_14546
; %bb.14543:                            ;   in Loop: Header=BB6_12355 Depth=2
	v_bfe_u32 v3, v10, 24, 7
	v_cmp_ne_u32_e32 vcc, s39, v3
	v_mov_b32_e32 v0, 0x7f800001
	s_and_saveexec_b64 s[78:79], vcc
	s_cbranch_execz .LBB6_14545
; %bb.14544:                            ;   in Loop: Header=BB6_12355 Depth=2
	v_and_b32_e32 v0, 7, v16
	v_lshrrev_b32_e32 v5, 3, v3
	v_cmp_gt_u32_e32 vcc, 8, v3
	v_ffbh_u32_e32 v3, v0
	v_min_u32_e32 v6, 32, v3
	v_subrev_u32_e32 v3, 28, v6
	v_lshlrev_b64 v[3:4], v3, v[16:17]
	v_sub_u32_e32 v4, 29, v6
	v_and_b32_e32 v3, 7, v3
	v_cndmask_b32_e32 v4, v5, v4, vcc
	v_cndmask_b32_e32 v0, v0, v3, vcc
	v_lshlrev_b32_e32 v3, 24, v16
	v_bfrev_b32_e32 v5, 60
	v_lshlrev_b32_e32 v0, 20, v0
	v_and_b32_e32 v3, 0x80000000, v3
	v_lshl_add_u32 v4, v4, 23, v5
	v_or3_b32 v0, v3, v4, v0
.LBB6_14545:                            ;   in Loop: Header=BB6_12355 Depth=2
	s_or_b64 exec, exec, s[78:79]
.LBB6_14546:                            ;   in Loop: Header=BB6_12355 Depth=2
	s_or_b64 exec, exec, s[76:77]
.LBB6_14547:                            ;   in Loop: Header=BB6_12355 Depth=2
	s_or_b64 exec, exec, s[20:21]
	v_mul_f32_e32 v3, v19, v0
	v_and_b32_e32 v52, 0x7f800000, v3
	v_cmp_ne_u64_e32 vcc, s[46:47], v[52:53]
                                        ; implicit-def: $vgpr34
	s_and_saveexec_b64 s[20:21], vcc
	s_xor_b64 s[76:77], exec, s[20:21]
	s_cbranch_execz .LBB6_14561
; %bb.14548:                            ;   in Loop: Header=BB6_12355 Depth=2
	v_and_b32_e32 v52, 0x7fffffff, v3
	v_cmp_gt_u64_e32 vcc, s[56:57], v[52:53]
	v_and_b32_sdwa v0, v3, s48 dst_sel:DWORD dst_unused:UNUSED_PAD src0_sel:BYTE_3 src1_sel:DWORD
                                        ; implicit-def: $vgpr34
	s_and_saveexec_b64 s[20:21], vcc
	s_xor_b64 s[78:79], exec, s[20:21]
	s_cbranch_execz .LBB6_14558
; %bb.14549:                            ;   in Loop: Header=BB6_12355 Depth=2
	v_mov_b32_e32 v34, 0
	v_cmp_ne_u32_e32 vcc, 0, v3
	s_and_saveexec_b64 s[88:89], vcc
	s_cbranch_execz .LBB6_14557
; %bb.14550:                            ;   in Loop: Header=BB6_12355 Depth=2
	v_and_b32_e32 v5, 0x7fffff, v3
	v_bfe_u32 v3, v3, 23, 8
	v_cmp_gt_u32_e64 s[20:21], s49, v3
	v_sub_u32_e32 v4, 0x79, v3
	v_cmp_eq_u32_e32 vcc, 0, v3
	v_cndmask_b32_e64 v4, 0, v4, s[20:21]
	v_mov_b32_e32 v7, 0x78
	v_or_b32_e32 v6, 0x800000, v5
	v_cndmask_b32_e32 v4, v4, v7, vcc
	v_cndmask_b32_e32 v52, v6, v5, vcc
	v_add_u32_e32 v5, 20, v4
	v_lshlrev_b64 v[5:6], v5, -1
	v_add_u32_e32 v7, 19, v4
	v_lshlrev_b64 v[16:17], v7, 1
	v_bfi_b32 v6, v6, 0, 0
	v_bfi_b32 v5, v5, 0, v52
	v_cmp_eq_u64_e64 s[20:21], v[5:6], v[16:17]
	v_lshrrev_b64 v[16:17], v4, v[52:53]
	v_mov_b32_e32 v18, v17
	v_mov_b32_e32 v17, v16
	s_and_saveexec_b64 s[90:91], s[20:21]
; %bb.14551:                            ;   in Loop: Header=BB6_12355 Depth=2
	v_bfe_u32 v5, v16, 20, 1
	v_add_co_u32_e64 v5, s[20:21], v16, v5
	v_add_co_u32_e64 v17, s[20:21], -1, v5
; %bb.14552:                            ;   in Loop: Header=BB6_12355 Depth=2
	s_or_b64 exec, exec, s[90:91]
	v_add_u32_e32 v3, 0xffffff81, v3
	v_mov_b32_e32 v5, 0xffffff82
	v_cndmask_b32_e32 v3, v3, v5, vcc
	v_lshrrev_b32_e32 v5, 23, v16
	v_add3_u32 v5, v4, v3, v5
	v_add_u32_e32 v4, 6, v5
	v_and_b32_e32 v3, 0xfffff, v17
	v_add_u32_e32 v52, v3, v16
	v_cmp_ne_u32_e32 vcc, 0, v4
                                        ; implicit-def: $vgpr16_vgpr17
                                        ; implicit-def: $vgpr3
	s_and_saveexec_b64 s[20:21], vcc
	s_xor_b64 s[20:21], exec, s[20:21]
; %bb.14553:                            ;   in Loop: Header=BB6_12355 Depth=2
	v_cmp_lt_u64_e32 vcc, s[58:59], v[52:53]
	v_add_u32_e32 v3, 7, v5
	v_cndmask_b32_e32 v3, v4, v3, vcc
	v_cndmask_b32_e64 v4, 0, 1, vcc
	v_lshrrev_b64 v[16:17], v4, v[52:53]
; %bb.14554:                            ;   in Loop: Header=BB6_12355 Depth=2
	s_andn2_saveexec_b64 s[20:21], s[20:21]
; %bb.14555:                            ;   in Loop: Header=BB6_12355 Depth=2
	v_mov_b32_e32 v16, v52
	v_bfe_u32 v3, v52, 23, 1
	v_mov_b32_e32 v17, v53
; %bb.14556:                            ;   in Loop: Header=BB6_12355 Depth=2
	s_or_b64 exec, exec, s[20:21]
	v_lshrrev_b64 v[4:5], 20, v[16:17]
	v_cmp_gt_i32_e32 vcc, 16, v3
	v_cndmask_b32_e32 v5, 0, v5, vcc
	v_cndmask_b32_e32 v4, 7, v4, vcc
	v_cmp_eq_u32_e32 vcc, 0, v3
	v_min_i32_e32 v3, 15, v3
	v_cmp_eq_u64_e64 s[20:21], 0, v[4:5]
	v_lshlrev_b32_e32 v3, 3, v3
	v_and_b32_e32 v3, 0xf8, v3
	v_and_or_b32 v3, v4, 7, v3
	s_and_b64 s[20:21], vcc, s[20:21]
	v_cndmask_b32_e64 v3, v3, 0, s[20:21]
	v_or_b32_e32 v34, v3, v0
.LBB6_14557:                            ;   in Loop: Header=BB6_12355 Depth=2
	s_or_b64 exec, exec, s[88:89]
                                        ; implicit-def: $vgpr0
.LBB6_14558:                            ;   in Loop: Header=BB6_12355 Depth=2
	s_andn2_saveexec_b64 s[20:21], s[78:79]
; %bb.14559:                            ;   in Loop: Header=BB6_12355 Depth=2
	v_or_b32_e32 v34, 0x7e, v0
; %bb.14560:                            ;   in Loop: Header=BB6_12355 Depth=2
	s_or_b64 exec, exec, s[20:21]
                                        ; implicit-def: $vgpr3
.LBB6_14561:                            ;   in Loop: Header=BB6_12355 Depth=2
	s_andn2_saveexec_b64 s[20:21], s[76:77]
; %bb.14562:                            ;   in Loop: Header=BB6_12355 Depth=2
	v_or_b32_sdwa v34, v3, s39 dst_sel:DWORD dst_unused:UNUSED_PAD src0_sel:BYTE_3 src1_sel:DWORD
; %bb.14563:                            ;   in Loop: Header=BB6_12355 Depth=2
	s_or_b64 exec, exec, s[20:21]
	v_mov_b32_e32 v52, v11
	v_cmp_ne_u16_sdwa s[76:77], v11, v53 src0_sel:BYTE_0 src1_sel:DWORD
	v_mov_b32_e32 v0, 0
	s_and_saveexec_b64 s[20:21], s[76:77]
	s_cbranch_execz .LBB6_14569
; %bb.14564:                            ;   in Loop: Header=BB6_12355 Depth=2
	v_cmp_ne_u16_sdwa s[78:79], v11, s48 src0_sel:BYTE_0 src1_sel:DWORD
	v_bfrev_b32_e32 v0, 1
	s_and_saveexec_b64 s[76:77], s[78:79]
	s_cbranch_execz .LBB6_14568
; %bb.14565:                            ;   in Loop: Header=BB6_12355 Depth=2
	v_and_b32_e32 v3, 0x7f, v11
	v_cmp_ne_u32_e32 vcc, s39, v3
	v_mov_b32_e32 v0, 0x7f800001
	s_and_saveexec_b64 s[78:79], vcc
	s_cbranch_execz .LBB6_14567
; %bb.14566:                            ;   in Loop: Header=BB6_12355 Depth=2
	v_and_b32_e32 v0, 7, v11
	v_ffbh_u32_e32 v0, v0
	v_min_u32_e32 v0, 32, v0
	v_lshrrev_b32_e32 v4, 3, v3
	v_cmp_gt_u32_e32 vcc, 8, v3
	v_subrev_u32_e32 v3, 28, v0
	v_sub_u32_e32 v0, 29, v0
	v_cndmask_b32_e32 v3, 0, v3, vcc
	v_cndmask_b32_e32 v0, v4, v0, vcc
	v_lshlrev_b64 v[3:4], v3, v[52:53]
	v_lshlrev_b32_e32 v4, 24, v52
	v_lshlrev_b32_e32 v3, 20, v3
	v_bfrev_b32_e32 v5, 60
	v_and_b32_e32 v3, 0x700000, v3
	v_and_b32_e32 v4, 0x80000000, v4
	v_lshl_add_u32 v0, v0, 23, v5
	v_or3_b32 v0, v4, v0, v3
.LBB6_14567:                            ;   in Loop: Header=BB6_12355 Depth=2
	s_or_b64 exec, exec, s[78:79]
.LBB6_14568:                            ;   in Loop: Header=BB6_12355 Depth=2
	s_or_b64 exec, exec, s[76:77]
.LBB6_14569:                            ;   in Loop: Header=BB6_12355 Depth=2
	s_or_b64 exec, exec, s[20:21]
	v_mul_f32_e32 v3, v19, v0
	v_and_b32_e32 v4, 0x7f800000, v3
	v_mov_b32_e32 v5, v53
	v_cmp_ne_u64_e32 vcc, s[46:47], v[4:5]
                                        ; implicit-def: $vgpr35
	s_and_saveexec_b64 s[20:21], vcc
	s_xor_b64 s[76:77], exec, s[20:21]
	s_cbranch_execz .LBB6_14583
; %bb.14570:                            ;   in Loop: Header=BB6_12355 Depth=2
	v_and_b32_e32 v4, 0x7fffffff, v3
	v_mov_b32_e32 v5, v53
	v_cmp_gt_u64_e32 vcc, s[56:57], v[4:5]
	v_and_b32_sdwa v0, v3, s48 dst_sel:DWORD dst_unused:UNUSED_PAD src0_sel:BYTE_3 src1_sel:DWORD
                                        ; implicit-def: $vgpr35
	s_and_saveexec_b64 s[20:21], vcc
	s_xor_b64 s[78:79], exec, s[20:21]
	s_cbranch_execz .LBB6_14580
; %bb.14571:                            ;   in Loop: Header=BB6_12355 Depth=2
	v_mov_b32_e32 v35, 0
	v_cmp_ne_u32_e32 vcc, 0, v3
	s_and_saveexec_b64 s[88:89], vcc
	s_cbranch_execz .LBB6_14579
; %bb.14572:                            ;   in Loop: Header=BB6_12355 Depth=2
	v_and_b32_e32 v5, 0x7fffff, v3
	v_bfe_u32 v3, v3, 23, 8
	v_cmp_gt_u32_e64 s[20:21], s49, v3
	v_sub_u32_e32 v4, 0x79, v3
	v_cmp_eq_u32_e32 vcc, 0, v3
	v_cndmask_b32_e64 v4, 0, v4, s[20:21]
	v_mov_b32_e32 v7, 0x78
	v_cndmask_b32_e32 v4, v4, v7, vcc
	v_add_u32_e32 v7, 20, v4
	v_or_b32_e32 v6, 0x800000, v5
	v_lshlrev_b64 v[16:17], v7, -1
	v_add_u32_e32 v7, 19, v4
	v_cndmask_b32_e32 v5, v6, v5, vcc
	v_lshlrev_b64 v[20:21], v7, 1
	v_mov_b32_e32 v6, v53
	v_bfi_b32 v17, v17, 0, 0
	v_bfi_b32 v16, v16, 0, v5
	v_cmp_eq_u64_e64 s[20:21], v[16:17], v[20:21]
	v_lshrrev_b64 v[16:17], v4, v[5:6]
	v_mov_b32_e32 v18, v17
	v_mov_b32_e32 v17, v16
	s_and_saveexec_b64 s[90:91], s[20:21]
; %bb.14573:                            ;   in Loop: Header=BB6_12355 Depth=2
	v_bfe_u32 v5, v16, 20, 1
	v_add_co_u32_e64 v5, s[20:21], v16, v5
	v_add_co_u32_e64 v17, s[20:21], -1, v5
; %bb.14574:                            ;   in Loop: Header=BB6_12355 Depth=2
	s_or_b64 exec, exec, s[90:91]
	v_add_u32_e32 v3, 0xffffff81, v3
	v_mov_b32_e32 v5, 0xffffff82
	v_cndmask_b32_e32 v3, v3, v5, vcc
	v_lshrrev_b32_e32 v5, 23, v16
	v_add3_u32 v5, v4, v3, v5
	v_add_u32_e32 v4, 6, v5
	v_and_b32_e32 v3, 0xfffff, v17
	v_add_u32_e32 v16, v3, v16
	v_mov_b32_e32 v17, v53
	v_cmp_ne_u32_e32 vcc, 0, v4
                                        ; implicit-def: $vgpr3
	s_and_saveexec_b64 s[20:21], vcc
	s_xor_b64 s[20:21], exec, s[20:21]
; %bb.14575:                            ;   in Loop: Header=BB6_12355 Depth=2
	v_cmp_lt_u64_e32 vcc, s[58:59], v[16:17]
	v_add_u32_e32 v3, 7, v5
	v_cndmask_b32_e32 v3, v4, v3, vcc
	v_cndmask_b32_e64 v4, 0, 1, vcc
	v_lshrrev_b64 v[16:17], v4, v[16:17]
; %bb.14576:                            ;   in Loop: Header=BB6_12355 Depth=2
	s_andn2_saveexec_b64 s[20:21], s[20:21]
; %bb.14577:                            ;   in Loop: Header=BB6_12355 Depth=2
	v_bfe_u32 v3, v16, 23, 1
; %bb.14578:                            ;   in Loop: Header=BB6_12355 Depth=2
	s_or_b64 exec, exec, s[20:21]
	v_lshrrev_b64 v[4:5], 20, v[16:17]
	v_cmp_gt_i32_e32 vcc, 16, v3
	v_cndmask_b32_e32 v5, 0, v5, vcc
	v_cndmask_b32_e32 v4, 7, v4, vcc
	v_cmp_eq_u32_e32 vcc, 0, v3
	v_min_i32_e32 v3, 15, v3
	v_cmp_eq_u64_e64 s[20:21], 0, v[4:5]
	v_lshlrev_b32_e32 v3, 3, v3
	v_and_b32_e32 v3, 0xf8, v3
	v_and_or_b32 v3, v4, 7, v3
	s_and_b64 s[20:21], vcc, s[20:21]
	v_cndmask_b32_e64 v3, v3, 0, s[20:21]
	v_or_b32_e32 v35, v3, v0
.LBB6_14579:                            ;   in Loop: Header=BB6_12355 Depth=2
	s_or_b64 exec, exec, s[88:89]
                                        ; implicit-def: $vgpr0
.LBB6_14580:                            ;   in Loop: Header=BB6_12355 Depth=2
	s_andn2_saveexec_b64 s[20:21], s[78:79]
; %bb.14581:                            ;   in Loop: Header=BB6_12355 Depth=2
	v_or_b32_e32 v35, 0x7e, v0
; %bb.14582:                            ;   in Loop: Header=BB6_12355 Depth=2
	s_or_b64 exec, exec, s[20:21]
                                        ; implicit-def: $vgpr3
.LBB6_14583:                            ;   in Loop: Header=BB6_12355 Depth=2
	s_andn2_saveexec_b64 s[20:21], s[76:77]
; %bb.14584:                            ;   in Loop: Header=BB6_12355 Depth=2
	v_or_b32_sdwa v35, v3, s39 dst_sel:DWORD dst_unused:UNUSED_PAD src0_sel:BYTE_3 src1_sel:DWORD
; %bb.14585:                            ;   in Loop: Header=BB6_12355 Depth=2
	s_or_b64 exec, exec, s[20:21]
	v_lshrrev_b16_e32 v16, 8, v52
	v_cmp_ne_u16_e32 vcc, 0, v16
	v_mov_b32_e32 v0, 0
	s_and_saveexec_b64 s[20:21], vcc
	s_cbranch_execz .LBB6_14591
; %bb.14586:                            ;   in Loop: Header=BB6_12355 Depth=2
	v_cmp_ne_u16_e32 vcc, s48, v16
	v_bfrev_b32_e32 v0, 1
	s_and_saveexec_b64 s[76:77], vcc
	s_cbranch_execz .LBB6_14590
; %bb.14587:                            ;   in Loop: Header=BB6_12355 Depth=2
	v_and_b32_e32 v3, 0x7f, v16
	v_cmp_ne_u32_e32 vcc, s39, v3
	v_mov_b32_e32 v0, 0x7f800001
	s_and_saveexec_b64 s[78:79], vcc
	s_cbranch_execz .LBB6_14589
; %bb.14588:                            ;   in Loop: Header=BB6_12355 Depth=2
	v_and_b32_e32 v0, 7, v16
	v_lshrrev_b32_e32 v5, 3, v3
	v_cmp_gt_u32_e32 vcc, 8, v3
	v_ffbh_u32_e32 v3, v0
	v_min_u32_e32 v6, 32, v3
	v_subrev_u32_e32 v3, 28, v6
	v_lshlrev_b64 v[3:4], v3, v[16:17]
	v_sub_u32_e32 v4, 29, v6
	v_and_b32_e32 v3, 7, v3
	v_cndmask_b32_e32 v4, v5, v4, vcc
	v_cndmask_b32_e32 v0, v0, v3, vcc
	v_lshlrev_b32_e32 v3, 16, v52
	v_bfrev_b32_e32 v5, 60
	v_lshlrev_b32_e32 v0, 20, v0
	v_and_b32_e32 v3, 0x80000000, v3
	v_lshl_add_u32 v4, v4, 23, v5
	v_or3_b32 v0, v3, v4, v0
.LBB6_14589:                            ;   in Loop: Header=BB6_12355 Depth=2
	s_or_b64 exec, exec, s[78:79]
.LBB6_14590:                            ;   in Loop: Header=BB6_12355 Depth=2
	s_or_b64 exec, exec, s[76:77]
.LBB6_14591:                            ;   in Loop: Header=BB6_12355 Depth=2
	s_or_b64 exec, exec, s[20:21]
	v_mul_f32_e32 v3, v19, v0
	v_and_b32_e32 v52, 0x7f800000, v3
	v_cmp_ne_u64_e32 vcc, s[46:47], v[52:53]
                                        ; implicit-def: $vgpr20
	s_and_saveexec_b64 s[20:21], vcc
	s_xor_b64 s[76:77], exec, s[20:21]
	s_cbranch_execz .LBB6_14605
; %bb.14592:                            ;   in Loop: Header=BB6_12355 Depth=2
	v_and_b32_e32 v52, 0x7fffffff, v3
	v_cmp_gt_u64_e32 vcc, s[56:57], v[52:53]
	v_and_b32_sdwa v0, v3, s48 dst_sel:DWORD dst_unused:UNUSED_PAD src0_sel:BYTE_3 src1_sel:DWORD
                                        ; implicit-def: $vgpr20
	s_and_saveexec_b64 s[20:21], vcc
	s_xor_b64 s[78:79], exec, s[20:21]
	s_cbranch_execz .LBB6_14602
; %bb.14593:                            ;   in Loop: Header=BB6_12355 Depth=2
	v_mov_b32_e32 v20, 0
	v_cmp_ne_u32_e32 vcc, 0, v3
	s_and_saveexec_b64 s[88:89], vcc
	s_cbranch_execz .LBB6_14601
; %bb.14594:                            ;   in Loop: Header=BB6_12355 Depth=2
	v_and_b32_e32 v5, 0x7fffff, v3
	v_bfe_u32 v3, v3, 23, 8
	v_cmp_gt_u32_e64 s[20:21], s49, v3
	v_sub_u32_e32 v4, 0x79, v3
	v_cmp_eq_u32_e32 vcc, 0, v3
	v_cndmask_b32_e64 v4, 0, v4, s[20:21]
	v_mov_b32_e32 v7, 0x78
	v_or_b32_e32 v6, 0x800000, v5
	v_cndmask_b32_e32 v4, v4, v7, vcc
	v_cndmask_b32_e32 v52, v6, v5, vcc
	v_add_u32_e32 v5, 20, v4
	v_lshlrev_b64 v[5:6], v5, -1
	v_add_u32_e32 v7, 19, v4
	v_lshlrev_b64 v[16:17], v7, 1
	v_bfi_b32 v6, v6, 0, 0
	v_bfi_b32 v5, v5, 0, v52
	v_cmp_eq_u64_e64 s[20:21], v[5:6], v[16:17]
	v_lshrrev_b64 v[16:17], v4, v[52:53]
	v_mov_b32_e32 v18, v17
	v_mov_b32_e32 v17, v16
	s_and_saveexec_b64 s[90:91], s[20:21]
; %bb.14595:                            ;   in Loop: Header=BB6_12355 Depth=2
	v_bfe_u32 v5, v16, 20, 1
	v_add_co_u32_e64 v5, s[20:21], v16, v5
	v_add_co_u32_e64 v17, s[20:21], -1, v5
; %bb.14596:                            ;   in Loop: Header=BB6_12355 Depth=2
	s_or_b64 exec, exec, s[90:91]
	v_add_u32_e32 v3, 0xffffff81, v3
	v_mov_b32_e32 v5, 0xffffff82
	v_cndmask_b32_e32 v3, v3, v5, vcc
	v_lshrrev_b32_e32 v5, 23, v16
	v_add3_u32 v5, v4, v3, v5
	v_add_u32_e32 v4, 6, v5
	v_and_b32_e32 v3, 0xfffff, v17
	v_add_u32_e32 v52, v3, v16
	v_cmp_ne_u32_e32 vcc, 0, v4
                                        ; implicit-def: $vgpr16_vgpr17
                                        ; implicit-def: $vgpr3
	s_and_saveexec_b64 s[20:21], vcc
	s_xor_b64 s[20:21], exec, s[20:21]
; %bb.14597:                            ;   in Loop: Header=BB6_12355 Depth=2
	v_cmp_lt_u64_e32 vcc, s[58:59], v[52:53]
	v_add_u32_e32 v3, 7, v5
	v_cndmask_b32_e32 v3, v4, v3, vcc
	v_cndmask_b32_e64 v4, 0, 1, vcc
	v_lshrrev_b64 v[16:17], v4, v[52:53]
; %bb.14598:                            ;   in Loop: Header=BB6_12355 Depth=2
	s_andn2_saveexec_b64 s[20:21], s[20:21]
; %bb.14599:                            ;   in Loop: Header=BB6_12355 Depth=2
	v_mov_b32_e32 v16, v52
	v_bfe_u32 v3, v52, 23, 1
	v_mov_b32_e32 v17, v53
; %bb.14600:                            ;   in Loop: Header=BB6_12355 Depth=2
	s_or_b64 exec, exec, s[20:21]
	v_lshrrev_b64 v[4:5], 20, v[16:17]
	v_cmp_gt_i32_e32 vcc, 16, v3
	v_cndmask_b32_e32 v5, 0, v5, vcc
	v_cndmask_b32_e32 v4, 7, v4, vcc
	v_cmp_eq_u32_e32 vcc, 0, v3
	v_min_i32_e32 v3, 15, v3
	v_cmp_eq_u64_e64 s[20:21], 0, v[4:5]
	v_lshlrev_b32_e32 v3, 3, v3
	v_and_b32_e32 v3, 0xf8, v3
	v_and_or_b32 v3, v4, 7, v3
	s_and_b64 s[20:21], vcc, s[20:21]
	v_cndmask_b32_e64 v3, v3, 0, s[20:21]
	v_or_b32_e32 v20, v3, v0
.LBB6_14601:                            ;   in Loop: Header=BB6_12355 Depth=2
	s_or_b64 exec, exec, s[88:89]
                                        ; implicit-def: $vgpr0
.LBB6_14602:                            ;   in Loop: Header=BB6_12355 Depth=2
	s_andn2_saveexec_b64 s[20:21], s[78:79]
; %bb.14603:                            ;   in Loop: Header=BB6_12355 Depth=2
	v_or_b32_e32 v20, 0x7e, v0
; %bb.14604:                            ;   in Loop: Header=BB6_12355 Depth=2
	s_or_b64 exec, exec, s[20:21]
                                        ; implicit-def: $vgpr3
.LBB6_14605:                            ;   in Loop: Header=BB6_12355 Depth=2
	s_andn2_saveexec_b64 s[20:21], s[76:77]
; %bb.14606:                            ;   in Loop: Header=BB6_12355 Depth=2
	v_or_b32_sdwa v20, v3, s39 dst_sel:DWORD dst_unused:UNUSED_PAD src0_sel:BYTE_3 src1_sel:DWORD
; %bb.14607:                            ;   in Loop: Header=BB6_12355 Depth=2
	s_or_b64 exec, exec, s[20:21]
	v_lshrrev_b32_e32 v16, 16, v11
	v_cmp_ne_u16_sdwa s[76:77], v16, v53 src0_sel:BYTE_0 src1_sel:DWORD
	v_mov_b32_e32 v0, 0
	s_and_saveexec_b64 s[20:21], s[76:77]
	s_cbranch_execz .LBB6_14613
; %bb.14608:                            ;   in Loop: Header=BB6_12355 Depth=2
	v_cmp_ne_u16_sdwa s[78:79], v16, s48 src0_sel:BYTE_0 src1_sel:DWORD
	v_bfrev_b32_e32 v0, 1
	s_and_saveexec_b64 s[76:77], s[78:79]
	s_cbranch_execz .LBB6_14612
; %bb.14609:                            ;   in Loop: Header=BB6_12355 Depth=2
	v_bfe_u32 v3, v11, 16, 7
	v_cmp_ne_u32_e32 vcc, s39, v3
	v_mov_b32_e32 v0, 0x7f800001
	s_and_saveexec_b64 s[78:79], vcc
	s_cbranch_execz .LBB6_14611
; %bb.14610:                            ;   in Loop: Header=BB6_12355 Depth=2
	v_and_b32_e32 v0, 7, v16
	v_lshrrev_b32_e32 v5, 3, v3
	v_cmp_gt_u32_e32 vcc, 8, v3
	v_ffbh_u32_e32 v3, v0
	v_min_u32_e32 v6, 32, v3
	v_subrev_u32_e32 v3, 28, v6
	v_lshlrev_b64 v[3:4], v3, v[16:17]
	v_sub_u32_e32 v4, 29, v6
	v_and_b32_e32 v3, 7, v3
	v_cndmask_b32_e32 v4, v5, v4, vcc
	v_cndmask_b32_e32 v0, v0, v3, vcc
	v_lshlrev_b32_e32 v3, 24, v16
	v_bfrev_b32_e32 v5, 60
	v_lshlrev_b32_e32 v0, 20, v0
	v_and_b32_e32 v3, 0x80000000, v3
	v_lshl_add_u32 v4, v4, 23, v5
	v_or3_b32 v0, v3, v4, v0
.LBB6_14611:                            ;   in Loop: Header=BB6_12355 Depth=2
	s_or_b64 exec, exec, s[78:79]
.LBB6_14612:                            ;   in Loop: Header=BB6_12355 Depth=2
	s_or_b64 exec, exec, s[76:77]
.LBB6_14613:                            ;   in Loop: Header=BB6_12355 Depth=2
	s_or_b64 exec, exec, s[20:21]
	v_mul_f32_e32 v3, v19, v0
	v_and_b32_e32 v52, 0x7f800000, v3
	v_cmp_ne_u64_e32 vcc, s[46:47], v[52:53]
                                        ; implicit-def: $vgpr18
	s_and_saveexec_b64 s[20:21], vcc
	s_xor_b64 s[76:77], exec, s[20:21]
	s_cbranch_execz .LBB6_14627
; %bb.14614:                            ;   in Loop: Header=BB6_12355 Depth=2
	v_and_b32_e32 v52, 0x7fffffff, v3
	v_cmp_gt_u64_e32 vcc, s[56:57], v[52:53]
	v_and_b32_sdwa v0, v3, s48 dst_sel:DWORD dst_unused:UNUSED_PAD src0_sel:BYTE_3 src1_sel:DWORD
                                        ; implicit-def: $vgpr18
	s_and_saveexec_b64 s[20:21], vcc
	s_xor_b64 s[78:79], exec, s[20:21]
	s_cbranch_execz .LBB6_14624
; %bb.14615:                            ;   in Loop: Header=BB6_12355 Depth=2
	v_mov_b32_e32 v18, 0
	v_cmp_ne_u32_e32 vcc, 0, v3
	s_and_saveexec_b64 s[88:89], vcc
	s_cbranch_execz .LBB6_14623
; %bb.14616:                            ;   in Loop: Header=BB6_12355 Depth=2
	v_and_b32_e32 v5, 0x7fffff, v3
	v_bfe_u32 v3, v3, 23, 8
	v_cmp_gt_u32_e64 s[20:21], s49, v3
	v_sub_u32_e32 v4, 0x79, v3
	v_cmp_eq_u32_e32 vcc, 0, v3
	v_cndmask_b32_e64 v4, 0, v4, s[20:21]
	v_mov_b32_e32 v7, 0x78
	v_or_b32_e32 v6, 0x800000, v5
	v_cndmask_b32_e32 v4, v4, v7, vcc
	v_cndmask_b32_e32 v52, v6, v5, vcc
	v_add_u32_e32 v5, 20, v4
	v_lshlrev_b64 v[5:6], v5, -1
	v_add_u32_e32 v7, 19, v4
	v_lshlrev_b64 v[16:17], v7, 1
	v_bfi_b32 v6, v6, 0, 0
	v_bfi_b32 v5, v5, 0, v52
	v_cmp_eq_u64_e64 s[20:21], v[5:6], v[16:17]
	v_lshrrev_b64 v[16:17], v4, v[52:53]
	v_mov_b32_e32 v18, v17
	v_mov_b32_e32 v17, v16
	s_and_saveexec_b64 s[90:91], s[20:21]
; %bb.14617:                            ;   in Loop: Header=BB6_12355 Depth=2
	v_bfe_u32 v5, v16, 20, 1
	v_add_co_u32_e64 v5, s[20:21], v16, v5
	v_add_co_u32_e64 v17, s[20:21], -1, v5
; %bb.14618:                            ;   in Loop: Header=BB6_12355 Depth=2
	s_or_b64 exec, exec, s[90:91]
	v_add_u32_e32 v3, 0xffffff81, v3
	v_mov_b32_e32 v5, 0xffffff82
	v_cndmask_b32_e32 v3, v3, v5, vcc
	v_lshrrev_b32_e32 v5, 23, v16
	v_add3_u32 v5, v4, v3, v5
	v_add_u32_e32 v4, 6, v5
	v_and_b32_e32 v3, 0xfffff, v17
	v_add_u32_e32 v52, v3, v16
	v_cmp_ne_u32_e32 vcc, 0, v4
                                        ; implicit-def: $vgpr16_vgpr17
                                        ; implicit-def: $vgpr3
	s_and_saveexec_b64 s[20:21], vcc
	s_xor_b64 s[20:21], exec, s[20:21]
; %bb.14619:                            ;   in Loop: Header=BB6_12355 Depth=2
	v_cmp_lt_u64_e32 vcc, s[58:59], v[52:53]
	v_add_u32_e32 v3, 7, v5
	v_cndmask_b32_e32 v3, v4, v3, vcc
	v_cndmask_b32_e64 v4, 0, 1, vcc
	v_lshrrev_b64 v[16:17], v4, v[52:53]
; %bb.14620:                            ;   in Loop: Header=BB6_12355 Depth=2
	s_andn2_saveexec_b64 s[20:21], s[20:21]
; %bb.14621:                            ;   in Loop: Header=BB6_12355 Depth=2
	v_mov_b32_e32 v16, v52
	v_bfe_u32 v3, v52, 23, 1
	v_mov_b32_e32 v17, v53
; %bb.14622:                            ;   in Loop: Header=BB6_12355 Depth=2
	s_or_b64 exec, exec, s[20:21]
	v_lshrrev_b64 v[4:5], 20, v[16:17]
	v_cmp_gt_i32_e32 vcc, 16, v3
	v_cndmask_b32_e32 v5, 0, v5, vcc
	v_cndmask_b32_e32 v4, 7, v4, vcc
	v_cmp_eq_u32_e32 vcc, 0, v3
	v_min_i32_e32 v3, 15, v3
	v_cmp_eq_u64_e64 s[20:21], 0, v[4:5]
	v_lshlrev_b32_e32 v3, 3, v3
	v_and_b32_e32 v3, 0xf8, v3
	v_and_or_b32 v3, v4, 7, v3
	s_and_b64 s[20:21], vcc, s[20:21]
	v_cndmask_b32_e64 v3, v3, 0, s[20:21]
	v_or_b32_e32 v18, v3, v0
.LBB6_14623:                            ;   in Loop: Header=BB6_12355 Depth=2
	s_or_b64 exec, exec, s[88:89]
                                        ; implicit-def: $vgpr0
.LBB6_14624:                            ;   in Loop: Header=BB6_12355 Depth=2
	s_andn2_saveexec_b64 s[20:21], s[78:79]
; %bb.14625:                            ;   in Loop: Header=BB6_12355 Depth=2
	v_or_b32_e32 v18, 0x7e, v0
; %bb.14626:                            ;   in Loop: Header=BB6_12355 Depth=2
	s_or_b64 exec, exec, s[20:21]
                                        ; implicit-def: $vgpr3
.LBB6_14627:                            ;   in Loop: Header=BB6_12355 Depth=2
	s_andn2_saveexec_b64 s[20:21], s[76:77]
; %bb.14628:                            ;   in Loop: Header=BB6_12355 Depth=2
	v_or_b32_sdwa v18, v3, s39 dst_sel:DWORD dst_unused:UNUSED_PAD src0_sel:BYTE_3 src1_sel:DWORD
; %bb.14629:                            ;   in Loop: Header=BB6_12355 Depth=2
	s_or_b64 exec, exec, s[20:21]
	v_cmp_lt_u64_e32 vcc, s[60:61], v[10:11]
	v_mov_b32_e32 v0, 0
	s_and_saveexec_b64 s[20:21], vcc
	s_cbranch_execz .LBB6_14635
; %bb.14630:                            ;   in Loop: Header=BB6_12355 Depth=2
	v_lshrrev_b32_e32 v10, 24, v11
	v_cmp_ne_u32_e32 vcc, s48, v10
	v_bfrev_b32_e32 v0, 1
	s_and_saveexec_b64 s[76:77], vcc
	s_cbranch_execz .LBB6_14634
; %bb.14631:                            ;   in Loop: Header=BB6_12355 Depth=2
	v_bfe_u32 v3, v11, 24, 7
	v_cmp_ne_u32_e32 vcc, s39, v3
	v_mov_b32_e32 v0, 0x7f800001
	s_and_saveexec_b64 s[78:79], vcc
	s_cbranch_execz .LBB6_14633
; %bb.14632:                            ;   in Loop: Header=BB6_12355 Depth=2
	v_and_b32_e32 v0, 7, v10
	v_lshrrev_b32_e32 v5, 3, v3
	v_cmp_gt_u32_e32 vcc, 8, v3
	v_ffbh_u32_e32 v3, v0
	v_min_u32_e32 v6, 32, v3
	v_subrev_u32_e32 v3, 28, v6
	v_lshlrev_b64 v[3:4], v3, v[10:11]
	v_sub_u32_e32 v4, 29, v6
	v_and_b32_e32 v3, 7, v3
	v_cndmask_b32_e32 v4, v5, v4, vcc
	v_cndmask_b32_e32 v0, v0, v3, vcc
	v_lshlrev_b32_e32 v3, 24, v10
	v_bfrev_b32_e32 v5, 60
	v_lshlrev_b32_e32 v0, 20, v0
	v_and_b32_e32 v3, 0x80000000, v3
	v_lshl_add_u32 v4, v4, 23, v5
	v_or3_b32 v0, v3, v4, v0
.LBB6_14633:                            ;   in Loop: Header=BB6_12355 Depth=2
	s_or_b64 exec, exec, s[78:79]
.LBB6_14634:                            ;   in Loop: Header=BB6_12355 Depth=2
	s_or_b64 exec, exec, s[76:77]
.LBB6_14635:                            ;   in Loop: Header=BB6_12355 Depth=2
	s_or_b64 exec, exec, s[20:21]
	v_mul_f32_e32 v3, v19, v0
	v_and_b32_e32 v52, 0x7f800000, v3
	v_cmp_ne_u64_e32 vcc, s[46:47], v[52:53]
                                        ; implicit-def: $vgpr21
	s_and_saveexec_b64 s[20:21], vcc
	s_xor_b64 s[76:77], exec, s[20:21]
	s_cbranch_execz .LBB6_14649
; %bb.14636:                            ;   in Loop: Header=BB6_12355 Depth=2
	v_and_b32_e32 v52, 0x7fffffff, v3
	v_cmp_gt_u64_e32 vcc, s[56:57], v[52:53]
	v_and_b32_sdwa v0, v3, s48 dst_sel:DWORD dst_unused:UNUSED_PAD src0_sel:BYTE_3 src1_sel:DWORD
                                        ; implicit-def: $vgpr21
	s_and_saveexec_b64 s[20:21], vcc
	s_xor_b64 s[78:79], exec, s[20:21]
	s_cbranch_execz .LBB6_14646
; %bb.14637:                            ;   in Loop: Header=BB6_12355 Depth=2
	v_mov_b32_e32 v21, 0
	v_cmp_ne_u32_e32 vcc, 0, v3
	s_and_saveexec_b64 s[88:89], vcc
	s_cbranch_execz .LBB6_14645
; %bb.14638:                            ;   in Loop: Header=BB6_12355 Depth=2
	v_and_b32_e32 v5, 0x7fffff, v3
	v_bfe_u32 v3, v3, 23, 8
	v_cmp_gt_u32_e64 s[20:21], s49, v3
	v_sub_u32_e32 v4, 0x79, v3
	v_cmp_eq_u32_e32 vcc, 0, v3
	v_cndmask_b32_e64 v4, 0, v4, s[20:21]
	v_mov_b32_e32 v7, 0x78
	v_or_b32_e32 v6, 0x800000, v5
	v_cndmask_b32_e32 v4, v4, v7, vcc
	v_cndmask_b32_e32 v52, v6, v5, vcc
	v_add_u32_e32 v5, 20, v4
	v_lshlrev_b64 v[5:6], v5, -1
	v_add_u32_e32 v7, 19, v4
	v_lshlrev_b64 v[10:11], v7, 1
	v_bfi_b32 v6, v6, 0, 0
	v_bfi_b32 v5, v5, 0, v52
	v_cmp_eq_u64_e64 s[20:21], v[5:6], v[10:11]
	v_lshrrev_b64 v[10:11], v4, v[52:53]
	v_mov_b32_e32 v17, v11
	v_mov_b32_e32 v16, v10
	s_and_saveexec_b64 s[90:91], s[20:21]
; %bb.14639:                            ;   in Loop: Header=BB6_12355 Depth=2
	v_bfe_u32 v5, v10, 20, 1
	v_add_co_u32_e64 v5, s[20:21], v10, v5
	v_add_co_u32_e64 v16, s[20:21], -1, v5
; %bb.14640:                            ;   in Loop: Header=BB6_12355 Depth=2
	s_or_b64 exec, exec, s[90:91]
	v_add_u32_e32 v3, 0xffffff81, v3
	v_mov_b32_e32 v5, 0xffffff82
	v_cndmask_b32_e32 v3, v3, v5, vcc
	v_lshrrev_b32_e32 v5, 23, v10
	v_add3_u32 v5, v4, v3, v5
	v_add_u32_e32 v4, 6, v5
	v_and_b32_e32 v3, 0xfffff, v16
	v_add_u32_e32 v52, v3, v10
	v_cmp_ne_u32_e32 vcc, 0, v4
                                        ; implicit-def: $vgpr10_vgpr11
                                        ; implicit-def: $vgpr3
	s_and_saveexec_b64 s[20:21], vcc
	s_xor_b64 s[20:21], exec, s[20:21]
; %bb.14641:                            ;   in Loop: Header=BB6_12355 Depth=2
	v_cmp_lt_u64_e32 vcc, s[58:59], v[52:53]
	v_add_u32_e32 v3, 7, v5
	v_cndmask_b32_e32 v3, v4, v3, vcc
	v_cndmask_b32_e64 v4, 0, 1, vcc
	v_lshrrev_b64 v[10:11], v4, v[52:53]
; %bb.14642:                            ;   in Loop: Header=BB6_12355 Depth=2
	s_andn2_saveexec_b64 s[20:21], s[20:21]
; %bb.14643:                            ;   in Loop: Header=BB6_12355 Depth=2
	v_mov_b32_e32 v10, v52
	v_bfe_u32 v3, v52, 23, 1
	v_mov_b32_e32 v11, v53
; %bb.14644:                            ;   in Loop: Header=BB6_12355 Depth=2
	s_or_b64 exec, exec, s[20:21]
	v_lshrrev_b64 v[4:5], 20, v[10:11]
	v_cmp_gt_i32_e32 vcc, 16, v3
	v_cndmask_b32_e32 v5, 0, v5, vcc
	v_cndmask_b32_e32 v4, 7, v4, vcc
	v_cmp_eq_u32_e32 vcc, 0, v3
	v_min_i32_e32 v3, 15, v3
	v_cmp_eq_u64_e64 s[20:21], 0, v[4:5]
	v_lshlrev_b32_e32 v3, 3, v3
	v_and_b32_e32 v3, 0xf8, v3
	v_and_or_b32 v3, v4, 7, v3
	s_and_b64 s[20:21], vcc, s[20:21]
	v_cndmask_b32_e64 v3, v3, 0, s[20:21]
	v_or_b32_e32 v21, v3, v0
.LBB6_14645:                            ;   in Loop: Header=BB6_12355 Depth=2
	s_or_b64 exec, exec, s[88:89]
                                        ; implicit-def: $vgpr0
.LBB6_14646:                            ;   in Loop: Header=BB6_12355 Depth=2
	s_andn2_saveexec_b64 s[20:21], s[78:79]
; %bb.14647:                            ;   in Loop: Header=BB6_12355 Depth=2
	v_or_b32_e32 v21, 0x7e, v0
; %bb.14648:                            ;   in Loop: Header=BB6_12355 Depth=2
	s_or_b64 exec, exec, s[20:21]
                                        ; implicit-def: $vgpr3
.LBB6_14649:                            ;   in Loop: Header=BB6_12355 Depth=2
	s_andn2_saveexec_b64 s[20:21], s[76:77]
; %bb.14650:                            ;   in Loop: Header=BB6_12355 Depth=2
	v_or_b32_sdwa v21, v3, s39 dst_sel:DWORD dst_unused:UNUSED_PAD src0_sel:BYTE_3 src1_sel:DWORD
; %bb.14651:                            ;   in Loop: Header=BB6_12355 Depth=2
	s_or_b64 exec, exec, s[20:21]
	v_cmp_ne_u16_sdwa s[76:77], v12, v53 src0_sel:BYTE_0 src1_sel:DWORD
	v_mov_b32_e32 v0, 0
	s_and_saveexec_b64 s[20:21], s[76:77]
	s_cbranch_execz .LBB6_14657
; %bb.14652:                            ;   in Loop: Header=BB6_12355 Depth=2
	v_cmp_ne_u16_sdwa s[78:79], v12, s48 src0_sel:BYTE_0 src1_sel:DWORD
	v_bfrev_b32_e32 v0, 1
	s_and_saveexec_b64 s[76:77], s[78:79]
	s_cbranch_execz .LBB6_14656
; %bb.14653:                            ;   in Loop: Header=BB6_12355 Depth=2
	v_and_b32_e32 v3, 0x7f, v12
	v_cmp_ne_u32_e32 vcc, s39, v3
	v_mov_b32_e32 v0, 0x7f800001
	s_and_saveexec_b64 s[78:79], vcc
	s_cbranch_execz .LBB6_14655
; %bb.14654:                            ;   in Loop: Header=BB6_12355 Depth=2
	v_and_b32_e32 v0, 7, v12
	v_ffbh_u32_e32 v0, v0
	v_min_u32_e32 v0, 32, v0
	v_lshrrev_b32_e32 v4, 3, v3
	v_cmp_gt_u32_e32 vcc, 8, v3
	v_subrev_u32_e32 v3, 28, v0
	v_sub_u32_e32 v0, 29, v0
	v_cndmask_b32_e32 v3, 0, v3, vcc
	v_cndmask_b32_e32 v0, v4, v0, vcc
	v_lshlrev_b64 v[3:4], v3, v[12:13]
	v_lshlrev_b32_e32 v4, 24, v12
	v_lshlrev_b32_e32 v3, 20, v3
	v_bfrev_b32_e32 v5, 60
	v_and_b32_e32 v3, 0x700000, v3
	v_and_b32_e32 v4, 0x80000000, v4
	v_lshl_add_u32 v0, v0, 23, v5
	v_or3_b32 v0, v4, v0, v3
.LBB6_14655:                            ;   in Loop: Header=BB6_12355 Depth=2
	s_or_b64 exec, exec, s[78:79]
.LBB6_14656:                            ;   in Loop: Header=BB6_12355 Depth=2
	s_or_b64 exec, exec, s[76:77]
.LBB6_14657:                            ;   in Loop: Header=BB6_12355 Depth=2
	s_or_b64 exec, exec, s[20:21]
	v_mul_f32_e32 v3, v19, v0
	v_and_b32_e32 v52, 0x7f800000, v3
	v_cmp_ne_u64_e32 vcc, s[46:47], v[52:53]
                                        ; implicit-def: $vgpr27
	s_and_saveexec_b64 s[20:21], vcc
	s_xor_b64 s[76:77], exec, s[20:21]
	s_cbranch_execz .LBB6_14671
; %bb.14658:                            ;   in Loop: Header=BB6_12355 Depth=2
	v_and_b32_e32 v52, 0x7fffffff, v3
	v_cmp_gt_u64_e32 vcc, s[56:57], v[52:53]
	v_and_b32_sdwa v0, v3, s48 dst_sel:DWORD dst_unused:UNUSED_PAD src0_sel:BYTE_3 src1_sel:DWORD
                                        ; implicit-def: $vgpr27
	s_and_saveexec_b64 s[20:21], vcc
	s_xor_b64 s[78:79], exec, s[20:21]
	s_cbranch_execz .LBB6_14668
; %bb.14659:                            ;   in Loop: Header=BB6_12355 Depth=2
	v_mov_b32_e32 v27, 0
	v_cmp_ne_u32_e32 vcc, 0, v3
	s_and_saveexec_b64 s[88:89], vcc
	s_cbranch_execz .LBB6_14667
; %bb.14660:                            ;   in Loop: Header=BB6_12355 Depth=2
	v_and_b32_e32 v5, 0x7fffff, v3
	v_bfe_u32 v3, v3, 23, 8
	v_cmp_gt_u32_e64 s[20:21], s49, v3
	v_sub_u32_e32 v4, 0x79, v3
	v_cmp_eq_u32_e32 vcc, 0, v3
	v_cndmask_b32_e64 v4, 0, v4, s[20:21]
	v_mov_b32_e32 v7, 0x78
	v_or_b32_e32 v6, 0x800000, v5
	v_cndmask_b32_e32 v4, v4, v7, vcc
	v_cndmask_b32_e32 v52, v6, v5, vcc
	v_add_u32_e32 v5, 20, v4
	v_lshlrev_b64 v[5:6], v5, -1
	v_add_u32_e32 v7, 19, v4
	v_lshlrev_b64 v[10:11], v7, 1
	v_bfi_b32 v6, v6, 0, 0
	v_bfi_b32 v5, v5, 0, v52
	v_cmp_eq_u64_e64 s[20:21], v[5:6], v[10:11]
	v_lshrrev_b64 v[10:11], v4, v[52:53]
	v_mov_b32_e32 v17, v11
	v_mov_b32_e32 v16, v10
	s_and_saveexec_b64 s[90:91], s[20:21]
; %bb.14661:                            ;   in Loop: Header=BB6_12355 Depth=2
	v_bfe_u32 v5, v10, 20, 1
	v_add_co_u32_e64 v5, s[20:21], v10, v5
	v_add_co_u32_e64 v16, s[20:21], -1, v5
; %bb.14662:                            ;   in Loop: Header=BB6_12355 Depth=2
	s_or_b64 exec, exec, s[90:91]
	v_add_u32_e32 v3, 0xffffff81, v3
	v_mov_b32_e32 v5, 0xffffff82
	v_cndmask_b32_e32 v3, v3, v5, vcc
	v_lshrrev_b32_e32 v5, 23, v10
	v_add3_u32 v5, v4, v3, v5
	v_add_u32_e32 v4, 6, v5
	v_and_b32_e32 v3, 0xfffff, v16
	v_add_u32_e32 v52, v3, v10
	v_cmp_ne_u32_e32 vcc, 0, v4
                                        ; implicit-def: $vgpr10_vgpr11
                                        ; implicit-def: $vgpr3
	s_and_saveexec_b64 s[20:21], vcc
	s_xor_b64 s[20:21], exec, s[20:21]
; %bb.14663:                            ;   in Loop: Header=BB6_12355 Depth=2
	v_cmp_lt_u64_e32 vcc, s[58:59], v[52:53]
	v_add_u32_e32 v3, 7, v5
	v_cndmask_b32_e32 v3, v4, v3, vcc
	v_cndmask_b32_e64 v4, 0, 1, vcc
	v_lshrrev_b64 v[10:11], v4, v[52:53]
; %bb.14664:                            ;   in Loop: Header=BB6_12355 Depth=2
	s_andn2_saveexec_b64 s[20:21], s[20:21]
; %bb.14665:                            ;   in Loop: Header=BB6_12355 Depth=2
	v_mov_b32_e32 v10, v52
	v_bfe_u32 v3, v52, 23, 1
	v_mov_b32_e32 v11, v53
; %bb.14666:                            ;   in Loop: Header=BB6_12355 Depth=2
	s_or_b64 exec, exec, s[20:21]
	v_lshrrev_b64 v[4:5], 20, v[10:11]
	v_cmp_gt_i32_e32 vcc, 16, v3
	v_cndmask_b32_e32 v5, 0, v5, vcc
	v_cndmask_b32_e32 v4, 7, v4, vcc
	v_cmp_eq_u32_e32 vcc, 0, v3
	v_min_i32_e32 v3, 15, v3
	v_cmp_eq_u64_e64 s[20:21], 0, v[4:5]
	v_lshlrev_b32_e32 v3, 3, v3
	v_and_b32_e32 v3, 0xf8, v3
	v_and_or_b32 v3, v4, 7, v3
	s_and_b64 s[20:21], vcc, s[20:21]
	v_cndmask_b32_e64 v3, v3, 0, s[20:21]
	v_or_b32_e32 v27, v3, v0
.LBB6_14667:                            ;   in Loop: Header=BB6_12355 Depth=2
	s_or_b64 exec, exec, s[88:89]
                                        ; implicit-def: $vgpr0
.LBB6_14668:                            ;   in Loop: Header=BB6_12355 Depth=2
	s_andn2_saveexec_b64 s[20:21], s[78:79]
; %bb.14669:                            ;   in Loop: Header=BB6_12355 Depth=2
	v_or_b32_e32 v27, 0x7e, v0
; %bb.14670:                            ;   in Loop: Header=BB6_12355 Depth=2
	s_or_b64 exec, exec, s[20:21]
                                        ; implicit-def: $vgpr3
.LBB6_14671:                            ;   in Loop: Header=BB6_12355 Depth=2
	s_andn2_saveexec_b64 s[20:21], s[76:77]
; %bb.14672:                            ;   in Loop: Header=BB6_12355 Depth=2
	v_or_b32_sdwa v27, v3, s39 dst_sel:DWORD dst_unused:UNUSED_PAD src0_sel:BYTE_3 src1_sel:DWORD
; %bb.14673:                            ;   in Loop: Header=BB6_12355 Depth=2
	s_or_b64 exec, exec, s[20:21]
	v_lshrrev_b16_e32 v10, 8, v12
	v_cmp_ne_u16_e32 vcc, 0, v10
	v_mov_b32_e32 v0, 0
	s_and_saveexec_b64 s[20:21], vcc
	s_cbranch_execz .LBB6_14679
; %bb.14674:                            ;   in Loop: Header=BB6_12355 Depth=2
	v_cmp_ne_u16_e32 vcc, s48, v10
	v_bfrev_b32_e32 v0, 1
	s_and_saveexec_b64 s[76:77], vcc
	s_cbranch_execz .LBB6_14678
; %bb.14675:                            ;   in Loop: Header=BB6_12355 Depth=2
	v_and_b32_e32 v3, 0x7f, v10
	v_cmp_ne_u32_e32 vcc, s39, v3
	v_mov_b32_e32 v0, 0x7f800001
	s_and_saveexec_b64 s[78:79], vcc
	s_cbranch_execz .LBB6_14677
; %bb.14676:                            ;   in Loop: Header=BB6_12355 Depth=2
	v_and_b32_e32 v0, 7, v10
	v_lshrrev_b32_e32 v5, 3, v3
	v_cmp_gt_u32_e32 vcc, 8, v3
	v_ffbh_u32_e32 v3, v0
	v_min_u32_e32 v6, 32, v3
	v_subrev_u32_e32 v3, 28, v6
	v_lshlrev_b64 v[3:4], v3, v[10:11]
	v_sub_u32_e32 v4, 29, v6
	v_and_b32_e32 v3, 7, v3
	v_cndmask_b32_e32 v4, v5, v4, vcc
	v_cndmask_b32_e32 v0, v0, v3, vcc
	v_lshlrev_b32_e32 v3, 16, v12
	v_bfrev_b32_e32 v5, 60
	v_lshlrev_b32_e32 v0, 20, v0
	v_and_b32_e32 v3, 0x80000000, v3
	v_lshl_add_u32 v4, v4, 23, v5
	v_or3_b32 v0, v3, v4, v0
.LBB6_14677:                            ;   in Loop: Header=BB6_12355 Depth=2
	s_or_b64 exec, exec, s[78:79]
.LBB6_14678:                            ;   in Loop: Header=BB6_12355 Depth=2
	s_or_b64 exec, exec, s[76:77]
.LBB6_14679:                            ;   in Loop: Header=BB6_12355 Depth=2
	s_or_b64 exec, exec, s[20:21]
	v_mul_f32_e32 v3, v19, v0
	v_and_b32_e32 v52, 0x7f800000, v3
	v_cmp_ne_u64_e32 vcc, s[46:47], v[52:53]
                                        ; implicit-def: $vgpr29
	s_and_saveexec_b64 s[20:21], vcc
	s_xor_b64 s[76:77], exec, s[20:21]
	s_cbranch_execz .LBB6_14693
; %bb.14680:                            ;   in Loop: Header=BB6_12355 Depth=2
	v_and_b32_e32 v52, 0x7fffffff, v3
	v_cmp_gt_u64_e32 vcc, s[56:57], v[52:53]
	v_and_b32_sdwa v0, v3, s48 dst_sel:DWORD dst_unused:UNUSED_PAD src0_sel:BYTE_3 src1_sel:DWORD
                                        ; implicit-def: $vgpr29
	s_and_saveexec_b64 s[20:21], vcc
	s_xor_b64 s[78:79], exec, s[20:21]
	s_cbranch_execz .LBB6_14690
; %bb.14681:                            ;   in Loop: Header=BB6_12355 Depth=2
	v_mov_b32_e32 v29, 0
	v_cmp_ne_u32_e32 vcc, 0, v3
	s_and_saveexec_b64 s[88:89], vcc
	s_cbranch_execz .LBB6_14689
; %bb.14682:                            ;   in Loop: Header=BB6_12355 Depth=2
	v_and_b32_e32 v5, 0x7fffff, v3
	v_bfe_u32 v3, v3, 23, 8
	v_cmp_gt_u32_e64 s[20:21], s49, v3
	v_sub_u32_e32 v4, 0x79, v3
	v_cmp_eq_u32_e32 vcc, 0, v3
	v_cndmask_b32_e64 v4, 0, v4, s[20:21]
	v_mov_b32_e32 v7, 0x78
	v_or_b32_e32 v6, 0x800000, v5
	v_cndmask_b32_e32 v4, v4, v7, vcc
	v_cndmask_b32_e32 v52, v6, v5, vcc
	v_add_u32_e32 v5, 20, v4
	v_lshlrev_b64 v[5:6], v5, -1
	v_add_u32_e32 v7, 19, v4
	v_lshlrev_b64 v[10:11], v7, 1
	v_bfi_b32 v6, v6, 0, 0
	v_bfi_b32 v5, v5, 0, v52
	v_cmp_eq_u64_e64 s[20:21], v[5:6], v[10:11]
	v_lshrrev_b64 v[10:11], v4, v[52:53]
	v_mov_b32_e32 v17, v11
	v_mov_b32_e32 v16, v10
	s_and_saveexec_b64 s[90:91], s[20:21]
; %bb.14683:                            ;   in Loop: Header=BB6_12355 Depth=2
	v_bfe_u32 v5, v10, 20, 1
	v_add_co_u32_e64 v5, s[20:21], v10, v5
	v_add_co_u32_e64 v16, s[20:21], -1, v5
; %bb.14684:                            ;   in Loop: Header=BB6_12355 Depth=2
	s_or_b64 exec, exec, s[90:91]
	v_add_u32_e32 v3, 0xffffff81, v3
	v_mov_b32_e32 v5, 0xffffff82
	v_cndmask_b32_e32 v3, v3, v5, vcc
	v_lshrrev_b32_e32 v5, 23, v10
	v_add3_u32 v5, v4, v3, v5
	v_add_u32_e32 v4, 6, v5
	v_and_b32_e32 v3, 0xfffff, v16
	v_add_u32_e32 v52, v3, v10
	v_cmp_ne_u32_e32 vcc, 0, v4
                                        ; implicit-def: $vgpr10_vgpr11
                                        ; implicit-def: $vgpr3
	s_and_saveexec_b64 s[20:21], vcc
	s_xor_b64 s[20:21], exec, s[20:21]
; %bb.14685:                            ;   in Loop: Header=BB6_12355 Depth=2
	v_cmp_lt_u64_e32 vcc, s[58:59], v[52:53]
	v_add_u32_e32 v3, 7, v5
	v_cndmask_b32_e32 v3, v4, v3, vcc
	v_cndmask_b32_e64 v4, 0, 1, vcc
	v_lshrrev_b64 v[10:11], v4, v[52:53]
; %bb.14686:                            ;   in Loop: Header=BB6_12355 Depth=2
	s_andn2_saveexec_b64 s[20:21], s[20:21]
; %bb.14687:                            ;   in Loop: Header=BB6_12355 Depth=2
	v_mov_b32_e32 v10, v52
	v_bfe_u32 v3, v52, 23, 1
	v_mov_b32_e32 v11, v53
; %bb.14688:                            ;   in Loop: Header=BB6_12355 Depth=2
	s_or_b64 exec, exec, s[20:21]
	v_lshrrev_b64 v[4:5], 20, v[10:11]
	v_cmp_gt_i32_e32 vcc, 16, v3
	v_cndmask_b32_e32 v5, 0, v5, vcc
	v_cndmask_b32_e32 v4, 7, v4, vcc
	v_cmp_eq_u32_e32 vcc, 0, v3
	v_min_i32_e32 v3, 15, v3
	v_cmp_eq_u64_e64 s[20:21], 0, v[4:5]
	v_lshlrev_b32_e32 v3, 3, v3
	v_and_b32_e32 v3, 0xf8, v3
	v_and_or_b32 v3, v4, 7, v3
	s_and_b64 s[20:21], vcc, s[20:21]
	v_cndmask_b32_e64 v3, v3, 0, s[20:21]
	v_or_b32_e32 v29, v3, v0
.LBB6_14689:                            ;   in Loop: Header=BB6_12355 Depth=2
	s_or_b64 exec, exec, s[88:89]
                                        ; implicit-def: $vgpr0
.LBB6_14690:                            ;   in Loop: Header=BB6_12355 Depth=2
	s_andn2_saveexec_b64 s[20:21], s[78:79]
; %bb.14691:                            ;   in Loop: Header=BB6_12355 Depth=2
	v_or_b32_e32 v29, 0x7e, v0
; %bb.14692:                            ;   in Loop: Header=BB6_12355 Depth=2
	s_or_b64 exec, exec, s[20:21]
                                        ; implicit-def: $vgpr3
.LBB6_14693:                            ;   in Loop: Header=BB6_12355 Depth=2
	s_andn2_saveexec_b64 s[20:21], s[76:77]
; %bb.14694:                            ;   in Loop: Header=BB6_12355 Depth=2
	v_or_b32_sdwa v29, v3, s39 dst_sel:DWORD dst_unused:UNUSED_PAD src0_sel:BYTE_3 src1_sel:DWORD
; %bb.14695:                            ;   in Loop: Header=BB6_12355 Depth=2
	s_or_b64 exec, exec, s[20:21]
	v_lshrrev_b32_e32 v10, 16, v12
	v_cmp_ne_u16_sdwa s[76:77], v10, v53 src0_sel:BYTE_0 src1_sel:DWORD
	v_mov_b32_e32 v0, 0
	s_and_saveexec_b64 s[20:21], s[76:77]
	s_cbranch_execz .LBB6_14701
; %bb.14696:                            ;   in Loop: Header=BB6_12355 Depth=2
	v_cmp_ne_u16_sdwa s[78:79], v10, s48 src0_sel:BYTE_0 src1_sel:DWORD
	v_bfrev_b32_e32 v0, 1
	s_and_saveexec_b64 s[76:77], s[78:79]
	s_cbranch_execz .LBB6_14700
; %bb.14697:                            ;   in Loop: Header=BB6_12355 Depth=2
	v_bfe_u32 v3, v12, 16, 7
	v_cmp_ne_u32_e32 vcc, s39, v3
	v_mov_b32_e32 v0, 0x7f800001
	s_and_saveexec_b64 s[78:79], vcc
	s_cbranch_execz .LBB6_14699
; %bb.14698:                            ;   in Loop: Header=BB6_12355 Depth=2
	v_and_b32_e32 v0, 7, v10
	v_lshrrev_b32_e32 v5, 3, v3
	v_cmp_gt_u32_e32 vcc, 8, v3
	v_ffbh_u32_e32 v3, v0
	v_min_u32_e32 v6, 32, v3
	v_subrev_u32_e32 v3, 28, v6
	v_lshlrev_b64 v[3:4], v3, v[10:11]
	v_sub_u32_e32 v4, 29, v6
	v_and_b32_e32 v3, 7, v3
	v_cndmask_b32_e32 v4, v5, v4, vcc
	v_cndmask_b32_e32 v0, v0, v3, vcc
	v_lshlrev_b32_e32 v3, 24, v10
	v_bfrev_b32_e32 v5, 60
	v_lshlrev_b32_e32 v0, 20, v0
	v_and_b32_e32 v3, 0x80000000, v3
	v_lshl_add_u32 v4, v4, 23, v5
	v_or3_b32 v0, v3, v4, v0
.LBB6_14699:                            ;   in Loop: Header=BB6_12355 Depth=2
	s_or_b64 exec, exec, s[78:79]
.LBB6_14700:                            ;   in Loop: Header=BB6_12355 Depth=2
	s_or_b64 exec, exec, s[76:77]
.LBB6_14701:                            ;   in Loop: Header=BB6_12355 Depth=2
	s_or_b64 exec, exec, s[20:21]
	v_mul_f32_e32 v3, v19, v0
	v_and_b32_e32 v52, 0x7f800000, v3
	v_cmp_ne_u64_e32 vcc, s[46:47], v[52:53]
                                        ; implicit-def: $vgpr62
	s_and_saveexec_b64 s[20:21], vcc
	s_xor_b64 s[76:77], exec, s[20:21]
	s_cbranch_execz .LBB6_14715
; %bb.14702:                            ;   in Loop: Header=BB6_12355 Depth=2
	v_and_b32_e32 v52, 0x7fffffff, v3
	v_cmp_gt_u64_e32 vcc, s[56:57], v[52:53]
	v_and_b32_sdwa v0, v3, s48 dst_sel:DWORD dst_unused:UNUSED_PAD src0_sel:BYTE_3 src1_sel:DWORD
                                        ; implicit-def: $vgpr62
	s_and_saveexec_b64 s[20:21], vcc
	s_xor_b64 s[78:79], exec, s[20:21]
	s_cbranch_execz .LBB6_14712
; %bb.14703:                            ;   in Loop: Header=BB6_12355 Depth=2
	v_mov_b32_e32 v62, 0
	v_cmp_ne_u32_e32 vcc, 0, v3
	s_and_saveexec_b64 s[88:89], vcc
	s_cbranch_execz .LBB6_14711
; %bb.14704:                            ;   in Loop: Header=BB6_12355 Depth=2
	v_and_b32_e32 v5, 0x7fffff, v3
	v_bfe_u32 v3, v3, 23, 8
	v_cmp_gt_u32_e64 s[20:21], s49, v3
	v_sub_u32_e32 v4, 0x79, v3
	v_cmp_eq_u32_e32 vcc, 0, v3
	v_cndmask_b32_e64 v4, 0, v4, s[20:21]
	v_mov_b32_e32 v7, 0x78
	v_or_b32_e32 v6, 0x800000, v5
	v_cndmask_b32_e32 v4, v4, v7, vcc
	v_cndmask_b32_e32 v52, v6, v5, vcc
	v_add_u32_e32 v5, 20, v4
	v_lshlrev_b64 v[5:6], v5, -1
	v_add_u32_e32 v7, 19, v4
	v_lshlrev_b64 v[10:11], v7, 1
	v_bfi_b32 v6, v6, 0, 0
	v_bfi_b32 v5, v5, 0, v52
	v_cmp_eq_u64_e64 s[20:21], v[5:6], v[10:11]
	v_lshrrev_b64 v[10:11], v4, v[52:53]
	v_mov_b32_e32 v17, v11
	v_mov_b32_e32 v16, v10
	s_and_saveexec_b64 s[90:91], s[20:21]
; %bb.14705:                            ;   in Loop: Header=BB6_12355 Depth=2
	v_bfe_u32 v5, v10, 20, 1
	v_add_co_u32_e64 v5, s[20:21], v10, v5
	v_add_co_u32_e64 v16, s[20:21], -1, v5
; %bb.14706:                            ;   in Loop: Header=BB6_12355 Depth=2
	s_or_b64 exec, exec, s[90:91]
	v_add_u32_e32 v3, 0xffffff81, v3
	v_mov_b32_e32 v5, 0xffffff82
	v_cndmask_b32_e32 v3, v3, v5, vcc
	v_lshrrev_b32_e32 v5, 23, v10
	v_add3_u32 v5, v4, v3, v5
	v_add_u32_e32 v4, 6, v5
	v_and_b32_e32 v3, 0xfffff, v16
	v_add_u32_e32 v52, v3, v10
	v_cmp_ne_u32_e32 vcc, 0, v4
                                        ; implicit-def: $vgpr10_vgpr11
                                        ; implicit-def: $vgpr3
	s_and_saveexec_b64 s[20:21], vcc
	s_xor_b64 s[20:21], exec, s[20:21]
; %bb.14707:                            ;   in Loop: Header=BB6_12355 Depth=2
	v_cmp_lt_u64_e32 vcc, s[58:59], v[52:53]
	v_add_u32_e32 v3, 7, v5
	v_cndmask_b32_e32 v3, v4, v3, vcc
	v_cndmask_b32_e64 v4, 0, 1, vcc
	v_lshrrev_b64 v[10:11], v4, v[52:53]
; %bb.14708:                            ;   in Loop: Header=BB6_12355 Depth=2
	s_andn2_saveexec_b64 s[20:21], s[20:21]
; %bb.14709:                            ;   in Loop: Header=BB6_12355 Depth=2
	v_mov_b32_e32 v10, v52
	v_bfe_u32 v3, v52, 23, 1
	v_mov_b32_e32 v11, v53
; %bb.14710:                            ;   in Loop: Header=BB6_12355 Depth=2
	s_or_b64 exec, exec, s[20:21]
	v_lshrrev_b64 v[4:5], 20, v[10:11]
	v_cmp_gt_i32_e32 vcc, 16, v3
	v_cndmask_b32_e32 v5, 0, v5, vcc
	v_cndmask_b32_e32 v4, 7, v4, vcc
	v_cmp_eq_u32_e32 vcc, 0, v3
	v_min_i32_e32 v3, 15, v3
	v_cmp_eq_u64_e64 s[20:21], 0, v[4:5]
	v_lshlrev_b32_e32 v3, 3, v3
	v_and_b32_e32 v3, 0xf8, v3
	v_and_or_b32 v3, v4, 7, v3
	s_and_b64 s[20:21], vcc, s[20:21]
	v_cndmask_b32_e64 v3, v3, 0, s[20:21]
	v_or_b32_e32 v62, v3, v0
.LBB6_14711:                            ;   in Loop: Header=BB6_12355 Depth=2
	s_or_b64 exec, exec, s[88:89]
                                        ; implicit-def: $vgpr0
.LBB6_14712:                            ;   in Loop: Header=BB6_12355 Depth=2
	s_andn2_saveexec_b64 s[20:21], s[78:79]
; %bb.14713:                            ;   in Loop: Header=BB6_12355 Depth=2
	v_or_b32_e32 v62, 0x7e, v0
; %bb.14714:                            ;   in Loop: Header=BB6_12355 Depth=2
	s_or_b64 exec, exec, s[20:21]
                                        ; implicit-def: $vgpr3
.LBB6_14715:                            ;   in Loop: Header=BB6_12355 Depth=2
	s_andn2_saveexec_b64 s[20:21], s[76:77]
; %bb.14716:                            ;   in Loop: Header=BB6_12355 Depth=2
	v_or_b32_sdwa v62, v3, s39 dst_sel:DWORD dst_unused:UNUSED_PAD src0_sel:BYTE_3 src1_sel:DWORD
; %bb.14717:                            ;   in Loop: Header=BB6_12355 Depth=2
	s_or_b64 exec, exec, s[20:21]
	v_cmp_lt_u32_e32 vcc, s61, v12
	v_mov_b32_e32 v0, 0
	s_and_saveexec_b64 s[20:21], vcc
	s_cbranch_execz .LBB6_14723
; %bb.14718:                            ;   in Loop: Header=BB6_12355 Depth=2
	v_lshrrev_b32_e32 v10, 24, v12
	v_cmp_ne_u32_e32 vcc, s48, v10
	v_bfrev_b32_e32 v0, 1
	s_and_saveexec_b64 s[76:77], vcc
	s_cbranch_execz .LBB6_14722
; %bb.14719:                            ;   in Loop: Header=BB6_12355 Depth=2
	v_bfe_u32 v3, v12, 24, 7
	v_cmp_ne_u32_e32 vcc, s39, v3
	v_mov_b32_e32 v0, 0x7f800001
	s_and_saveexec_b64 s[78:79], vcc
	s_cbranch_execz .LBB6_14721
; %bb.14720:                            ;   in Loop: Header=BB6_12355 Depth=2
	v_and_b32_e32 v0, 7, v10
	v_lshrrev_b32_e32 v5, 3, v3
	v_cmp_gt_u32_e32 vcc, 8, v3
	v_ffbh_u32_e32 v3, v0
	v_min_u32_e32 v6, 32, v3
	v_subrev_u32_e32 v3, 28, v6
	v_lshlrev_b64 v[3:4], v3, v[10:11]
	v_sub_u32_e32 v4, 29, v6
	v_and_b32_e32 v3, 7, v3
	v_cndmask_b32_e32 v4, v5, v4, vcc
	v_cndmask_b32_e32 v0, v0, v3, vcc
	v_lshlrev_b32_e32 v3, 24, v10
	v_bfrev_b32_e32 v5, 60
	v_lshlrev_b32_e32 v0, 20, v0
	v_and_b32_e32 v3, 0x80000000, v3
	v_lshl_add_u32 v4, v4, 23, v5
	v_or3_b32 v0, v3, v4, v0
.LBB6_14721:                            ;   in Loop: Header=BB6_12355 Depth=2
	s_or_b64 exec, exec, s[78:79]
.LBB6_14722:                            ;   in Loop: Header=BB6_12355 Depth=2
	s_or_b64 exec, exec, s[76:77]
.LBB6_14723:                            ;   in Loop: Header=BB6_12355 Depth=2
	s_or_b64 exec, exec, s[20:21]
	v_mul_f32_e32 v3, v19, v0
	v_and_b32_e32 v52, 0x7f800000, v3
	v_cmp_ne_u64_e32 vcc, s[46:47], v[52:53]
                                        ; implicit-def: $vgpr60
	s_and_saveexec_b64 s[20:21], vcc
	s_xor_b64 s[76:77], exec, s[20:21]
	s_cbranch_execz .LBB6_14737
; %bb.14724:                            ;   in Loop: Header=BB6_12355 Depth=2
	v_and_b32_e32 v52, 0x7fffffff, v3
	v_cmp_gt_u64_e32 vcc, s[56:57], v[52:53]
	v_and_b32_sdwa v0, v3, s48 dst_sel:DWORD dst_unused:UNUSED_PAD src0_sel:BYTE_3 src1_sel:DWORD
                                        ; implicit-def: $vgpr60
	s_and_saveexec_b64 s[20:21], vcc
	s_xor_b64 s[78:79], exec, s[20:21]
	s_cbranch_execz .LBB6_14734
; %bb.14725:                            ;   in Loop: Header=BB6_12355 Depth=2
	v_mov_b32_e32 v60, 0
	v_cmp_ne_u32_e32 vcc, 0, v3
	s_and_saveexec_b64 s[88:89], vcc
	s_cbranch_execz .LBB6_14733
; %bb.14726:                            ;   in Loop: Header=BB6_12355 Depth=2
	v_and_b32_e32 v5, 0x7fffff, v3
	v_bfe_u32 v3, v3, 23, 8
	v_cmp_gt_u32_e64 s[20:21], s49, v3
	v_sub_u32_e32 v4, 0x79, v3
	v_cmp_eq_u32_e32 vcc, 0, v3
	v_cndmask_b32_e64 v4, 0, v4, s[20:21]
	v_mov_b32_e32 v7, 0x78
	v_or_b32_e32 v6, 0x800000, v5
	v_cndmask_b32_e32 v4, v4, v7, vcc
	v_cndmask_b32_e32 v52, v6, v5, vcc
	v_add_u32_e32 v5, 20, v4
	v_lshlrev_b64 v[5:6], v5, -1
	v_add_u32_e32 v7, 19, v4
	v_lshlrev_b64 v[10:11], v7, 1
	v_bfi_b32 v6, v6, 0, 0
	v_bfi_b32 v5, v5, 0, v52
	v_cmp_eq_u64_e64 s[20:21], v[5:6], v[10:11]
	v_lshrrev_b64 v[10:11], v4, v[52:53]
	v_mov_b32_e32 v17, v11
	v_mov_b32_e32 v16, v10
	s_and_saveexec_b64 s[90:91], s[20:21]
; %bb.14727:                            ;   in Loop: Header=BB6_12355 Depth=2
	v_bfe_u32 v5, v10, 20, 1
	v_add_co_u32_e64 v5, s[20:21], v10, v5
	v_add_co_u32_e64 v16, s[20:21], -1, v5
; %bb.14728:                            ;   in Loop: Header=BB6_12355 Depth=2
	s_or_b64 exec, exec, s[90:91]
	v_add_u32_e32 v3, 0xffffff81, v3
	v_mov_b32_e32 v5, 0xffffff82
	v_cndmask_b32_e32 v3, v3, v5, vcc
	v_lshrrev_b32_e32 v5, 23, v10
	v_add3_u32 v5, v4, v3, v5
	v_add_u32_e32 v4, 6, v5
	v_and_b32_e32 v3, 0xfffff, v16
	v_add_u32_e32 v52, v3, v10
	v_cmp_ne_u32_e32 vcc, 0, v4
                                        ; implicit-def: $vgpr10_vgpr11
                                        ; implicit-def: $vgpr3
	s_and_saveexec_b64 s[20:21], vcc
	s_xor_b64 s[20:21], exec, s[20:21]
; %bb.14729:                            ;   in Loop: Header=BB6_12355 Depth=2
	v_cmp_lt_u64_e32 vcc, s[58:59], v[52:53]
	v_add_u32_e32 v3, 7, v5
	v_cndmask_b32_e32 v3, v4, v3, vcc
	v_cndmask_b32_e64 v4, 0, 1, vcc
	v_lshrrev_b64 v[10:11], v4, v[52:53]
; %bb.14730:                            ;   in Loop: Header=BB6_12355 Depth=2
	s_andn2_saveexec_b64 s[20:21], s[20:21]
; %bb.14731:                            ;   in Loop: Header=BB6_12355 Depth=2
	v_mov_b32_e32 v10, v52
	v_bfe_u32 v3, v52, 23, 1
	v_mov_b32_e32 v11, v53
; %bb.14732:                            ;   in Loop: Header=BB6_12355 Depth=2
	s_or_b64 exec, exec, s[20:21]
	v_lshrrev_b64 v[4:5], 20, v[10:11]
	v_cmp_gt_i32_e32 vcc, 16, v3
	v_cndmask_b32_e32 v5, 0, v5, vcc
	v_cndmask_b32_e32 v4, 7, v4, vcc
	v_cmp_eq_u32_e32 vcc, 0, v3
	v_min_i32_e32 v3, 15, v3
	v_cmp_eq_u64_e64 s[20:21], 0, v[4:5]
	v_lshlrev_b32_e32 v3, 3, v3
	v_and_b32_e32 v3, 0xf8, v3
	v_and_or_b32 v3, v4, 7, v3
	s_and_b64 s[20:21], vcc, s[20:21]
	v_cndmask_b32_e64 v3, v3, 0, s[20:21]
	v_or_b32_e32 v60, v3, v0
.LBB6_14733:                            ;   in Loop: Header=BB6_12355 Depth=2
	s_or_b64 exec, exec, s[88:89]
                                        ; implicit-def: $vgpr0
.LBB6_14734:                            ;   in Loop: Header=BB6_12355 Depth=2
	s_andn2_saveexec_b64 s[20:21], s[78:79]
; %bb.14735:                            ;   in Loop: Header=BB6_12355 Depth=2
	v_or_b32_e32 v60, 0x7e, v0
; %bb.14736:                            ;   in Loop: Header=BB6_12355 Depth=2
	s_or_b64 exec, exec, s[20:21]
                                        ; implicit-def: $vgpr3
.LBB6_14737:                            ;   in Loop: Header=BB6_12355 Depth=2
	s_andn2_saveexec_b64 s[20:21], s[76:77]
; %bb.14738:                            ;   in Loop: Header=BB6_12355 Depth=2
	v_or_b32_sdwa v60, v3, s39 dst_sel:DWORD dst_unused:UNUSED_PAD src0_sel:BYTE_3 src1_sel:DWORD
; %bb.14739:                            ;   in Loop: Header=BB6_12355 Depth=2
	s_or_b64 exec, exec, s[20:21]
	v_mov_b32_e32 v52, v13
	v_cmp_ne_u16_sdwa s[76:77], v13, v53 src0_sel:BYTE_0 src1_sel:DWORD
	v_mov_b32_e32 v0, 0
	s_and_saveexec_b64 s[20:21], s[76:77]
	s_cbranch_execz .LBB6_14745
; %bb.14740:                            ;   in Loop: Header=BB6_12355 Depth=2
	v_cmp_ne_u16_sdwa s[78:79], v13, s48 src0_sel:BYTE_0 src1_sel:DWORD
	v_bfrev_b32_e32 v0, 1
	s_and_saveexec_b64 s[76:77], s[78:79]
	s_cbranch_execz .LBB6_14744
; %bb.14741:                            ;   in Loop: Header=BB6_12355 Depth=2
	v_and_b32_e32 v3, 0x7f, v13
	v_cmp_ne_u32_e32 vcc, s39, v3
	v_mov_b32_e32 v0, 0x7f800001
	s_and_saveexec_b64 s[78:79], vcc
	s_cbranch_execz .LBB6_14743
; %bb.14742:                            ;   in Loop: Header=BB6_12355 Depth=2
	v_and_b32_e32 v0, 7, v13
	v_ffbh_u32_e32 v0, v0
	v_min_u32_e32 v0, 32, v0
	v_lshrrev_b32_e32 v4, 3, v3
	v_cmp_gt_u32_e32 vcc, 8, v3
	v_subrev_u32_e32 v3, 28, v0
	v_sub_u32_e32 v0, 29, v0
	v_cndmask_b32_e32 v3, 0, v3, vcc
	v_cndmask_b32_e32 v0, v4, v0, vcc
	v_lshlrev_b64 v[3:4], v3, v[52:53]
	v_lshlrev_b32_e32 v4, 24, v52
	v_lshlrev_b32_e32 v3, 20, v3
	v_bfrev_b32_e32 v5, 60
	v_and_b32_e32 v3, 0x700000, v3
	v_and_b32_e32 v4, 0x80000000, v4
	v_lshl_add_u32 v0, v0, 23, v5
	v_or3_b32 v0, v4, v0, v3
.LBB6_14743:                            ;   in Loop: Header=BB6_12355 Depth=2
	s_or_b64 exec, exec, s[78:79]
.LBB6_14744:                            ;   in Loop: Header=BB6_12355 Depth=2
	s_or_b64 exec, exec, s[76:77]
.LBB6_14745:                            ;   in Loop: Header=BB6_12355 Depth=2
	s_or_b64 exec, exec, s[20:21]
	v_mul_f32_e32 v3, v19, v0
	v_and_b32_e32 v4, 0x7f800000, v3
	v_mov_b32_e32 v5, v53
	v_cmp_ne_u64_e32 vcc, s[46:47], v[4:5]
                                        ; implicit-def: $vgpr26
	s_and_saveexec_b64 s[20:21], vcc
	s_xor_b64 s[76:77], exec, s[20:21]
	s_cbranch_execz .LBB6_14759
; %bb.14746:                            ;   in Loop: Header=BB6_12355 Depth=2
	v_and_b32_e32 v4, 0x7fffffff, v3
	v_mov_b32_e32 v5, v53
	v_cmp_gt_u64_e32 vcc, s[56:57], v[4:5]
	v_and_b32_sdwa v0, v3, s48 dst_sel:DWORD dst_unused:UNUSED_PAD src0_sel:BYTE_3 src1_sel:DWORD
                                        ; implicit-def: $vgpr26
	s_and_saveexec_b64 s[20:21], vcc
	s_xor_b64 s[78:79], exec, s[20:21]
	s_cbranch_execz .LBB6_14756
; %bb.14747:                            ;   in Loop: Header=BB6_12355 Depth=2
	v_mov_b32_e32 v26, 0
	v_cmp_ne_u32_e32 vcc, 0, v3
	s_and_saveexec_b64 s[88:89], vcc
	s_cbranch_execz .LBB6_14755
; %bb.14748:                            ;   in Loop: Header=BB6_12355 Depth=2
	v_and_b32_e32 v5, 0x7fffff, v3
	v_bfe_u32 v3, v3, 23, 8
	v_cmp_gt_u32_e64 s[20:21], s49, v3
	v_sub_u32_e32 v4, 0x79, v3
	v_cmp_eq_u32_e32 vcc, 0, v3
	v_cndmask_b32_e64 v4, 0, v4, s[20:21]
	v_mov_b32_e32 v7, 0x78
	v_cndmask_b32_e32 v4, v4, v7, vcc
	v_add_u32_e32 v7, 20, v4
	v_or_b32_e32 v6, 0x800000, v5
	v_lshlrev_b64 v[10:11], v7, -1
	v_add_u32_e32 v7, 19, v4
	v_cndmask_b32_e32 v5, v6, v5, vcc
	v_lshlrev_b64 v[16:17], v7, 1
	v_mov_b32_e32 v6, v53
	v_bfi_b32 v11, v11, 0, 0
	v_bfi_b32 v10, v10, 0, v5
	v_cmp_eq_u64_e64 s[20:21], v[10:11], v[16:17]
	v_lshrrev_b64 v[10:11], v4, v[5:6]
	v_mov_b32_e32 v17, v11
	v_mov_b32_e32 v16, v10
	s_and_saveexec_b64 s[90:91], s[20:21]
; %bb.14749:                            ;   in Loop: Header=BB6_12355 Depth=2
	v_bfe_u32 v5, v10, 20, 1
	v_add_co_u32_e64 v5, s[20:21], v10, v5
	v_add_co_u32_e64 v16, s[20:21], -1, v5
; %bb.14750:                            ;   in Loop: Header=BB6_12355 Depth=2
	s_or_b64 exec, exec, s[90:91]
	v_add_u32_e32 v3, 0xffffff81, v3
	v_mov_b32_e32 v5, 0xffffff82
	v_cndmask_b32_e32 v3, v3, v5, vcc
	v_lshrrev_b32_e32 v5, 23, v10
	v_add3_u32 v5, v4, v3, v5
	v_add_u32_e32 v4, 6, v5
	v_and_b32_e32 v3, 0xfffff, v16
	v_add_u32_e32 v10, v3, v10
	v_mov_b32_e32 v11, v53
	v_cmp_ne_u32_e32 vcc, 0, v4
                                        ; implicit-def: $vgpr3
	s_and_saveexec_b64 s[20:21], vcc
	s_xor_b64 s[20:21], exec, s[20:21]
; %bb.14751:                            ;   in Loop: Header=BB6_12355 Depth=2
	v_cmp_lt_u64_e32 vcc, s[58:59], v[10:11]
	v_add_u32_e32 v3, 7, v5
	v_cndmask_b32_e32 v3, v4, v3, vcc
	v_cndmask_b32_e64 v4, 0, 1, vcc
	v_lshrrev_b64 v[10:11], v4, v[10:11]
; %bb.14752:                            ;   in Loop: Header=BB6_12355 Depth=2
	s_andn2_saveexec_b64 s[20:21], s[20:21]
; %bb.14753:                            ;   in Loop: Header=BB6_12355 Depth=2
	v_bfe_u32 v3, v10, 23, 1
; %bb.14754:                            ;   in Loop: Header=BB6_12355 Depth=2
	s_or_b64 exec, exec, s[20:21]
	v_lshrrev_b64 v[4:5], 20, v[10:11]
	v_cmp_gt_i32_e32 vcc, 16, v3
	v_cndmask_b32_e32 v5, 0, v5, vcc
	v_cndmask_b32_e32 v4, 7, v4, vcc
	v_cmp_eq_u32_e32 vcc, 0, v3
	v_min_i32_e32 v3, 15, v3
	v_cmp_eq_u64_e64 s[20:21], 0, v[4:5]
	v_lshlrev_b32_e32 v3, 3, v3
	v_and_b32_e32 v3, 0xf8, v3
	v_and_or_b32 v3, v4, 7, v3
	s_and_b64 s[20:21], vcc, s[20:21]
	v_cndmask_b32_e64 v3, v3, 0, s[20:21]
	v_or_b32_e32 v26, v3, v0
.LBB6_14755:                            ;   in Loop: Header=BB6_12355 Depth=2
	s_or_b64 exec, exec, s[88:89]
                                        ; implicit-def: $vgpr0
.LBB6_14756:                            ;   in Loop: Header=BB6_12355 Depth=2
	s_andn2_saveexec_b64 s[20:21], s[78:79]
; %bb.14757:                            ;   in Loop: Header=BB6_12355 Depth=2
	v_or_b32_e32 v26, 0x7e, v0
; %bb.14758:                            ;   in Loop: Header=BB6_12355 Depth=2
	s_or_b64 exec, exec, s[20:21]
                                        ; implicit-def: $vgpr3
.LBB6_14759:                            ;   in Loop: Header=BB6_12355 Depth=2
	s_andn2_saveexec_b64 s[20:21], s[76:77]
; %bb.14760:                            ;   in Loop: Header=BB6_12355 Depth=2
	v_or_b32_sdwa v26, v3, s39 dst_sel:DWORD dst_unused:UNUSED_PAD src0_sel:BYTE_3 src1_sel:DWORD
; %bb.14761:                            ;   in Loop: Header=BB6_12355 Depth=2
	s_or_b64 exec, exec, s[20:21]
	v_lshrrev_b16_e32 v10, 8, v52
	v_cmp_ne_u16_e32 vcc, 0, v10
	v_mov_b32_e32 v0, 0
	s_and_saveexec_b64 s[20:21], vcc
	s_cbranch_execz .LBB6_14767
; %bb.14762:                            ;   in Loop: Header=BB6_12355 Depth=2
	v_cmp_ne_u16_e32 vcc, s48, v10
	v_bfrev_b32_e32 v0, 1
	s_and_saveexec_b64 s[76:77], vcc
	s_cbranch_execz .LBB6_14766
; %bb.14763:                            ;   in Loop: Header=BB6_12355 Depth=2
	v_and_b32_e32 v3, 0x7f, v10
	v_cmp_ne_u32_e32 vcc, s39, v3
	v_mov_b32_e32 v0, 0x7f800001
	s_and_saveexec_b64 s[78:79], vcc
	s_cbranch_execz .LBB6_14765
; %bb.14764:                            ;   in Loop: Header=BB6_12355 Depth=2
	v_and_b32_e32 v0, 7, v10
	v_lshrrev_b32_e32 v5, 3, v3
	v_cmp_gt_u32_e32 vcc, 8, v3
	v_ffbh_u32_e32 v3, v0
	v_min_u32_e32 v6, 32, v3
	v_subrev_u32_e32 v3, 28, v6
	v_lshlrev_b64 v[3:4], v3, v[10:11]
	v_sub_u32_e32 v4, 29, v6
	v_and_b32_e32 v3, 7, v3
	v_cndmask_b32_e32 v4, v5, v4, vcc
	v_cndmask_b32_e32 v0, v0, v3, vcc
	v_lshlrev_b32_e32 v3, 16, v52
	v_bfrev_b32_e32 v5, 60
	v_lshlrev_b32_e32 v0, 20, v0
	v_and_b32_e32 v3, 0x80000000, v3
	v_lshl_add_u32 v4, v4, 23, v5
	v_or3_b32 v0, v3, v4, v0
.LBB6_14765:                            ;   in Loop: Header=BB6_12355 Depth=2
	s_or_b64 exec, exec, s[78:79]
.LBB6_14766:                            ;   in Loop: Header=BB6_12355 Depth=2
	s_or_b64 exec, exec, s[76:77]
.LBB6_14767:                            ;   in Loop: Header=BB6_12355 Depth=2
	s_or_b64 exec, exec, s[20:21]
	v_mul_f32_e32 v3, v19, v0
	v_and_b32_e32 v52, 0x7f800000, v3
	v_cmp_ne_u64_e32 vcc, s[46:47], v[52:53]
                                        ; implicit-def: $vgpr28
	s_and_saveexec_b64 s[20:21], vcc
	s_xor_b64 s[76:77], exec, s[20:21]
	s_cbranch_execz .LBB6_14781
; %bb.14768:                            ;   in Loop: Header=BB6_12355 Depth=2
	v_and_b32_e32 v52, 0x7fffffff, v3
	v_cmp_gt_u64_e32 vcc, s[56:57], v[52:53]
	v_and_b32_sdwa v0, v3, s48 dst_sel:DWORD dst_unused:UNUSED_PAD src0_sel:BYTE_3 src1_sel:DWORD
                                        ; implicit-def: $vgpr28
	s_and_saveexec_b64 s[20:21], vcc
	s_xor_b64 s[78:79], exec, s[20:21]
	s_cbranch_execz .LBB6_14778
; %bb.14769:                            ;   in Loop: Header=BB6_12355 Depth=2
	v_mov_b32_e32 v28, 0
	v_cmp_ne_u32_e32 vcc, 0, v3
	s_and_saveexec_b64 s[88:89], vcc
	s_cbranch_execz .LBB6_14777
; %bb.14770:                            ;   in Loop: Header=BB6_12355 Depth=2
	v_and_b32_e32 v5, 0x7fffff, v3
	v_bfe_u32 v3, v3, 23, 8
	v_cmp_gt_u32_e64 s[20:21], s49, v3
	v_sub_u32_e32 v4, 0x79, v3
	v_cmp_eq_u32_e32 vcc, 0, v3
	v_cndmask_b32_e64 v4, 0, v4, s[20:21]
	v_mov_b32_e32 v7, 0x78
	v_or_b32_e32 v6, 0x800000, v5
	v_cndmask_b32_e32 v4, v4, v7, vcc
	v_cndmask_b32_e32 v52, v6, v5, vcc
	v_add_u32_e32 v5, 20, v4
	v_lshlrev_b64 v[5:6], v5, -1
	v_add_u32_e32 v7, 19, v4
	v_lshlrev_b64 v[10:11], v7, 1
	v_bfi_b32 v6, v6, 0, 0
	v_bfi_b32 v5, v5, 0, v52
	v_cmp_eq_u64_e64 s[20:21], v[5:6], v[10:11]
	v_lshrrev_b64 v[10:11], v4, v[52:53]
	v_mov_b32_e32 v17, v11
	v_mov_b32_e32 v16, v10
	s_and_saveexec_b64 s[90:91], s[20:21]
; %bb.14771:                            ;   in Loop: Header=BB6_12355 Depth=2
	v_bfe_u32 v5, v10, 20, 1
	v_add_co_u32_e64 v5, s[20:21], v10, v5
	v_add_co_u32_e64 v16, s[20:21], -1, v5
; %bb.14772:                            ;   in Loop: Header=BB6_12355 Depth=2
	s_or_b64 exec, exec, s[90:91]
	v_add_u32_e32 v3, 0xffffff81, v3
	v_mov_b32_e32 v5, 0xffffff82
	v_cndmask_b32_e32 v3, v3, v5, vcc
	v_lshrrev_b32_e32 v5, 23, v10
	v_add3_u32 v5, v4, v3, v5
	v_add_u32_e32 v4, 6, v5
	v_and_b32_e32 v3, 0xfffff, v16
	v_add_u32_e32 v52, v3, v10
	v_cmp_ne_u32_e32 vcc, 0, v4
                                        ; implicit-def: $vgpr10_vgpr11
                                        ; implicit-def: $vgpr3
	s_and_saveexec_b64 s[20:21], vcc
	s_xor_b64 s[20:21], exec, s[20:21]
; %bb.14773:                            ;   in Loop: Header=BB6_12355 Depth=2
	v_cmp_lt_u64_e32 vcc, s[58:59], v[52:53]
	v_add_u32_e32 v3, 7, v5
	v_cndmask_b32_e32 v3, v4, v3, vcc
	v_cndmask_b32_e64 v4, 0, 1, vcc
	v_lshrrev_b64 v[10:11], v4, v[52:53]
; %bb.14774:                            ;   in Loop: Header=BB6_12355 Depth=2
	s_andn2_saveexec_b64 s[20:21], s[20:21]
; %bb.14775:                            ;   in Loop: Header=BB6_12355 Depth=2
	v_mov_b32_e32 v10, v52
	v_bfe_u32 v3, v52, 23, 1
	v_mov_b32_e32 v11, v53
; %bb.14776:                            ;   in Loop: Header=BB6_12355 Depth=2
	s_or_b64 exec, exec, s[20:21]
	v_lshrrev_b64 v[4:5], 20, v[10:11]
	v_cmp_gt_i32_e32 vcc, 16, v3
	v_cndmask_b32_e32 v5, 0, v5, vcc
	v_cndmask_b32_e32 v4, 7, v4, vcc
	v_cmp_eq_u32_e32 vcc, 0, v3
	v_min_i32_e32 v3, 15, v3
	v_cmp_eq_u64_e64 s[20:21], 0, v[4:5]
	v_lshlrev_b32_e32 v3, 3, v3
	v_and_b32_e32 v3, 0xf8, v3
	v_and_or_b32 v3, v4, 7, v3
	s_and_b64 s[20:21], vcc, s[20:21]
	v_cndmask_b32_e64 v3, v3, 0, s[20:21]
	v_or_b32_e32 v28, v3, v0
.LBB6_14777:                            ;   in Loop: Header=BB6_12355 Depth=2
	s_or_b64 exec, exec, s[88:89]
                                        ; implicit-def: $vgpr0
.LBB6_14778:                            ;   in Loop: Header=BB6_12355 Depth=2
	s_andn2_saveexec_b64 s[20:21], s[78:79]
; %bb.14779:                            ;   in Loop: Header=BB6_12355 Depth=2
	v_or_b32_e32 v28, 0x7e, v0
; %bb.14780:                            ;   in Loop: Header=BB6_12355 Depth=2
	s_or_b64 exec, exec, s[20:21]
                                        ; implicit-def: $vgpr3
.LBB6_14781:                            ;   in Loop: Header=BB6_12355 Depth=2
	s_andn2_saveexec_b64 s[20:21], s[76:77]
; %bb.14782:                            ;   in Loop: Header=BB6_12355 Depth=2
	v_or_b32_sdwa v28, v3, s39 dst_sel:DWORD dst_unused:UNUSED_PAD src0_sel:BYTE_3 src1_sel:DWORD
; %bb.14783:                            ;   in Loop: Header=BB6_12355 Depth=2
	s_or_b64 exec, exec, s[20:21]
	v_lshrrev_b32_e32 v10, 16, v13
	v_cmp_ne_u16_sdwa s[76:77], v10, v53 src0_sel:BYTE_0 src1_sel:DWORD
	v_mov_b32_e32 v0, 0
	s_and_saveexec_b64 s[20:21], s[76:77]
	s_cbranch_execz .LBB6_14789
; %bb.14784:                            ;   in Loop: Header=BB6_12355 Depth=2
	v_cmp_ne_u16_sdwa s[78:79], v10, s48 src0_sel:BYTE_0 src1_sel:DWORD
	v_bfrev_b32_e32 v0, 1
	s_and_saveexec_b64 s[76:77], s[78:79]
	s_cbranch_execz .LBB6_14788
; %bb.14785:                            ;   in Loop: Header=BB6_12355 Depth=2
	v_bfe_u32 v3, v13, 16, 7
	v_cmp_ne_u32_e32 vcc, s39, v3
	v_mov_b32_e32 v0, 0x7f800001
	s_and_saveexec_b64 s[78:79], vcc
	s_cbranch_execz .LBB6_14787
; %bb.14786:                            ;   in Loop: Header=BB6_12355 Depth=2
	v_and_b32_e32 v0, 7, v10
	v_lshrrev_b32_e32 v5, 3, v3
	v_cmp_gt_u32_e32 vcc, 8, v3
	v_ffbh_u32_e32 v3, v0
	v_min_u32_e32 v6, 32, v3
	v_subrev_u32_e32 v3, 28, v6
	v_lshlrev_b64 v[3:4], v3, v[10:11]
	v_sub_u32_e32 v4, 29, v6
	v_and_b32_e32 v3, 7, v3
	v_cndmask_b32_e32 v4, v5, v4, vcc
	v_cndmask_b32_e32 v0, v0, v3, vcc
	v_lshlrev_b32_e32 v3, 24, v10
	v_bfrev_b32_e32 v5, 60
	v_lshlrev_b32_e32 v0, 20, v0
	v_and_b32_e32 v3, 0x80000000, v3
	v_lshl_add_u32 v4, v4, 23, v5
	v_or3_b32 v0, v3, v4, v0
.LBB6_14787:                            ;   in Loop: Header=BB6_12355 Depth=2
	s_or_b64 exec, exec, s[78:79]
.LBB6_14788:                            ;   in Loop: Header=BB6_12355 Depth=2
	s_or_b64 exec, exec, s[76:77]
.LBB6_14789:                            ;   in Loop: Header=BB6_12355 Depth=2
	s_or_b64 exec, exec, s[20:21]
	v_mul_f32_e32 v3, v19, v0
	v_and_b32_e32 v52, 0x7f800000, v3
	v_cmp_ne_u64_e32 vcc, s[46:47], v[52:53]
                                        ; implicit-def: $vgpr17
	s_and_saveexec_b64 s[20:21], vcc
	s_xor_b64 s[76:77], exec, s[20:21]
	s_cbranch_execz .LBB6_14803
; %bb.14790:                            ;   in Loop: Header=BB6_12355 Depth=2
	v_and_b32_e32 v52, 0x7fffffff, v3
	v_cmp_gt_u64_e32 vcc, s[56:57], v[52:53]
	v_and_b32_sdwa v0, v3, s48 dst_sel:DWORD dst_unused:UNUSED_PAD src0_sel:BYTE_3 src1_sel:DWORD
                                        ; implicit-def: $vgpr17
	s_and_saveexec_b64 s[20:21], vcc
	s_xor_b64 s[78:79], exec, s[20:21]
	s_cbranch_execz .LBB6_14800
; %bb.14791:                            ;   in Loop: Header=BB6_12355 Depth=2
	v_mov_b32_e32 v17, 0
	v_cmp_ne_u32_e32 vcc, 0, v3
	s_and_saveexec_b64 s[88:89], vcc
	s_cbranch_execz .LBB6_14799
; %bb.14792:                            ;   in Loop: Header=BB6_12355 Depth=2
	v_and_b32_e32 v5, 0x7fffff, v3
	v_bfe_u32 v3, v3, 23, 8
	v_cmp_gt_u32_e64 s[20:21], s49, v3
	v_sub_u32_e32 v4, 0x79, v3
	v_cmp_eq_u32_e32 vcc, 0, v3
	v_cndmask_b32_e64 v4, 0, v4, s[20:21]
	v_mov_b32_e32 v7, 0x78
	v_or_b32_e32 v6, 0x800000, v5
	v_cndmask_b32_e32 v4, v4, v7, vcc
	v_cndmask_b32_e32 v52, v6, v5, vcc
	v_add_u32_e32 v5, 20, v4
	v_lshlrev_b64 v[5:6], v5, -1
	v_add_u32_e32 v7, 19, v4
	v_lshlrev_b64 v[10:11], v7, 1
	v_bfi_b32 v6, v6, 0, 0
	v_bfi_b32 v5, v5, 0, v52
	v_cmp_eq_u64_e64 s[20:21], v[5:6], v[10:11]
	v_lshrrev_b64 v[10:11], v4, v[52:53]
	v_mov_b32_e32 v17, v11
	v_mov_b32_e32 v16, v10
	s_and_saveexec_b64 s[90:91], s[20:21]
; %bb.14793:                            ;   in Loop: Header=BB6_12355 Depth=2
	v_bfe_u32 v5, v10, 20, 1
	v_add_co_u32_e64 v5, s[20:21], v10, v5
	v_add_co_u32_e64 v16, s[20:21], -1, v5
; %bb.14794:                            ;   in Loop: Header=BB6_12355 Depth=2
	s_or_b64 exec, exec, s[90:91]
	v_add_u32_e32 v3, 0xffffff81, v3
	v_mov_b32_e32 v5, 0xffffff82
	v_cndmask_b32_e32 v3, v3, v5, vcc
	v_lshrrev_b32_e32 v5, 23, v10
	v_add3_u32 v5, v4, v3, v5
	v_add_u32_e32 v4, 6, v5
	v_and_b32_e32 v3, 0xfffff, v16
	v_add_u32_e32 v52, v3, v10
	v_cmp_ne_u32_e32 vcc, 0, v4
                                        ; implicit-def: $vgpr10_vgpr11
                                        ; implicit-def: $vgpr3
	s_and_saveexec_b64 s[20:21], vcc
	s_xor_b64 s[20:21], exec, s[20:21]
; %bb.14795:                            ;   in Loop: Header=BB6_12355 Depth=2
	v_cmp_lt_u64_e32 vcc, s[58:59], v[52:53]
	v_add_u32_e32 v3, 7, v5
	v_cndmask_b32_e32 v3, v4, v3, vcc
	v_cndmask_b32_e64 v4, 0, 1, vcc
	v_lshrrev_b64 v[10:11], v4, v[52:53]
; %bb.14796:                            ;   in Loop: Header=BB6_12355 Depth=2
	s_andn2_saveexec_b64 s[20:21], s[20:21]
; %bb.14797:                            ;   in Loop: Header=BB6_12355 Depth=2
	v_mov_b32_e32 v10, v52
	v_bfe_u32 v3, v52, 23, 1
	v_mov_b32_e32 v11, v53
; %bb.14798:                            ;   in Loop: Header=BB6_12355 Depth=2
	s_or_b64 exec, exec, s[20:21]
	v_lshrrev_b64 v[4:5], 20, v[10:11]
	v_cmp_gt_i32_e32 vcc, 16, v3
	v_cndmask_b32_e32 v5, 0, v5, vcc
	v_cndmask_b32_e32 v4, 7, v4, vcc
	v_cmp_eq_u32_e32 vcc, 0, v3
	v_min_i32_e32 v3, 15, v3
	v_cmp_eq_u64_e64 s[20:21], 0, v[4:5]
	v_lshlrev_b32_e32 v3, 3, v3
	v_and_b32_e32 v3, 0xf8, v3
	v_and_or_b32 v3, v4, 7, v3
	s_and_b64 s[20:21], vcc, s[20:21]
	v_cndmask_b32_e64 v3, v3, 0, s[20:21]
	v_or_b32_e32 v17, v3, v0
.LBB6_14799:                            ;   in Loop: Header=BB6_12355 Depth=2
	s_or_b64 exec, exec, s[88:89]
                                        ; implicit-def: $vgpr0
.LBB6_14800:                            ;   in Loop: Header=BB6_12355 Depth=2
	s_andn2_saveexec_b64 s[20:21], s[78:79]
; %bb.14801:                            ;   in Loop: Header=BB6_12355 Depth=2
	v_or_b32_e32 v17, 0x7e, v0
; %bb.14802:                            ;   in Loop: Header=BB6_12355 Depth=2
	s_or_b64 exec, exec, s[20:21]
                                        ; implicit-def: $vgpr3
.LBB6_14803:                            ;   in Loop: Header=BB6_12355 Depth=2
	s_andn2_saveexec_b64 s[20:21], s[76:77]
; %bb.14804:                            ;   in Loop: Header=BB6_12355 Depth=2
	v_or_b32_sdwa v17, v3, s39 dst_sel:DWORD dst_unused:UNUSED_PAD src0_sel:BYTE_3 src1_sel:DWORD
; %bb.14805:                            ;   in Loop: Header=BB6_12355 Depth=2
	s_or_b64 exec, exec, s[20:21]
	v_cmp_lt_u64_e32 vcc, s[60:61], v[12:13]
	v_mov_b32_e32 v0, 0
	s_and_saveexec_b64 s[20:21], vcc
	s_cbranch_execz .LBB6_14811
; %bb.14806:                            ;   in Loop: Header=BB6_12355 Depth=2
	v_lshrrev_b32_e32 v10, 24, v13
	v_cmp_ne_u32_e32 vcc, s48, v10
	v_bfrev_b32_e32 v0, 1
	s_and_saveexec_b64 s[76:77], vcc
	s_cbranch_execz .LBB6_14810
; %bb.14807:                            ;   in Loop: Header=BB6_12355 Depth=2
	v_bfe_u32 v3, v13, 24, 7
	v_cmp_ne_u32_e32 vcc, s39, v3
	v_mov_b32_e32 v0, 0x7f800001
	s_and_saveexec_b64 s[78:79], vcc
	s_cbranch_execz .LBB6_14809
; %bb.14808:                            ;   in Loop: Header=BB6_12355 Depth=2
	v_and_b32_e32 v0, 7, v10
	v_lshrrev_b32_e32 v5, 3, v3
	v_cmp_gt_u32_e32 vcc, 8, v3
	v_ffbh_u32_e32 v3, v0
	v_min_u32_e32 v6, 32, v3
	v_subrev_u32_e32 v3, 28, v6
	v_lshlrev_b64 v[3:4], v3, v[10:11]
	v_sub_u32_e32 v4, 29, v6
	v_and_b32_e32 v3, 7, v3
	v_cndmask_b32_e32 v4, v5, v4, vcc
	v_cndmask_b32_e32 v0, v0, v3, vcc
	v_lshlrev_b32_e32 v3, 24, v10
	v_bfrev_b32_e32 v5, 60
	v_lshlrev_b32_e32 v0, 20, v0
	v_and_b32_e32 v3, 0x80000000, v3
	v_lshl_add_u32 v4, v4, 23, v5
	v_or3_b32 v0, v3, v4, v0
.LBB6_14809:                            ;   in Loop: Header=BB6_12355 Depth=2
	s_or_b64 exec, exec, s[78:79]
.LBB6_14810:                            ;   in Loop: Header=BB6_12355 Depth=2
	s_or_b64 exec, exec, s[76:77]
.LBB6_14811:                            ;   in Loop: Header=BB6_12355 Depth=2
	s_or_b64 exec, exec, s[20:21]
	v_mul_f32_e32 v3, v19, v0
	v_and_b32_e32 v52, 0x7f800000, v3
	v_cmp_ne_u64_e32 vcc, s[46:47], v[52:53]
                                        ; implicit-def: $vgpr48
	s_and_saveexec_b64 s[20:21], vcc
	s_xor_b64 s[76:77], exec, s[20:21]
	s_cbranch_execz .LBB6_14825
; %bb.14812:                            ;   in Loop: Header=BB6_12355 Depth=2
	v_and_b32_e32 v52, 0x7fffffff, v3
	v_cmp_gt_u64_e32 vcc, s[56:57], v[52:53]
	v_and_b32_sdwa v0, v3, s48 dst_sel:DWORD dst_unused:UNUSED_PAD src0_sel:BYTE_3 src1_sel:DWORD
                                        ; implicit-def: $vgpr48
	s_and_saveexec_b64 s[20:21], vcc
	s_xor_b64 s[78:79], exec, s[20:21]
	s_cbranch_execz .LBB6_14822
; %bb.14813:                            ;   in Loop: Header=BB6_12355 Depth=2
	v_mov_b32_e32 v48, 0
	v_cmp_ne_u32_e32 vcc, 0, v3
	s_and_saveexec_b64 s[88:89], vcc
	s_cbranch_execz .LBB6_14821
; %bb.14814:                            ;   in Loop: Header=BB6_12355 Depth=2
	v_and_b32_e32 v5, 0x7fffff, v3
	v_bfe_u32 v3, v3, 23, 8
	v_cmp_gt_u32_e64 s[20:21], s49, v3
	v_sub_u32_e32 v4, 0x79, v3
	v_cmp_eq_u32_e32 vcc, 0, v3
	v_cndmask_b32_e64 v4, 0, v4, s[20:21]
	v_mov_b32_e32 v7, 0x78
	v_or_b32_e32 v6, 0x800000, v5
	v_cndmask_b32_e32 v4, v4, v7, vcc
	v_cndmask_b32_e32 v52, v6, v5, vcc
	v_add_u32_e32 v5, 20, v4
	v_lshlrev_b64 v[5:6], v5, -1
	v_add_u32_e32 v7, 19, v4
	v_lshlrev_b64 v[10:11], v7, 1
	v_bfi_b32 v6, v6, 0, 0
	v_bfi_b32 v5, v5, 0, v52
	v_cmp_eq_u64_e64 s[20:21], v[5:6], v[10:11]
	v_lshrrev_b64 v[10:11], v4, v[52:53]
	v_mov_b32_e32 v12, v11
	v_mov_b32_e32 v11, v10
	s_and_saveexec_b64 s[90:91], s[20:21]
; %bb.14815:                            ;   in Loop: Header=BB6_12355 Depth=2
	v_bfe_u32 v5, v10, 20, 1
	v_add_co_u32_e64 v5, s[20:21], v10, v5
	v_add_co_u32_e64 v11, s[20:21], -1, v5
; %bb.14816:                            ;   in Loop: Header=BB6_12355 Depth=2
	s_or_b64 exec, exec, s[90:91]
	v_add_u32_e32 v3, 0xffffff81, v3
	v_mov_b32_e32 v5, 0xffffff82
	v_cndmask_b32_e32 v3, v3, v5, vcc
	v_lshrrev_b32_e32 v5, 23, v10
	v_add3_u32 v5, v4, v3, v5
	v_add_u32_e32 v4, 6, v5
	v_and_b32_e32 v3, 0xfffff, v11
	v_add_u32_e32 v52, v3, v10
	v_cmp_ne_u32_e32 vcc, 0, v4
                                        ; implicit-def: $vgpr10_vgpr11
                                        ; implicit-def: $vgpr3
	s_and_saveexec_b64 s[20:21], vcc
	s_xor_b64 s[20:21], exec, s[20:21]
; %bb.14817:                            ;   in Loop: Header=BB6_12355 Depth=2
	v_cmp_lt_u64_e32 vcc, s[58:59], v[52:53]
	v_add_u32_e32 v3, 7, v5
	v_cndmask_b32_e32 v3, v4, v3, vcc
	v_cndmask_b32_e64 v4, 0, 1, vcc
	v_lshrrev_b64 v[10:11], v4, v[52:53]
; %bb.14818:                            ;   in Loop: Header=BB6_12355 Depth=2
	s_andn2_saveexec_b64 s[20:21], s[20:21]
; %bb.14819:                            ;   in Loop: Header=BB6_12355 Depth=2
	v_mov_b32_e32 v10, v52
	v_bfe_u32 v3, v52, 23, 1
	v_mov_b32_e32 v11, v53
; %bb.14820:                            ;   in Loop: Header=BB6_12355 Depth=2
	s_or_b64 exec, exec, s[20:21]
	v_lshrrev_b64 v[4:5], 20, v[10:11]
	v_cmp_gt_i32_e32 vcc, 16, v3
	v_cndmask_b32_e32 v5, 0, v5, vcc
	v_cndmask_b32_e32 v4, 7, v4, vcc
	v_cmp_eq_u32_e32 vcc, 0, v3
	v_min_i32_e32 v3, 15, v3
	v_cmp_eq_u64_e64 s[20:21], 0, v[4:5]
	v_lshlrev_b32_e32 v3, 3, v3
	v_and_b32_e32 v3, 0xf8, v3
	v_and_or_b32 v3, v4, 7, v3
	s_and_b64 s[20:21], vcc, s[20:21]
	v_cndmask_b32_e64 v3, v3, 0, s[20:21]
	v_or_b32_e32 v48, v3, v0
.LBB6_14821:                            ;   in Loop: Header=BB6_12355 Depth=2
	s_or_b64 exec, exec, s[88:89]
                                        ; implicit-def: $vgpr0
.LBB6_14822:                            ;   in Loop: Header=BB6_12355 Depth=2
	s_andn2_saveexec_b64 s[20:21], s[78:79]
; %bb.14823:                            ;   in Loop: Header=BB6_12355 Depth=2
	v_or_b32_e32 v48, 0x7e, v0
; %bb.14824:                            ;   in Loop: Header=BB6_12355 Depth=2
	s_or_b64 exec, exec, s[20:21]
                                        ; implicit-def: $vgpr3
.LBB6_14825:                            ;   in Loop: Header=BB6_12355 Depth=2
	s_andn2_saveexec_b64 s[20:21], s[76:77]
; %bb.14826:                            ;   in Loop: Header=BB6_12355 Depth=2
	v_or_b32_sdwa v48, v3, s39 dst_sel:DWORD dst_unused:UNUSED_PAD src0_sel:BYTE_3 src1_sel:DWORD
; %bb.14827:                            ;   in Loop: Header=BB6_12355 Depth=2
	s_or_b64 exec, exec, s[20:21]
	v_add_co_u32_e32 v3, vcc, 0x1000, v14
	v_addc_co_u32_e32 v4, vcc, 0, v15, vcc
	global_load_dwordx4 v[10:13], v[3:4], off offset:3072 glc slc
	v_mov_b32_e32 v0, 0
	s_waitcnt vmcnt(0)
	v_cmp_ne_u16_sdwa s[76:77], v10, v53 src0_sel:BYTE_0 src1_sel:DWORD
	s_and_saveexec_b64 s[20:21], s[76:77]
	s_cbranch_execz .LBB6_14833
; %bb.14828:                            ;   in Loop: Header=BB6_12355 Depth=2
	v_cmp_ne_u16_sdwa s[78:79], v10, s48 src0_sel:BYTE_0 src1_sel:DWORD
	v_bfrev_b32_e32 v0, 1
	s_and_saveexec_b64 s[76:77], s[78:79]
	s_cbranch_execz .LBB6_14832
; %bb.14829:                            ;   in Loop: Header=BB6_12355 Depth=2
	v_and_b32_e32 v3, 0x7f, v10
	v_cmp_ne_u32_e32 vcc, s39, v3
	v_mov_b32_e32 v0, 0x7f800001
	s_and_saveexec_b64 s[78:79], vcc
	s_cbranch_execz .LBB6_14831
; %bb.14830:                            ;   in Loop: Header=BB6_12355 Depth=2
	v_and_b32_e32 v0, 7, v10
	v_ffbh_u32_e32 v0, v0
	v_min_u32_e32 v0, 32, v0
	v_lshrrev_b32_e32 v4, 3, v3
	v_cmp_gt_u32_e32 vcc, 8, v3
	v_subrev_u32_e32 v3, 28, v0
	v_sub_u32_e32 v0, 29, v0
	v_cndmask_b32_e32 v3, 0, v3, vcc
	v_cndmask_b32_e32 v0, v4, v0, vcc
	v_lshlrev_b64 v[3:4], v3, v[10:11]
	v_lshlrev_b32_e32 v4, 24, v10
	v_lshlrev_b32_e32 v3, 20, v3
	v_bfrev_b32_e32 v5, 60
	v_and_b32_e32 v3, 0x700000, v3
	v_and_b32_e32 v4, 0x80000000, v4
	v_lshl_add_u32 v0, v0, 23, v5
	v_or3_b32 v0, v4, v0, v3
.LBB6_14831:                            ;   in Loop: Header=BB6_12355 Depth=2
	s_or_b64 exec, exec, s[78:79]
.LBB6_14832:                            ;   in Loop: Header=BB6_12355 Depth=2
	s_or_b64 exec, exec, s[76:77]
.LBB6_14833:                            ;   in Loop: Header=BB6_12355 Depth=2
	s_or_b64 exec, exec, s[20:21]
	v_mul_f32_e32 v3, v19, v0
	v_and_b32_e32 v52, 0x7f800000, v3
	v_cmp_ne_u64_e32 vcc, s[46:47], v[52:53]
                                        ; implicit-def: $vgpr49
	s_and_saveexec_b64 s[20:21], vcc
	s_xor_b64 s[76:77], exec, s[20:21]
	s_cbranch_execz .LBB6_14847
; %bb.14834:                            ;   in Loop: Header=BB6_12355 Depth=2
	v_and_b32_e32 v52, 0x7fffffff, v3
	v_cmp_gt_u64_e32 vcc, s[56:57], v[52:53]
	v_and_b32_sdwa v0, v3, s48 dst_sel:DWORD dst_unused:UNUSED_PAD src0_sel:BYTE_3 src1_sel:DWORD
                                        ; implicit-def: $vgpr49
	s_and_saveexec_b64 s[20:21], vcc
	s_xor_b64 s[78:79], exec, s[20:21]
	s_cbranch_execz .LBB6_14844
; %bb.14835:                            ;   in Loop: Header=BB6_12355 Depth=2
	v_mov_b32_e32 v49, 0
	v_cmp_ne_u32_e32 vcc, 0, v3
	s_and_saveexec_b64 s[88:89], vcc
	s_cbranch_execz .LBB6_14843
; %bb.14836:                            ;   in Loop: Header=BB6_12355 Depth=2
	v_and_b32_e32 v5, 0x7fffff, v3
	v_bfe_u32 v3, v3, 23, 8
	v_cmp_gt_u32_e64 s[20:21], s49, v3
	v_sub_u32_e32 v4, 0x79, v3
	v_cmp_eq_u32_e32 vcc, 0, v3
	v_cndmask_b32_e64 v4, 0, v4, s[20:21]
	v_mov_b32_e32 v7, 0x78
	v_or_b32_e32 v6, 0x800000, v5
	v_cndmask_b32_e32 v4, v4, v7, vcc
	v_cndmask_b32_e32 v52, v6, v5, vcc
	v_add_u32_e32 v5, 20, v4
	v_lshlrev_b64 v[5:6], v5, -1
	v_add_u32_e32 v7, 19, v4
	v_lshlrev_b64 v[14:15], v7, 1
	v_bfi_b32 v6, v6, 0, 0
	v_bfi_b32 v5, v5, 0, v52
	v_cmp_eq_u64_e64 s[20:21], v[5:6], v[14:15]
	v_lshrrev_b64 v[14:15], v4, v[52:53]
	v_mov_b32_e32 v16, v15
	v_mov_b32_e32 v15, v14
	s_and_saveexec_b64 s[90:91], s[20:21]
; %bb.14837:                            ;   in Loop: Header=BB6_12355 Depth=2
	v_bfe_u32 v5, v14, 20, 1
	v_add_co_u32_e64 v5, s[20:21], v14, v5
	v_add_co_u32_e64 v15, s[20:21], -1, v5
; %bb.14838:                            ;   in Loop: Header=BB6_12355 Depth=2
	s_or_b64 exec, exec, s[90:91]
	v_add_u32_e32 v3, 0xffffff81, v3
	v_mov_b32_e32 v5, 0xffffff82
	v_cndmask_b32_e32 v3, v3, v5, vcc
	v_lshrrev_b32_e32 v5, 23, v14
	v_add3_u32 v5, v4, v3, v5
	v_add_u32_e32 v4, 6, v5
	v_and_b32_e32 v3, 0xfffff, v15
	v_add_u32_e32 v52, v3, v14
	v_cmp_ne_u32_e32 vcc, 0, v4
                                        ; implicit-def: $vgpr14_vgpr15
                                        ; implicit-def: $vgpr3
	s_and_saveexec_b64 s[20:21], vcc
	s_xor_b64 s[20:21], exec, s[20:21]
; %bb.14839:                            ;   in Loop: Header=BB6_12355 Depth=2
	v_cmp_lt_u64_e32 vcc, s[58:59], v[52:53]
	v_add_u32_e32 v3, 7, v5
	v_cndmask_b32_e32 v3, v4, v3, vcc
	v_cndmask_b32_e64 v4, 0, 1, vcc
	v_lshrrev_b64 v[14:15], v4, v[52:53]
; %bb.14840:                            ;   in Loop: Header=BB6_12355 Depth=2
	s_andn2_saveexec_b64 s[20:21], s[20:21]
; %bb.14841:                            ;   in Loop: Header=BB6_12355 Depth=2
	v_mov_b32_e32 v14, v52
	v_bfe_u32 v3, v52, 23, 1
	v_mov_b32_e32 v15, v53
; %bb.14842:                            ;   in Loop: Header=BB6_12355 Depth=2
	s_or_b64 exec, exec, s[20:21]
	v_lshrrev_b64 v[4:5], 20, v[14:15]
	v_cmp_gt_i32_e32 vcc, 16, v3
	v_cndmask_b32_e32 v5, 0, v5, vcc
	v_cndmask_b32_e32 v4, 7, v4, vcc
	v_cmp_eq_u32_e32 vcc, 0, v3
	v_min_i32_e32 v3, 15, v3
	v_cmp_eq_u64_e64 s[20:21], 0, v[4:5]
	v_lshlrev_b32_e32 v3, 3, v3
	v_and_b32_e32 v3, 0xf8, v3
	v_and_or_b32 v3, v4, 7, v3
	s_and_b64 s[20:21], vcc, s[20:21]
	v_cndmask_b32_e64 v3, v3, 0, s[20:21]
	v_or_b32_e32 v49, v3, v0
.LBB6_14843:                            ;   in Loop: Header=BB6_12355 Depth=2
	s_or_b64 exec, exec, s[88:89]
                                        ; implicit-def: $vgpr0
.LBB6_14844:                            ;   in Loop: Header=BB6_12355 Depth=2
	s_andn2_saveexec_b64 s[20:21], s[78:79]
; %bb.14845:                            ;   in Loop: Header=BB6_12355 Depth=2
	v_or_b32_e32 v49, 0x7e, v0
; %bb.14846:                            ;   in Loop: Header=BB6_12355 Depth=2
	s_or_b64 exec, exec, s[20:21]
                                        ; implicit-def: $vgpr3
.LBB6_14847:                            ;   in Loop: Header=BB6_12355 Depth=2
	s_andn2_saveexec_b64 s[20:21], s[76:77]
; %bb.14848:                            ;   in Loop: Header=BB6_12355 Depth=2
	v_or_b32_sdwa v49, v3, s39 dst_sel:DWORD dst_unused:UNUSED_PAD src0_sel:BYTE_3 src1_sel:DWORD
; %bb.14849:                            ;   in Loop: Header=BB6_12355 Depth=2
	s_or_b64 exec, exec, s[20:21]
	v_lshrrev_b16_e32 v14, 8, v10
	v_cmp_ne_u16_e32 vcc, 0, v14
	v_mov_b32_e32 v0, 0
	s_and_saveexec_b64 s[20:21], vcc
	s_cbranch_execz .LBB6_14855
; %bb.14850:                            ;   in Loop: Header=BB6_12355 Depth=2
	v_cmp_ne_u16_e32 vcc, s48, v14
	v_bfrev_b32_e32 v0, 1
	s_and_saveexec_b64 s[76:77], vcc
	s_cbranch_execz .LBB6_14854
; %bb.14851:                            ;   in Loop: Header=BB6_12355 Depth=2
	v_and_b32_e32 v3, 0x7f, v14
	v_cmp_ne_u32_e32 vcc, s39, v3
	v_mov_b32_e32 v0, 0x7f800001
	s_and_saveexec_b64 s[78:79], vcc
	s_cbranch_execz .LBB6_14853
; %bb.14852:                            ;   in Loop: Header=BB6_12355 Depth=2
	v_and_b32_e32 v0, 7, v14
	v_lshrrev_b32_e32 v5, 3, v3
	v_cmp_gt_u32_e32 vcc, 8, v3
	v_ffbh_u32_e32 v3, v0
	v_min_u32_e32 v6, 32, v3
	v_subrev_u32_e32 v3, 28, v6
	v_lshlrev_b64 v[3:4], v3, v[14:15]
	v_sub_u32_e32 v4, 29, v6
	v_and_b32_e32 v3, 7, v3
	v_cndmask_b32_e32 v4, v5, v4, vcc
	v_cndmask_b32_e32 v0, v0, v3, vcc
	v_lshlrev_b32_e32 v3, 16, v10
	v_bfrev_b32_e32 v5, 60
	v_lshlrev_b32_e32 v0, 20, v0
	v_and_b32_e32 v3, 0x80000000, v3
	v_lshl_add_u32 v4, v4, 23, v5
	v_or3_b32 v0, v3, v4, v0
.LBB6_14853:                            ;   in Loop: Header=BB6_12355 Depth=2
	s_or_b64 exec, exec, s[78:79]
.LBB6_14854:                            ;   in Loop: Header=BB6_12355 Depth=2
	s_or_b64 exec, exec, s[76:77]
.LBB6_14855:                            ;   in Loop: Header=BB6_12355 Depth=2
	s_or_b64 exec, exec, s[20:21]
	v_mul_f32_e32 v3, v19, v0
	v_and_b32_e32 v52, 0x7f800000, v3
	v_cmp_ne_u64_e32 vcc, s[46:47], v[52:53]
                                        ; implicit-def: $vgpr4
	s_and_saveexec_b64 s[20:21], vcc
	s_xor_b64 s[76:77], exec, s[20:21]
	s_cbranch_execz .LBB6_14869
; %bb.14856:                            ;   in Loop: Header=BB6_12355 Depth=2
	v_and_b32_e32 v52, 0x7fffffff, v3
	v_cmp_gt_u64_e32 vcc, s[56:57], v[52:53]
	v_and_b32_sdwa v0, v3, s48 dst_sel:DWORD dst_unused:UNUSED_PAD src0_sel:BYTE_3 src1_sel:DWORD
                                        ; implicit-def: $vgpr4
	s_and_saveexec_b64 s[20:21], vcc
	s_xor_b64 s[78:79], exec, s[20:21]
	s_cbranch_execz .LBB6_14866
; %bb.14857:                            ;   in Loop: Header=BB6_12355 Depth=2
	v_mov_b32_e32 v4, 0
	v_cmp_ne_u32_e32 vcc, 0, v3
	s_and_saveexec_b64 s[88:89], vcc
	s_cbranch_execz .LBB6_14865
; %bb.14858:                            ;   in Loop: Header=BB6_12355 Depth=2
	v_and_b32_e32 v5, 0x7fffff, v3
	v_bfe_u32 v3, v3, 23, 8
	v_cmp_gt_u32_e64 s[20:21], s49, v3
	v_sub_u32_e32 v4, 0x79, v3
	v_cmp_eq_u32_e32 vcc, 0, v3
	v_cndmask_b32_e64 v4, 0, v4, s[20:21]
	v_mov_b32_e32 v7, 0x78
	v_or_b32_e32 v6, 0x800000, v5
	v_cndmask_b32_e32 v4, v4, v7, vcc
	v_cndmask_b32_e32 v52, v6, v5, vcc
	v_add_u32_e32 v5, 20, v4
	v_lshlrev_b64 v[5:6], v5, -1
	v_add_u32_e32 v7, 19, v4
	v_lshlrev_b64 v[14:15], v7, 1
	v_bfi_b32 v6, v6, 0, 0
	v_bfi_b32 v5, v5, 0, v52
	v_cmp_eq_u64_e64 s[20:21], v[5:6], v[14:15]
	v_lshrrev_b64 v[14:15], v4, v[52:53]
	v_mov_b32_e32 v16, v15
	v_mov_b32_e32 v15, v14
	s_and_saveexec_b64 s[90:91], s[20:21]
; %bb.14859:                            ;   in Loop: Header=BB6_12355 Depth=2
	v_bfe_u32 v5, v14, 20, 1
	v_add_co_u32_e64 v5, s[20:21], v14, v5
	v_add_co_u32_e64 v15, s[20:21], -1, v5
; %bb.14860:                            ;   in Loop: Header=BB6_12355 Depth=2
	s_or_b64 exec, exec, s[90:91]
	v_add_u32_e32 v3, 0xffffff81, v3
	v_mov_b32_e32 v5, 0xffffff82
	v_cndmask_b32_e32 v3, v3, v5, vcc
	v_lshrrev_b32_e32 v5, 23, v14
	v_add3_u32 v5, v4, v3, v5
	v_add_u32_e32 v4, 6, v5
	v_and_b32_e32 v3, 0xfffff, v15
	v_add_u32_e32 v52, v3, v14
	v_cmp_ne_u32_e32 vcc, 0, v4
                                        ; implicit-def: $vgpr14_vgpr15
                                        ; implicit-def: $vgpr3
	s_and_saveexec_b64 s[20:21], vcc
	s_xor_b64 s[20:21], exec, s[20:21]
; %bb.14861:                            ;   in Loop: Header=BB6_12355 Depth=2
	v_cmp_lt_u64_e32 vcc, s[58:59], v[52:53]
	v_add_u32_e32 v3, 7, v5
	v_cndmask_b32_e32 v3, v4, v3, vcc
	v_cndmask_b32_e64 v4, 0, 1, vcc
	v_lshrrev_b64 v[14:15], v4, v[52:53]
; %bb.14862:                            ;   in Loop: Header=BB6_12355 Depth=2
	s_andn2_saveexec_b64 s[20:21], s[20:21]
; %bb.14863:                            ;   in Loop: Header=BB6_12355 Depth=2
	v_mov_b32_e32 v14, v52
	v_bfe_u32 v3, v52, 23, 1
	v_mov_b32_e32 v15, v53
; %bb.14864:                            ;   in Loop: Header=BB6_12355 Depth=2
	s_or_b64 exec, exec, s[20:21]
	v_lshrrev_b64 v[4:5], 20, v[14:15]
	v_cmp_gt_i32_e32 vcc, 16, v3
	v_cndmask_b32_e32 v5, 0, v5, vcc
	v_cndmask_b32_e32 v4, 7, v4, vcc
	v_cmp_eq_u32_e32 vcc, 0, v3
	v_min_i32_e32 v3, 15, v3
	v_cmp_eq_u64_e64 s[20:21], 0, v[4:5]
	v_lshlrev_b32_e32 v3, 3, v3
	v_and_b32_e32 v3, 0xf8, v3
	v_and_or_b32 v3, v4, 7, v3
	s_and_b64 s[20:21], vcc, s[20:21]
	v_cndmask_b32_e64 v3, v3, 0, s[20:21]
	v_or_b32_e32 v4, v3, v0
.LBB6_14865:                            ;   in Loop: Header=BB6_12355 Depth=2
	s_or_b64 exec, exec, s[88:89]
                                        ; implicit-def: $vgpr0
.LBB6_14866:                            ;   in Loop: Header=BB6_12355 Depth=2
	s_andn2_saveexec_b64 s[20:21], s[78:79]
; %bb.14867:                            ;   in Loop: Header=BB6_12355 Depth=2
	v_or_b32_e32 v4, 0x7e, v0
; %bb.14868:                            ;   in Loop: Header=BB6_12355 Depth=2
	s_or_b64 exec, exec, s[20:21]
                                        ; implicit-def: $vgpr3
.LBB6_14869:                            ;   in Loop: Header=BB6_12355 Depth=2
	s_andn2_saveexec_b64 s[20:21], s[76:77]
; %bb.14870:                            ;   in Loop: Header=BB6_12355 Depth=2
	v_or_b32_sdwa v4, v3, s39 dst_sel:DWORD dst_unused:UNUSED_PAD src0_sel:BYTE_3 src1_sel:DWORD
; %bb.14871:                            ;   in Loop: Header=BB6_12355 Depth=2
	s_or_b64 exec, exec, s[20:21]
	v_lshrrev_b32_e32 v14, 16, v10
	v_cmp_ne_u16_sdwa s[76:77], v14, v53 src0_sel:BYTE_0 src1_sel:DWORD
	v_mov_b32_e32 v0, 0
	s_and_saveexec_b64 s[20:21], s[76:77]
	s_cbranch_execz .LBB6_14877
; %bb.14872:                            ;   in Loop: Header=BB6_12355 Depth=2
	v_cmp_ne_u16_sdwa s[78:79], v14, s48 src0_sel:BYTE_0 src1_sel:DWORD
	v_bfrev_b32_e32 v0, 1
	s_and_saveexec_b64 s[76:77], s[78:79]
	s_cbranch_execz .LBB6_14876
; %bb.14873:                            ;   in Loop: Header=BB6_12355 Depth=2
	v_bfe_u32 v3, v10, 16, 7
	v_cmp_ne_u32_e32 vcc, s39, v3
	v_mov_b32_e32 v0, 0x7f800001
	s_and_saveexec_b64 s[78:79], vcc
	s_cbranch_execz .LBB6_14875
; %bb.14874:                            ;   in Loop: Header=BB6_12355 Depth=2
	v_and_b32_e32 v0, 7, v14
	v_lshrrev_b32_e32 v7, 3, v3
	v_cmp_gt_u32_e32 vcc, 8, v3
	v_ffbh_u32_e32 v3, v0
	v_min_u32_e32 v3, 32, v3
	v_subrev_u32_e32 v5, 28, v3
	v_lshlrev_b64 v[5:6], v5, v[14:15]
	v_sub_u32_e32 v3, 29, v3
	v_and_b32_e32 v5, 7, v5
	v_cndmask_b32_e32 v3, v7, v3, vcc
	v_cndmask_b32_e32 v0, v0, v5, vcc
	v_lshlrev_b32_e32 v5, 24, v14
	v_bfrev_b32_e32 v6, 60
	v_lshlrev_b32_e32 v0, 20, v0
	v_and_b32_e32 v5, 0x80000000, v5
	v_lshl_add_u32 v3, v3, 23, v6
	v_or3_b32 v0, v5, v3, v0
.LBB6_14875:                            ;   in Loop: Header=BB6_12355 Depth=2
	s_or_b64 exec, exec, s[78:79]
.LBB6_14876:                            ;   in Loop: Header=BB6_12355 Depth=2
	s_or_b64 exec, exec, s[76:77]
.LBB6_14877:                            ;   in Loop: Header=BB6_12355 Depth=2
	s_or_b64 exec, exec, s[20:21]
	v_mul_f32_e32 v3, v19, v0
	v_and_b32_e32 v52, 0x7f800000, v3
	v_cmp_ne_u64_e32 vcc, s[46:47], v[52:53]
                                        ; implicit-def: $vgpr5
	s_and_saveexec_b64 s[20:21], vcc
	s_xor_b64 s[76:77], exec, s[20:21]
	s_cbranch_execz .LBB6_14891
; %bb.14878:                            ;   in Loop: Header=BB6_12355 Depth=2
	v_and_b32_e32 v52, 0x7fffffff, v3
	v_cmp_gt_u64_e32 vcc, s[56:57], v[52:53]
	v_and_b32_sdwa v0, v3, s48 dst_sel:DWORD dst_unused:UNUSED_PAD src0_sel:BYTE_3 src1_sel:DWORD
                                        ; implicit-def: $vgpr5
	s_and_saveexec_b64 s[20:21], vcc
	s_xor_b64 s[78:79], exec, s[20:21]
	s_cbranch_execz .LBB6_14888
; %bb.14879:                            ;   in Loop: Header=BB6_12355 Depth=2
	v_mov_b32_e32 v5, 0
	v_cmp_ne_u32_e32 vcc, 0, v3
	s_and_saveexec_b64 s[88:89], vcc
	s_cbranch_execz .LBB6_14887
; %bb.14880:                            ;   in Loop: Header=BB6_12355 Depth=2
	v_and_b32_e32 v6, 0x7fffff, v3
	v_bfe_u32 v3, v3, 23, 8
	v_cmp_gt_u32_e64 s[20:21], s49, v3
	v_sub_u32_e32 v5, 0x79, v3
	v_cmp_eq_u32_e32 vcc, 0, v3
	v_cndmask_b32_e64 v5, 0, v5, s[20:21]
	v_mov_b32_e32 v14, 0x78
	v_or_b32_e32 v7, 0x800000, v6
	v_cndmask_b32_e32 v5, v5, v14, vcc
	v_cndmask_b32_e32 v52, v7, v6, vcc
	v_add_u32_e32 v6, 20, v5
	v_lshlrev_b64 v[6:7], v6, -1
	v_add_u32_e32 v14, 19, v5
	v_lshlrev_b64 v[14:15], v14, 1
	v_bfi_b32 v7, v7, 0, 0
	v_bfi_b32 v6, v6, 0, v52
	v_cmp_eq_u64_e64 s[20:21], v[6:7], v[14:15]
	v_lshrrev_b64 v[14:15], v5, v[52:53]
	v_mov_b32_e32 v16, v15
	v_mov_b32_e32 v15, v14
	s_and_saveexec_b64 s[90:91], s[20:21]
; %bb.14881:                            ;   in Loop: Header=BB6_12355 Depth=2
	v_bfe_u32 v6, v14, 20, 1
	v_add_co_u32_e64 v6, s[20:21], v14, v6
	v_add_co_u32_e64 v15, s[20:21], -1, v6
; %bb.14882:                            ;   in Loop: Header=BB6_12355 Depth=2
	s_or_b64 exec, exec, s[90:91]
	v_add_u32_e32 v3, 0xffffff81, v3
	v_mov_b32_e32 v6, 0xffffff82
	v_cndmask_b32_e32 v3, v3, v6, vcc
	v_lshrrev_b32_e32 v6, 23, v14
	v_add3_u32 v6, v5, v3, v6
	v_add_u32_e32 v5, 6, v6
	v_and_b32_e32 v3, 0xfffff, v15
	v_add_u32_e32 v52, v3, v14
	v_cmp_ne_u32_e32 vcc, 0, v5
                                        ; implicit-def: $vgpr14_vgpr15
                                        ; implicit-def: $vgpr3
	s_and_saveexec_b64 s[20:21], vcc
	s_xor_b64 s[20:21], exec, s[20:21]
; %bb.14883:                            ;   in Loop: Header=BB6_12355 Depth=2
	v_cmp_lt_u64_e32 vcc, s[58:59], v[52:53]
	v_add_u32_e32 v3, 7, v6
	v_cndmask_b32_e32 v3, v5, v3, vcc
	v_cndmask_b32_e64 v5, 0, 1, vcc
	v_lshrrev_b64 v[14:15], v5, v[52:53]
; %bb.14884:                            ;   in Loop: Header=BB6_12355 Depth=2
	s_andn2_saveexec_b64 s[20:21], s[20:21]
; %bb.14885:                            ;   in Loop: Header=BB6_12355 Depth=2
	v_mov_b32_e32 v14, v52
	v_bfe_u32 v3, v52, 23, 1
	v_mov_b32_e32 v15, v53
; %bb.14886:                            ;   in Loop: Header=BB6_12355 Depth=2
	s_or_b64 exec, exec, s[20:21]
	v_lshrrev_b64 v[5:6], 20, v[14:15]
	v_cmp_gt_i32_e32 vcc, 16, v3
	v_cndmask_b32_e32 v6, 0, v6, vcc
	v_cndmask_b32_e32 v5, 7, v5, vcc
	v_cmp_eq_u32_e32 vcc, 0, v3
	v_min_i32_e32 v3, 15, v3
	v_cmp_eq_u64_e64 s[20:21], 0, v[5:6]
	v_lshlrev_b32_e32 v3, 3, v3
	v_and_b32_e32 v3, 0xf8, v3
	v_and_or_b32 v3, v5, 7, v3
	s_and_b64 s[20:21], vcc, s[20:21]
	v_cndmask_b32_e64 v3, v3, 0, s[20:21]
	v_or_b32_e32 v5, v3, v0
.LBB6_14887:                            ;   in Loop: Header=BB6_12355 Depth=2
	s_or_b64 exec, exec, s[88:89]
                                        ; implicit-def: $vgpr0
.LBB6_14888:                            ;   in Loop: Header=BB6_12355 Depth=2
	s_andn2_saveexec_b64 s[20:21], s[78:79]
; %bb.14889:                            ;   in Loop: Header=BB6_12355 Depth=2
	v_or_b32_e32 v5, 0x7e, v0
; %bb.14890:                            ;   in Loop: Header=BB6_12355 Depth=2
	s_or_b64 exec, exec, s[20:21]
                                        ; implicit-def: $vgpr3
.LBB6_14891:                            ;   in Loop: Header=BB6_12355 Depth=2
	s_andn2_saveexec_b64 s[20:21], s[76:77]
; %bb.14892:                            ;   in Loop: Header=BB6_12355 Depth=2
	v_or_b32_sdwa v5, v3, s39 dst_sel:DWORD dst_unused:UNUSED_PAD src0_sel:BYTE_3 src1_sel:DWORD
; %bb.14893:                            ;   in Loop: Header=BB6_12355 Depth=2
	s_or_b64 exec, exec, s[20:21]
	v_cmp_lt_u32_e32 vcc, s61, v10
	v_mov_b32_e32 v0, 0
	s_and_saveexec_b64 s[20:21], vcc
	s_cbranch_execz .LBB6_14899
; %bb.14894:                            ;   in Loop: Header=BB6_12355 Depth=2
	v_lshrrev_b32_e32 v14, 24, v10
	v_cmp_ne_u32_e32 vcc, s48, v14
	v_bfrev_b32_e32 v0, 1
	s_and_saveexec_b64 s[76:77], vcc
	s_cbranch_execz .LBB6_14898
; %bb.14895:                            ;   in Loop: Header=BB6_12355 Depth=2
	v_bfe_u32 v3, v10, 24, 7
	v_cmp_ne_u32_e32 vcc, s39, v3
	v_mov_b32_e32 v0, 0x7f800001
	s_and_saveexec_b64 s[78:79], vcc
	s_cbranch_execz .LBB6_14897
; %bb.14896:                            ;   in Loop: Header=BB6_12355 Depth=2
	v_and_b32_e32 v0, 7, v14
	v_lshrrev_b32_e32 v15, 3, v3
	v_cmp_gt_u32_e32 vcc, 8, v3
	v_ffbh_u32_e32 v3, v0
	v_min_u32_e32 v3, 32, v3
	v_subrev_u32_e32 v6, 28, v3
	v_lshlrev_b64 v[6:7], v6, v[14:15]
	v_sub_u32_e32 v3, 29, v3
	v_and_b32_e32 v6, 7, v6
	v_cndmask_b32_e32 v3, v15, v3, vcc
	v_cndmask_b32_e32 v0, v0, v6, vcc
	v_lshlrev_b32_e32 v6, 24, v14
	v_bfrev_b32_e32 v7, 60
	v_lshlrev_b32_e32 v0, 20, v0
	v_and_b32_e32 v6, 0x80000000, v6
	v_lshl_add_u32 v3, v3, 23, v7
	v_or3_b32 v0, v6, v3, v0
.LBB6_14897:                            ;   in Loop: Header=BB6_12355 Depth=2
	s_or_b64 exec, exec, s[78:79]
.LBB6_14898:                            ;   in Loop: Header=BB6_12355 Depth=2
	s_or_b64 exec, exec, s[76:77]
.LBB6_14899:                            ;   in Loop: Header=BB6_12355 Depth=2
	s_or_b64 exec, exec, s[20:21]
	v_mul_f32_e32 v3, v19, v0
	v_and_b32_e32 v52, 0x7f800000, v3
	v_cmp_ne_u64_e32 vcc, s[46:47], v[52:53]
                                        ; implicit-def: $vgpr36
	s_and_saveexec_b64 s[20:21], vcc
	s_xor_b64 s[76:77], exec, s[20:21]
	s_cbranch_execz .LBB6_14913
; %bb.14900:                            ;   in Loop: Header=BB6_12355 Depth=2
	v_and_b32_e32 v52, 0x7fffffff, v3
	v_cmp_gt_u64_e32 vcc, s[56:57], v[52:53]
	v_and_b32_sdwa v0, v3, s48 dst_sel:DWORD dst_unused:UNUSED_PAD src0_sel:BYTE_3 src1_sel:DWORD
                                        ; implicit-def: $vgpr36
	s_and_saveexec_b64 s[20:21], vcc
	s_xor_b64 s[78:79], exec, s[20:21]
	s_cbranch_execz .LBB6_14910
; %bb.14901:                            ;   in Loop: Header=BB6_12355 Depth=2
	v_mov_b32_e32 v36, 0
	v_cmp_ne_u32_e32 vcc, 0, v3
	s_and_saveexec_b64 s[88:89], vcc
	s_cbranch_execz .LBB6_14909
; %bb.14902:                            ;   in Loop: Header=BB6_12355 Depth=2
	v_and_b32_e32 v7, 0x7fffff, v3
	v_bfe_u32 v3, v3, 23, 8
	v_cmp_gt_u32_e64 s[20:21], s49, v3
	v_sub_u32_e32 v6, 0x79, v3
	v_cmp_eq_u32_e32 vcc, 0, v3
	v_cndmask_b32_e64 v6, 0, v6, s[20:21]
	v_mov_b32_e32 v15, 0x78
	v_or_b32_e32 v14, 0x800000, v7
	v_cndmask_b32_e32 v6, v6, v15, vcc
	v_cndmask_b32_e32 v52, v14, v7, vcc
	v_add_u32_e32 v7, 20, v6
	v_lshlrev_b64 v[14:15], v7, -1
	v_add_u32_e32 v7, 19, v6
	v_lshlrev_b64 v[32:33], v7, 1
	v_bfi_b32 v15, v15, 0, 0
	v_bfi_b32 v14, v14, 0, v52
	v_cmp_eq_u64_e64 s[20:21], v[14:15], v[32:33]
	v_lshrrev_b64 v[14:15], v6, v[52:53]
	v_mov_b32_e32 v16, v15
	v_mov_b32_e32 v15, v14
	s_and_saveexec_b64 s[90:91], s[20:21]
; %bb.14903:                            ;   in Loop: Header=BB6_12355 Depth=2
	v_bfe_u32 v7, v14, 20, 1
	v_add_co_u32_e64 v7, s[20:21], v14, v7
	v_add_co_u32_e64 v15, s[20:21], -1, v7
; %bb.14904:                            ;   in Loop: Header=BB6_12355 Depth=2
	s_or_b64 exec, exec, s[90:91]
	v_add_u32_e32 v3, 0xffffff81, v3
	v_mov_b32_e32 v7, 0xffffff82
	v_cndmask_b32_e32 v3, v3, v7, vcc
	v_lshrrev_b32_e32 v7, 23, v14
	v_add3_u32 v7, v6, v3, v7
	v_add_u32_e32 v6, 6, v7
	v_and_b32_e32 v3, 0xfffff, v15
	v_add_u32_e32 v52, v3, v14
	v_cmp_ne_u32_e32 vcc, 0, v6
                                        ; implicit-def: $vgpr14_vgpr15
                                        ; implicit-def: $vgpr3
	s_and_saveexec_b64 s[20:21], vcc
	s_xor_b64 s[20:21], exec, s[20:21]
; %bb.14905:                            ;   in Loop: Header=BB6_12355 Depth=2
	v_cmp_lt_u64_e32 vcc, s[58:59], v[52:53]
	v_add_u32_e32 v3, 7, v7
	v_cndmask_b32_e32 v3, v6, v3, vcc
	v_cndmask_b32_e64 v6, 0, 1, vcc
	v_lshrrev_b64 v[14:15], v6, v[52:53]
; %bb.14906:                            ;   in Loop: Header=BB6_12355 Depth=2
	s_andn2_saveexec_b64 s[20:21], s[20:21]
; %bb.14907:                            ;   in Loop: Header=BB6_12355 Depth=2
	v_mov_b32_e32 v14, v52
	v_bfe_u32 v3, v52, 23, 1
	v_mov_b32_e32 v15, v53
; %bb.14908:                            ;   in Loop: Header=BB6_12355 Depth=2
	s_or_b64 exec, exec, s[20:21]
	v_lshrrev_b64 v[6:7], 20, v[14:15]
	v_cmp_gt_i32_e32 vcc, 16, v3
	v_cndmask_b32_e32 v7, 0, v7, vcc
	v_cndmask_b32_e32 v6, 7, v6, vcc
	v_cmp_eq_u32_e32 vcc, 0, v3
	v_min_i32_e32 v3, 15, v3
	v_cmp_eq_u64_e64 s[20:21], 0, v[6:7]
	v_lshlrev_b32_e32 v3, 3, v3
	v_and_b32_e32 v3, 0xf8, v3
	v_and_or_b32 v3, v6, 7, v3
	s_and_b64 s[20:21], vcc, s[20:21]
	v_cndmask_b32_e64 v3, v3, 0, s[20:21]
	v_or_b32_e32 v36, v3, v0
.LBB6_14909:                            ;   in Loop: Header=BB6_12355 Depth=2
	s_or_b64 exec, exec, s[88:89]
                                        ; implicit-def: $vgpr0
.LBB6_14910:                            ;   in Loop: Header=BB6_12355 Depth=2
	s_andn2_saveexec_b64 s[20:21], s[78:79]
; %bb.14911:                            ;   in Loop: Header=BB6_12355 Depth=2
	v_or_b32_e32 v36, 0x7e, v0
; %bb.14912:                            ;   in Loop: Header=BB6_12355 Depth=2
	s_or_b64 exec, exec, s[20:21]
                                        ; implicit-def: $vgpr3
.LBB6_14913:                            ;   in Loop: Header=BB6_12355 Depth=2
	s_andn2_saveexec_b64 s[20:21], s[76:77]
; %bb.14914:                            ;   in Loop: Header=BB6_12355 Depth=2
	v_or_b32_sdwa v36, v3, s39 dst_sel:DWORD dst_unused:UNUSED_PAD src0_sel:BYTE_3 src1_sel:DWORD
; %bb.14915:                            ;   in Loop: Header=BB6_12355 Depth=2
	s_or_b64 exec, exec, s[20:21]
	v_mov_b32_e32 v52, v11
	v_cmp_ne_u16_sdwa s[76:77], v11, v53 src0_sel:BYTE_0 src1_sel:DWORD
	v_mov_b32_e32 v0, 0
	s_and_saveexec_b64 s[20:21], s[76:77]
	s_cbranch_execz .LBB6_14921
; %bb.14916:                            ;   in Loop: Header=BB6_12355 Depth=2
	v_cmp_ne_u16_sdwa s[78:79], v11, s48 src0_sel:BYTE_0 src1_sel:DWORD
	v_bfrev_b32_e32 v0, 1
	s_and_saveexec_b64 s[76:77], s[78:79]
	s_cbranch_execz .LBB6_14920
; %bb.14917:                            ;   in Loop: Header=BB6_12355 Depth=2
	v_and_b32_e32 v3, 0x7f, v11
	v_cmp_ne_u32_e32 vcc, s39, v3
	v_mov_b32_e32 v0, 0x7f800001
	s_and_saveexec_b64 s[78:79], vcc
	s_cbranch_execz .LBB6_14919
; %bb.14918:                            ;   in Loop: Header=BB6_12355 Depth=2
	v_and_b32_e32 v0, 7, v11
	v_ffbh_u32_e32 v0, v0
	v_min_u32_e32 v0, 32, v0
	v_lshrrev_b32_e32 v6, 3, v3
	v_cmp_gt_u32_e32 vcc, 8, v3
	v_subrev_u32_e32 v3, 28, v0
	v_sub_u32_e32 v0, 29, v0
	v_cndmask_b32_e32 v3, 0, v3, vcc
	v_cndmask_b32_e32 v0, v6, v0, vcc
	v_lshlrev_b64 v[6:7], v3, v[52:53]
	v_bfrev_b32_e32 v7, 60
	v_lshlrev_b32_e32 v3, 20, v6
	v_lshlrev_b32_e32 v6, 24, v52
	v_and_b32_e32 v3, 0x700000, v3
	v_and_b32_e32 v6, 0x80000000, v6
	v_lshl_add_u32 v0, v0, 23, v7
	v_or3_b32 v0, v6, v0, v3
.LBB6_14919:                            ;   in Loop: Header=BB6_12355 Depth=2
	s_or_b64 exec, exec, s[78:79]
.LBB6_14920:                            ;   in Loop: Header=BB6_12355 Depth=2
	s_or_b64 exec, exec, s[76:77]
.LBB6_14921:                            ;   in Loop: Header=BB6_12355 Depth=2
	s_or_b64 exec, exec, s[20:21]
	v_mul_f32_e32 v3, v19, v0
	v_and_b32_e32 v6, 0x7f800000, v3
	v_mov_b32_e32 v7, v53
	v_cmp_ne_u64_e32 vcc, s[46:47], v[6:7]
                                        ; implicit-def: $vgpr37
	s_and_saveexec_b64 s[20:21], vcc
	s_xor_b64 s[76:77], exec, s[20:21]
	s_cbranch_execz .LBB6_14935
; %bb.14922:                            ;   in Loop: Header=BB6_12355 Depth=2
	v_and_b32_e32 v6, 0x7fffffff, v3
	v_mov_b32_e32 v7, v53
	v_cmp_gt_u64_e32 vcc, s[56:57], v[6:7]
	v_and_b32_sdwa v0, v3, s48 dst_sel:DWORD dst_unused:UNUSED_PAD src0_sel:BYTE_3 src1_sel:DWORD
                                        ; implicit-def: $vgpr37
	s_and_saveexec_b64 s[20:21], vcc
	s_xor_b64 s[78:79], exec, s[20:21]
	s_cbranch_execz .LBB6_14932
; %bb.14923:                            ;   in Loop: Header=BB6_12355 Depth=2
	v_mov_b32_e32 v37, 0
	v_cmp_ne_u32_e32 vcc, 0, v3
	s_and_saveexec_b64 s[88:89], vcc
	s_cbranch_execz .LBB6_14931
; %bb.14924:                            ;   in Loop: Header=BB6_12355 Depth=2
	v_and_b32_e32 v7, 0x7fffff, v3
	v_bfe_u32 v3, v3, 23, 8
	v_cmp_gt_u32_e64 s[20:21], s49, v3
	v_sub_u32_e32 v6, 0x79, v3
	v_cmp_eq_u32_e32 vcc, 0, v3
	v_cndmask_b32_e64 v6, 0, v6, s[20:21]
	v_mov_b32_e32 v15, 0x78
	v_or_b32_e32 v14, 0x800000, v7
	v_cndmask_b32_e32 v6, v6, v15, vcc
	v_cndmask_b32_e32 v14, v14, v7, vcc
	v_add_u32_e32 v7, 20, v6
	v_lshlrev_b64 v[32:33], v7, -1
	v_mov_b32_e32 v15, v53
	v_add_u32_e32 v7, 19, v6
	v_bfi_b32 v32, v32, 0, v14
	v_lshlrev_b64 v[37:38], v7, 1
	v_lshrrev_b64 v[14:15], v6, v[14:15]
	v_bfi_b32 v33, v33, 0, 0
	v_cmp_eq_u64_e64 s[20:21], v[32:33], v[37:38]
	v_mov_b32_e32 v16, v15
	v_mov_b32_e32 v15, v14
	s_and_saveexec_b64 s[90:91], s[20:21]
; %bb.14925:                            ;   in Loop: Header=BB6_12355 Depth=2
	v_bfe_u32 v7, v14, 20, 1
	v_add_co_u32_e64 v7, s[20:21], v14, v7
	v_add_co_u32_e64 v15, s[20:21], -1, v7
; %bb.14926:                            ;   in Loop: Header=BB6_12355 Depth=2
	s_or_b64 exec, exec, s[90:91]
	v_add_u32_e32 v3, 0xffffff81, v3
	v_mov_b32_e32 v7, 0xffffff82
	v_cndmask_b32_e32 v3, v3, v7, vcc
	v_lshrrev_b32_e32 v7, 23, v14
	v_add3_u32 v7, v6, v3, v7
	v_add_u32_e32 v6, 6, v7
	v_and_b32_e32 v3, 0xfffff, v15
	v_add_u32_e32 v14, v3, v14
	v_mov_b32_e32 v15, v53
	v_cmp_ne_u32_e32 vcc, 0, v6
                                        ; implicit-def: $vgpr3
	s_and_saveexec_b64 s[20:21], vcc
	s_xor_b64 s[20:21], exec, s[20:21]
; %bb.14927:                            ;   in Loop: Header=BB6_12355 Depth=2
	v_cmp_lt_u64_e32 vcc, s[58:59], v[14:15]
	v_add_u32_e32 v3, 7, v7
	v_cndmask_b32_e32 v3, v6, v3, vcc
	v_cndmask_b32_e64 v6, 0, 1, vcc
	v_lshrrev_b64 v[14:15], v6, v[14:15]
; %bb.14928:                            ;   in Loop: Header=BB6_12355 Depth=2
	s_andn2_saveexec_b64 s[20:21], s[20:21]
; %bb.14929:                            ;   in Loop: Header=BB6_12355 Depth=2
	v_bfe_u32 v3, v14, 23, 1
; %bb.14930:                            ;   in Loop: Header=BB6_12355 Depth=2
	s_or_b64 exec, exec, s[20:21]
	v_lshrrev_b64 v[6:7], 20, v[14:15]
	v_cmp_gt_i32_e32 vcc, 16, v3
	v_cndmask_b32_e32 v7, 0, v7, vcc
	v_cndmask_b32_e32 v6, 7, v6, vcc
	v_cmp_eq_u32_e32 vcc, 0, v3
	v_min_i32_e32 v3, 15, v3
	v_cmp_eq_u64_e64 s[20:21], 0, v[6:7]
	v_lshlrev_b32_e32 v3, 3, v3
	v_and_b32_e32 v3, 0xf8, v3
	v_and_or_b32 v3, v6, 7, v3
	s_and_b64 s[20:21], vcc, s[20:21]
	v_cndmask_b32_e64 v3, v3, 0, s[20:21]
	v_or_b32_e32 v37, v3, v0
.LBB6_14931:                            ;   in Loop: Header=BB6_12355 Depth=2
	s_or_b64 exec, exec, s[88:89]
                                        ; implicit-def: $vgpr0
.LBB6_14932:                            ;   in Loop: Header=BB6_12355 Depth=2
	s_andn2_saveexec_b64 s[20:21], s[78:79]
; %bb.14933:                            ;   in Loop: Header=BB6_12355 Depth=2
	v_or_b32_e32 v37, 0x7e, v0
; %bb.14934:                            ;   in Loop: Header=BB6_12355 Depth=2
	s_or_b64 exec, exec, s[20:21]
                                        ; implicit-def: $vgpr3
.LBB6_14935:                            ;   in Loop: Header=BB6_12355 Depth=2
	s_andn2_saveexec_b64 s[20:21], s[76:77]
; %bb.14936:                            ;   in Loop: Header=BB6_12355 Depth=2
	v_or_b32_sdwa v37, v3, s39 dst_sel:DWORD dst_unused:UNUSED_PAD src0_sel:BYTE_3 src1_sel:DWORD
; %bb.14937:                            ;   in Loop: Header=BB6_12355 Depth=2
	s_or_b64 exec, exec, s[20:21]
	v_lshrrev_b16_e32 v14, 8, v52
	v_cmp_ne_u16_e32 vcc, 0, v14
	v_mov_b32_e32 v0, 0
	s_and_saveexec_b64 s[20:21], vcc
	s_cbranch_execz .LBB6_14943
; %bb.14938:                            ;   in Loop: Header=BB6_12355 Depth=2
	v_cmp_ne_u16_e32 vcc, s48, v14
	v_bfrev_b32_e32 v0, 1
	s_and_saveexec_b64 s[76:77], vcc
	s_cbranch_execz .LBB6_14942
; %bb.14939:                            ;   in Loop: Header=BB6_12355 Depth=2
	v_and_b32_e32 v3, 0x7f, v14
	v_cmp_ne_u32_e32 vcc, s39, v3
	v_mov_b32_e32 v0, 0x7f800001
	s_and_saveexec_b64 s[78:79], vcc
	s_cbranch_execz .LBB6_14941
; %bb.14940:                            ;   in Loop: Header=BB6_12355 Depth=2
	v_and_b32_e32 v0, 7, v14
	v_lshrrev_b32_e32 v15, 3, v3
	v_cmp_gt_u32_e32 vcc, 8, v3
	v_ffbh_u32_e32 v3, v0
	v_min_u32_e32 v3, 32, v3
	v_subrev_u32_e32 v6, 28, v3
	v_lshlrev_b64 v[6:7], v6, v[14:15]
	v_sub_u32_e32 v3, 29, v3
	v_and_b32_e32 v6, 7, v6
	v_cndmask_b32_e32 v3, v15, v3, vcc
	v_cndmask_b32_e32 v0, v0, v6, vcc
	v_lshlrev_b32_e32 v6, 16, v52
	v_bfrev_b32_e32 v7, 60
	v_lshlrev_b32_e32 v0, 20, v0
	v_and_b32_e32 v6, 0x80000000, v6
	v_lshl_add_u32 v3, v3, 23, v7
	v_or3_b32 v0, v6, v3, v0
.LBB6_14941:                            ;   in Loop: Header=BB6_12355 Depth=2
	s_or_b64 exec, exec, s[78:79]
.LBB6_14942:                            ;   in Loop: Header=BB6_12355 Depth=2
	s_or_b64 exec, exec, s[76:77]
.LBB6_14943:                            ;   in Loop: Header=BB6_12355 Depth=2
	s_or_b64 exec, exec, s[20:21]
	v_mul_f32_e32 v6, v19, v0
	v_and_b32_e32 v52, 0x7f800000, v6
	v_cmp_ne_u64_e32 vcc, s[46:47], v[52:53]
                                        ; implicit-def: $vgpr0
	s_and_saveexec_b64 s[20:21], vcc
	s_xor_b64 s[76:77], exec, s[20:21]
	s_cbranch_execz .LBB6_14957
; %bb.14944:                            ;   in Loop: Header=BB6_12355 Depth=2
	v_and_b32_e32 v52, 0x7fffffff, v6
	v_cmp_gt_u64_e32 vcc, s[56:57], v[52:53]
	v_and_b32_sdwa v3, v6, s48 dst_sel:DWORD dst_unused:UNUSED_PAD src0_sel:BYTE_3 src1_sel:DWORD
                                        ; implicit-def: $vgpr0
	s_and_saveexec_b64 s[20:21], vcc
	s_xor_b64 s[78:79], exec, s[20:21]
	s_cbranch_execz .LBB6_14954
; %bb.14945:                            ;   in Loop: Header=BB6_12355 Depth=2
	v_mov_b32_e32 v0, 0
	v_cmp_ne_u32_e32 vcc, 0, v6
	s_and_saveexec_b64 s[88:89], vcc
	s_cbranch_execz .LBB6_14953
; %bb.14946:                            ;   in Loop: Header=BB6_12355 Depth=2
	v_bfe_u32 v0, v6, 23, 8
	v_and_b32_e32 v7, 0x7fffff, v6
	v_cmp_gt_u32_e64 s[20:21], s49, v0
	v_sub_u32_e32 v6, 0x79, v0
	v_cmp_eq_u32_e32 vcc, 0, v0
	v_cndmask_b32_e64 v6, 0, v6, s[20:21]
	v_mov_b32_e32 v15, 0x78
	v_or_b32_e32 v14, 0x800000, v7
	v_cndmask_b32_e32 v6, v6, v15, vcc
	v_cndmask_b32_e32 v52, v14, v7, vcc
	v_add_u32_e32 v7, 20, v6
	v_lshlrev_b64 v[14:15], v7, -1
	v_add_u32_e32 v7, 19, v6
	v_lshlrev_b64 v[32:33], v7, 1
	v_bfi_b32 v15, v15, 0, 0
	v_bfi_b32 v14, v14, 0, v52
	v_cmp_eq_u64_e64 s[20:21], v[14:15], v[32:33]
	v_lshrrev_b64 v[14:15], v6, v[52:53]
	v_mov_b32_e32 v16, v15
	v_mov_b32_e32 v15, v14
	s_and_saveexec_b64 s[90:91], s[20:21]
; %bb.14947:                            ;   in Loop: Header=BB6_12355 Depth=2
	v_bfe_u32 v7, v14, 20, 1
	v_add_co_u32_e64 v7, s[20:21], v14, v7
	v_add_co_u32_e64 v15, s[20:21], -1, v7
; %bb.14948:                            ;   in Loop: Header=BB6_12355 Depth=2
	s_or_b64 exec, exec, s[90:91]
	v_add_u32_e32 v0, 0xffffff81, v0
	v_mov_b32_e32 v7, 0xffffff82
	v_cndmask_b32_e32 v0, v0, v7, vcc
	v_lshrrev_b32_e32 v7, 23, v14
	v_add3_u32 v7, v6, v0, v7
	v_add_u32_e32 v6, 6, v7
	v_and_b32_e32 v0, 0xfffff, v15
	v_add_u32_e32 v52, v0, v14
	v_cmp_ne_u32_e32 vcc, 0, v6
                                        ; implicit-def: $vgpr14_vgpr15
                                        ; implicit-def: $vgpr0
	s_and_saveexec_b64 s[20:21], vcc
	s_xor_b64 s[20:21], exec, s[20:21]
; %bb.14949:                            ;   in Loop: Header=BB6_12355 Depth=2
	v_cmp_lt_u64_e32 vcc, s[58:59], v[52:53]
	v_add_u32_e32 v0, 7, v7
	v_cndmask_b32_e32 v0, v6, v0, vcc
	v_cndmask_b32_e64 v6, 0, 1, vcc
	v_lshrrev_b64 v[14:15], v6, v[52:53]
; %bb.14950:                            ;   in Loop: Header=BB6_12355 Depth=2
	s_andn2_saveexec_b64 s[20:21], s[20:21]
; %bb.14951:                            ;   in Loop: Header=BB6_12355 Depth=2
	v_mov_b32_e32 v14, v52
	v_bfe_u32 v0, v52, 23, 1
	v_mov_b32_e32 v15, v53
; %bb.14952:                            ;   in Loop: Header=BB6_12355 Depth=2
	s_or_b64 exec, exec, s[20:21]
	v_lshrrev_b64 v[6:7], 20, v[14:15]
	v_cmp_gt_i32_e32 vcc, 16, v0
	v_cndmask_b32_e32 v7, 0, v7, vcc
	v_cndmask_b32_e32 v6, 7, v6, vcc
	v_cmp_eq_u32_e32 vcc, 0, v0
	v_min_i32_e32 v0, 15, v0
	v_cmp_eq_u64_e64 s[20:21], 0, v[6:7]
	v_lshlrev_b32_e32 v0, 3, v0
	v_and_b32_e32 v0, 0xf8, v0
	v_and_or_b32 v0, v6, 7, v0
	s_and_b64 s[20:21], vcc, s[20:21]
	v_cndmask_b32_e64 v0, v0, 0, s[20:21]
	v_or_b32_e32 v0, v0, v3
.LBB6_14953:                            ;   in Loop: Header=BB6_12355 Depth=2
	s_or_b64 exec, exec, s[88:89]
                                        ; implicit-def: $vgpr3
.LBB6_14954:                            ;   in Loop: Header=BB6_12355 Depth=2
	s_andn2_saveexec_b64 s[20:21], s[78:79]
; %bb.14955:                            ;   in Loop: Header=BB6_12355 Depth=2
	v_or_b32_e32 v0, 0x7e, v3
; %bb.14956:                            ;   in Loop: Header=BB6_12355 Depth=2
	s_or_b64 exec, exec, s[20:21]
                                        ; implicit-def: $vgpr6
.LBB6_14957:                            ;   in Loop: Header=BB6_12355 Depth=2
	s_andn2_saveexec_b64 s[20:21], s[76:77]
; %bb.14958:                            ;   in Loop: Header=BB6_12355 Depth=2
	v_or_b32_sdwa v0, v6, s39 dst_sel:DWORD dst_unused:UNUSED_PAD src0_sel:BYTE_3 src1_sel:DWORD
; %bb.14959:                            ;   in Loop: Header=BB6_12355 Depth=2
	s_or_b64 exec, exec, s[20:21]
	v_lshrrev_b32_e32 v14, 16, v11
	v_cmp_ne_u16_sdwa s[76:77], v14, v53 src0_sel:BYTE_0 src1_sel:DWORD
	v_mov_b32_e32 v3, 0
	s_and_saveexec_b64 s[20:21], s[76:77]
	s_cbranch_execz .LBB6_14965
; %bb.14960:                            ;   in Loop: Header=BB6_12355 Depth=2
	v_cmp_ne_u16_sdwa s[78:79], v14, s48 src0_sel:BYTE_0 src1_sel:DWORD
	v_bfrev_b32_e32 v3, 1
	s_and_saveexec_b64 s[76:77], s[78:79]
	s_cbranch_execz .LBB6_14964
; %bb.14961:                            ;   in Loop: Header=BB6_12355 Depth=2
	v_bfe_u32 v6, v11, 16, 7
	v_cmp_ne_u32_e32 vcc, s39, v6
	v_mov_b32_e32 v3, 0x7f800001
	s_and_saveexec_b64 s[78:79], vcc
	s_cbranch_execz .LBB6_14963
; %bb.14962:                            ;   in Loop: Header=BB6_12355 Depth=2
	v_and_b32_e32 v3, 7, v14
	v_lshrrev_b32_e32 v15, 3, v6
	v_cmp_gt_u32_e32 vcc, 8, v6
	v_ffbh_u32_e32 v6, v3
	v_min_u32_e32 v16, 32, v6
	v_subrev_u32_e32 v6, 28, v16
	v_lshlrev_b64 v[6:7], v6, v[14:15]
	v_sub_u32_e32 v7, 29, v16
	v_and_b32_e32 v6, 7, v6
	v_cndmask_b32_e32 v7, v15, v7, vcc
	v_cndmask_b32_e32 v3, v3, v6, vcc
	v_lshlrev_b32_e32 v6, 24, v14
	v_bfrev_b32_e32 v14, 60
	v_lshlrev_b32_e32 v3, 20, v3
	v_and_b32_e32 v6, 0x80000000, v6
	v_lshl_add_u32 v7, v7, 23, v14
	v_or3_b32 v3, v6, v7, v3
.LBB6_14963:                            ;   in Loop: Header=BB6_12355 Depth=2
	s_or_b64 exec, exec, s[78:79]
.LBB6_14964:                            ;   in Loop: Header=BB6_12355 Depth=2
	s_or_b64 exec, exec, s[76:77]
.LBB6_14965:                            ;   in Loop: Header=BB6_12355 Depth=2
	s_or_b64 exec, exec, s[20:21]
	v_mul_f32_e32 v6, v19, v3
	v_and_b32_e32 v52, 0x7f800000, v6
	v_cmp_ne_u64_e32 vcc, s[46:47], v[52:53]
                                        ; implicit-def: $vgpr30
	s_and_saveexec_b64 s[20:21], vcc
	s_xor_b64 s[76:77], exec, s[20:21]
	s_cbranch_execz .LBB6_14979
; %bb.14966:                            ;   in Loop: Header=BB6_12355 Depth=2
	v_and_b32_e32 v52, 0x7fffffff, v6
	v_cmp_gt_u64_e32 vcc, s[56:57], v[52:53]
	v_and_b32_sdwa v3, v6, s48 dst_sel:DWORD dst_unused:UNUSED_PAD src0_sel:BYTE_3 src1_sel:DWORD
                                        ; implicit-def: $vgpr30
	s_and_saveexec_b64 s[20:21], vcc
	s_xor_b64 s[78:79], exec, s[20:21]
	s_cbranch_execz .LBB6_14976
; %bb.14967:                            ;   in Loop: Header=BB6_12355 Depth=2
	v_mov_b32_e32 v30, 0
	v_cmp_ne_u32_e32 vcc, 0, v6
	s_and_saveexec_b64 s[88:89], vcc
	s_cbranch_execz .LBB6_14975
; %bb.14968:                            ;   in Loop: Header=BB6_12355 Depth=2
	v_and_b32_e32 v14, 0x7fffff, v6
	v_bfe_u32 v6, v6, 23, 8
	v_cmp_gt_u32_e64 s[20:21], s49, v6
	v_sub_u32_e32 v7, 0x79, v6
	v_cmp_eq_u32_e32 vcc, 0, v6
	v_cndmask_b32_e64 v7, 0, v7, s[20:21]
	v_mov_b32_e32 v16, 0x78
	v_or_b32_e32 v15, 0x800000, v14
	v_cndmask_b32_e32 v7, v7, v16, vcc
	v_cndmask_b32_e32 v52, v15, v14, vcc
	v_add_u32_e32 v14, 20, v7
	v_lshlrev_b64 v[14:15], v14, -1
	v_add_u32_e32 v16, 19, v7
	v_lshlrev_b64 v[32:33], v16, 1
	v_bfi_b32 v15, v15, 0, 0
	v_bfi_b32 v14, v14, 0, v52
	v_cmp_eq_u64_e64 s[20:21], v[14:15], v[32:33]
	v_lshrrev_b64 v[14:15], v7, v[52:53]
	v_mov_b32_e32 v16, v15
	v_mov_b32_e32 v15, v14
	s_and_saveexec_b64 s[90:91], s[20:21]
; %bb.14969:                            ;   in Loop: Header=BB6_12355 Depth=2
	v_bfe_u32 v15, v14, 20, 1
	v_add_co_u32_e64 v15, s[20:21], v14, v15
	v_add_co_u32_e64 v15, s[20:21], -1, v15
; %bb.14970:                            ;   in Loop: Header=BB6_12355 Depth=2
	s_or_b64 exec, exec, s[90:91]
	v_add_u32_e32 v6, 0xffffff81, v6
	v_mov_b32_e32 v16, 0xffffff82
	v_cndmask_b32_e32 v6, v6, v16, vcc
	v_lshrrev_b32_e32 v16, 23, v14
	v_add3_u32 v16, v7, v6, v16
	v_add_u32_e32 v7, 6, v16
	v_and_b32_e32 v6, 0xfffff, v15
	v_add_u32_e32 v52, v6, v14
	v_cmp_ne_u32_e32 vcc, 0, v7
                                        ; implicit-def: $vgpr14_vgpr15
                                        ; implicit-def: $vgpr6
	s_and_saveexec_b64 s[20:21], vcc
	s_xor_b64 s[20:21], exec, s[20:21]
; %bb.14971:                            ;   in Loop: Header=BB6_12355 Depth=2
	v_cmp_lt_u64_e32 vcc, s[58:59], v[52:53]
	v_add_u32_e32 v6, 7, v16
	v_cndmask_b32_e32 v6, v7, v6, vcc
	v_cndmask_b32_e64 v7, 0, 1, vcc
	v_lshrrev_b64 v[14:15], v7, v[52:53]
; %bb.14972:                            ;   in Loop: Header=BB6_12355 Depth=2
	s_andn2_saveexec_b64 s[20:21], s[20:21]
; %bb.14973:                            ;   in Loop: Header=BB6_12355 Depth=2
	v_mov_b32_e32 v14, v52
	v_bfe_u32 v6, v52, 23, 1
	v_mov_b32_e32 v15, v53
; %bb.14974:                            ;   in Loop: Header=BB6_12355 Depth=2
	s_or_b64 exec, exec, s[20:21]
	v_lshrrev_b64 v[14:15], 20, v[14:15]
	v_cmp_gt_i32_e32 vcc, 16, v6
	v_cndmask_b32_e32 v15, 0, v15, vcc
	v_cndmask_b32_e32 v14, 7, v14, vcc
	v_cmp_eq_u32_e32 vcc, 0, v6
	v_min_i32_e32 v6, 15, v6
	v_cmp_eq_u64_e64 s[20:21], 0, v[14:15]
	v_lshlrev_b32_e32 v6, 3, v6
	v_and_b32_e32 v6, 0xf8, v6
	v_and_or_b32 v6, v14, 7, v6
	s_and_b64 s[20:21], vcc, s[20:21]
	v_cndmask_b32_e64 v6, v6, 0, s[20:21]
	v_or_b32_e32 v30, v6, v3
.LBB6_14975:                            ;   in Loop: Header=BB6_12355 Depth=2
	s_or_b64 exec, exec, s[88:89]
                                        ; implicit-def: $vgpr3
.LBB6_14976:                            ;   in Loop: Header=BB6_12355 Depth=2
	s_andn2_saveexec_b64 s[20:21], s[78:79]
; %bb.14977:                            ;   in Loop: Header=BB6_12355 Depth=2
	v_or_b32_e32 v30, 0x7e, v3
; %bb.14978:                            ;   in Loop: Header=BB6_12355 Depth=2
	s_or_b64 exec, exec, s[20:21]
                                        ; implicit-def: $vgpr6
.LBB6_14979:                            ;   in Loop: Header=BB6_12355 Depth=2
	s_andn2_saveexec_b64 s[20:21], s[76:77]
; %bb.14980:                            ;   in Loop: Header=BB6_12355 Depth=2
	v_or_b32_sdwa v30, v6, s39 dst_sel:DWORD dst_unused:UNUSED_PAD src0_sel:BYTE_3 src1_sel:DWORD
; %bb.14981:                            ;   in Loop: Header=BB6_12355 Depth=2
	s_or_b64 exec, exec, s[20:21]
	v_cmp_lt_u64_e32 vcc, s[60:61], v[10:11]
	v_mov_b32_e32 v3, 0
	s_and_saveexec_b64 s[20:21], vcc
	s_cbranch_execz .LBB6_14987
; %bb.14982:                            ;   in Loop: Header=BB6_12355 Depth=2
	v_lshrrev_b32_e32 v10, 24, v11
	v_cmp_ne_u32_e32 vcc, s48, v10
	v_bfrev_b32_e32 v3, 1
	s_and_saveexec_b64 s[76:77], vcc
	s_cbranch_execz .LBB6_14986
; %bb.14983:                            ;   in Loop: Header=BB6_12355 Depth=2
	v_bfe_u32 v6, v11, 24, 7
	v_cmp_ne_u32_e32 vcc, s39, v6
	v_mov_b32_e32 v3, 0x7f800001
	s_and_saveexec_b64 s[78:79], vcc
	s_cbranch_execz .LBB6_14985
; %bb.14984:                            ;   in Loop: Header=BB6_12355 Depth=2
	v_and_b32_e32 v3, 7, v10
	v_lshrrev_b32_e32 v11, 3, v6
	v_cmp_gt_u32_e32 vcc, 8, v6
	v_ffbh_u32_e32 v6, v3
	v_min_u32_e32 v14, 32, v6
	v_subrev_u32_e32 v6, 28, v14
	v_lshlrev_b64 v[6:7], v6, v[10:11]
	v_sub_u32_e32 v7, 29, v14
	v_and_b32_e32 v6, 7, v6
	v_cndmask_b32_e32 v7, v11, v7, vcc
	v_cndmask_b32_e32 v3, v3, v6, vcc
	v_lshlrev_b32_e32 v6, 24, v10
	v_bfrev_b32_e32 v10, 60
	v_lshlrev_b32_e32 v3, 20, v3
	v_and_b32_e32 v6, 0x80000000, v6
	v_lshl_add_u32 v7, v7, 23, v10
	v_or3_b32 v3, v6, v7, v3
.LBB6_14985:                            ;   in Loop: Header=BB6_12355 Depth=2
	s_or_b64 exec, exec, s[78:79]
.LBB6_14986:                            ;   in Loop: Header=BB6_12355 Depth=2
	s_or_b64 exec, exec, s[76:77]
.LBB6_14987:                            ;   in Loop: Header=BB6_12355 Depth=2
	s_or_b64 exec, exec, s[20:21]
	v_mul_f32_e32 v7, v19, v3
	v_and_b32_e32 v52, 0x7f800000, v7
	v_cmp_ne_u64_e32 vcc, s[46:47], v[52:53]
                                        ; implicit-def: $vgpr3
	s_and_saveexec_b64 s[20:21], vcc
	s_xor_b64 s[76:77], exec, s[20:21]
	s_cbranch_execz .LBB6_15001
; %bb.14988:                            ;   in Loop: Header=BB6_12355 Depth=2
	v_and_b32_e32 v52, 0x7fffffff, v7
	v_cmp_gt_u64_e32 vcc, s[56:57], v[52:53]
	v_and_b32_sdwa v6, v7, s48 dst_sel:DWORD dst_unused:UNUSED_PAD src0_sel:BYTE_3 src1_sel:DWORD
                                        ; implicit-def: $vgpr3
	s_and_saveexec_b64 s[20:21], vcc
	s_xor_b64 s[78:79], exec, s[20:21]
	s_cbranch_execz .LBB6_14998
; %bb.14989:                            ;   in Loop: Header=BB6_12355 Depth=2
	v_mov_b32_e32 v3, 0
	v_cmp_ne_u32_e32 vcc, 0, v7
	s_and_saveexec_b64 s[88:89], vcc
	s_cbranch_execz .LBB6_14997
; %bb.14990:                            ;   in Loop: Header=BB6_12355 Depth=2
	v_bfe_u32 v3, v7, 23, 8
	v_and_b32_e32 v10, 0x7fffff, v7
	v_cmp_gt_u32_e64 s[20:21], s49, v3
	v_sub_u32_e32 v7, 0x79, v3
	v_cmp_eq_u32_e32 vcc, 0, v3
	v_cndmask_b32_e64 v7, 0, v7, s[20:21]
	v_mov_b32_e32 v14, 0x78
	v_or_b32_e32 v11, 0x800000, v10
	v_cndmask_b32_e32 v7, v7, v14, vcc
	v_cndmask_b32_e32 v52, v11, v10, vcc
	v_add_u32_e32 v10, 20, v7
	v_lshlrev_b64 v[10:11], v10, -1
	v_add_u32_e32 v14, 19, v7
	v_lshlrev_b64 v[14:15], v14, 1
	v_bfi_b32 v11, v11, 0, 0
	v_bfi_b32 v10, v10, 0, v52
	v_cmp_eq_u64_e64 s[20:21], v[10:11], v[14:15]
	v_lshrrev_b64 v[10:11], v7, v[52:53]
	v_mov_b32_e32 v15, v11
	v_mov_b32_e32 v14, v10
	s_and_saveexec_b64 s[90:91], s[20:21]
; %bb.14991:                            ;   in Loop: Header=BB6_12355 Depth=2
	v_bfe_u32 v11, v10, 20, 1
	v_add_co_u32_e64 v11, s[20:21], v10, v11
	v_add_co_u32_e64 v14, s[20:21], -1, v11
; %bb.14992:                            ;   in Loop: Header=BB6_12355 Depth=2
	s_or_b64 exec, exec, s[90:91]
	v_add_u32_e32 v3, 0xffffff81, v3
	v_mov_b32_e32 v11, 0xffffff82
	v_cndmask_b32_e32 v3, v3, v11, vcc
	v_lshrrev_b32_e32 v11, 23, v10
	v_add3_u32 v15, v7, v3, v11
	v_add_u32_e32 v7, 6, v15
	v_and_b32_e32 v3, 0xfffff, v14
	v_add_u32_e32 v52, v3, v10
	v_cmp_ne_u32_e32 vcc, 0, v7
                                        ; implicit-def: $vgpr10_vgpr11
                                        ; implicit-def: $vgpr3
	s_and_saveexec_b64 s[20:21], vcc
	s_xor_b64 s[20:21], exec, s[20:21]
; %bb.14993:                            ;   in Loop: Header=BB6_12355 Depth=2
	v_cmp_lt_u64_e32 vcc, s[58:59], v[52:53]
	v_add_u32_e32 v3, 7, v15
	v_cndmask_b32_e32 v3, v7, v3, vcc
	v_cndmask_b32_e64 v7, 0, 1, vcc
	v_lshrrev_b64 v[10:11], v7, v[52:53]
; %bb.14994:                            ;   in Loop: Header=BB6_12355 Depth=2
	s_andn2_saveexec_b64 s[20:21], s[20:21]
; %bb.14995:                            ;   in Loop: Header=BB6_12355 Depth=2
	v_mov_b32_e32 v10, v52
	v_bfe_u32 v3, v52, 23, 1
	v_mov_b32_e32 v11, v53
; %bb.14996:                            ;   in Loop: Header=BB6_12355 Depth=2
	s_or_b64 exec, exec, s[20:21]
	v_lshrrev_b64 v[10:11], 20, v[10:11]
	v_cmp_gt_i32_e32 vcc, 16, v3
	v_cndmask_b32_e32 v11, 0, v11, vcc
	v_cndmask_b32_e32 v10, 7, v10, vcc
	v_cmp_eq_u32_e32 vcc, 0, v3
	v_min_i32_e32 v3, 15, v3
	v_cmp_eq_u64_e64 s[20:21], 0, v[10:11]
	v_lshlrev_b32_e32 v3, 3, v3
	v_and_b32_e32 v3, 0xf8, v3
	v_and_or_b32 v3, v10, 7, v3
	s_and_b64 s[20:21], vcc, s[20:21]
	v_cndmask_b32_e64 v3, v3, 0, s[20:21]
	v_or_b32_e32 v3, v3, v6
.LBB6_14997:                            ;   in Loop: Header=BB6_12355 Depth=2
	s_or_b64 exec, exec, s[88:89]
                                        ; implicit-def: $vgpr6
.LBB6_14998:                            ;   in Loop: Header=BB6_12355 Depth=2
	s_andn2_saveexec_b64 s[20:21], s[78:79]
; %bb.14999:                            ;   in Loop: Header=BB6_12355 Depth=2
	v_or_b32_e32 v3, 0x7e, v6
; %bb.15000:                            ;   in Loop: Header=BB6_12355 Depth=2
	s_or_b64 exec, exec, s[20:21]
                                        ; implicit-def: $vgpr7
.LBB6_15001:                            ;   in Loop: Header=BB6_12355 Depth=2
	s_andn2_saveexec_b64 s[20:21], s[76:77]
; %bb.15002:                            ;   in Loop: Header=BB6_12355 Depth=2
	v_or_b32_sdwa v3, v7, s39 dst_sel:DWORD dst_unused:UNUSED_PAD src0_sel:BYTE_3 src1_sel:DWORD
; %bb.15003:                            ;   in Loop: Header=BB6_12355 Depth=2
	s_or_b64 exec, exec, s[20:21]
	v_cmp_ne_u16_sdwa s[76:77], v12, v53 src0_sel:BYTE_0 src1_sel:DWORD
	v_mov_b32_e32 v6, 0
	s_and_saveexec_b64 s[20:21], s[76:77]
	s_cbranch_execz .LBB6_15009
; %bb.15004:                            ;   in Loop: Header=BB6_12355 Depth=2
	v_cmp_ne_u16_sdwa s[78:79], v12, s48 src0_sel:BYTE_0 src1_sel:DWORD
	v_bfrev_b32_e32 v6, 1
	s_and_saveexec_b64 s[76:77], s[78:79]
	s_cbranch_execz .LBB6_15008
; %bb.15005:                            ;   in Loop: Header=BB6_12355 Depth=2
	v_and_b32_e32 v7, 0x7f, v12
	v_cmp_ne_u32_e32 vcc, s39, v7
	v_mov_b32_e32 v6, 0x7f800001
	s_and_saveexec_b64 s[78:79], vcc
	s_cbranch_execz .LBB6_15007
; %bb.15006:                            ;   in Loop: Header=BB6_12355 Depth=2
	v_and_b32_e32 v6, 7, v12
	v_ffbh_u32_e32 v6, v6
	v_min_u32_e32 v6, 32, v6
	v_lshrrev_b32_e32 v10, 3, v7
	v_cmp_gt_u32_e32 vcc, 8, v7
	v_subrev_u32_e32 v7, 28, v6
	v_sub_u32_e32 v6, 29, v6
	v_cndmask_b32_e32 v10, v10, v6, vcc
	v_cndmask_b32_e32 v6, 0, v7, vcc
	v_lshlrev_b64 v[6:7], v6, v[12:13]
	v_lshlrev_b32_e32 v7, 24, v12
	v_lshlrev_b32_e32 v6, 20, v6
	v_bfrev_b32_e32 v11, 60
	v_and_b32_e32 v6, 0x700000, v6
	v_and_b32_e32 v7, 0x80000000, v7
	v_lshl_add_u32 v10, v10, 23, v11
	v_or3_b32 v6, v7, v10, v6
.LBB6_15007:                            ;   in Loop: Header=BB6_12355 Depth=2
	s_or_b64 exec, exec, s[78:79]
.LBB6_15008:                            ;   in Loop: Header=BB6_12355 Depth=2
	s_or_b64 exec, exec, s[76:77]
.LBB6_15009:                            ;   in Loop: Header=BB6_12355 Depth=2
	s_or_b64 exec, exec, s[20:21]
	v_mul_f32_e32 v10, v19, v6
	v_and_b32_e32 v52, 0x7f800000, v10
	v_cmp_ne_u64_e32 vcc, s[46:47], v[52:53]
                                        ; implicit-def: $vgpr6
	s_and_saveexec_b64 s[20:21], vcc
	s_xor_b64 s[76:77], exec, s[20:21]
	s_cbranch_execz .LBB6_15023
; %bb.15010:                            ;   in Loop: Header=BB6_12355 Depth=2
	v_and_b32_e32 v52, 0x7fffffff, v10
	v_cmp_gt_u64_e32 vcc, s[56:57], v[52:53]
	v_and_b32_sdwa v7, v10, s48 dst_sel:DWORD dst_unused:UNUSED_PAD src0_sel:BYTE_3 src1_sel:DWORD
                                        ; implicit-def: $vgpr6
	s_and_saveexec_b64 s[20:21], vcc
	s_xor_b64 s[78:79], exec, s[20:21]
	s_cbranch_execz .LBB6_15020
; %bb.15011:                            ;   in Loop: Header=BB6_12355 Depth=2
	v_mov_b32_e32 v6, 0
	v_cmp_ne_u32_e32 vcc, 0, v10
	s_and_saveexec_b64 s[88:89], vcc
	s_cbranch_execz .LBB6_15019
; %bb.15012:                            ;   in Loop: Header=BB6_12355 Depth=2
	v_bfe_u32 v6, v10, 23, 8
	v_and_b32_e32 v11, 0x7fffff, v10
	v_cmp_gt_u32_e64 s[20:21], s49, v6
	v_sub_u32_e32 v10, 0x79, v6
	v_cmp_eq_u32_e32 vcc, 0, v6
	v_cndmask_b32_e64 v10, 0, v10, s[20:21]
	v_mov_b32_e32 v15, 0x78
	v_cndmask_b32_e32 v16, v10, v15, vcc
	v_or_b32_e32 v14, 0x800000, v11
	v_add_u32_e32 v10, 20, v16
	v_cndmask_b32_e32 v52, v14, v11, vcc
	v_lshlrev_b64 v[10:11], v10, -1
	v_add_u32_e32 v14, 19, v16
	v_lshlrev_b64 v[14:15], v14, 1
	v_bfi_b32 v11, v11, 0, 0
	v_bfi_b32 v10, v10, 0, v52
	v_cmp_eq_u64_e64 s[20:21], v[10:11], v[14:15]
	v_lshrrev_b64 v[10:11], v16, v[52:53]
	v_mov_b32_e32 v15, v11
	v_mov_b32_e32 v14, v10
	s_and_saveexec_b64 s[90:91], s[20:21]
; %bb.15013:                            ;   in Loop: Header=BB6_12355 Depth=2
	v_bfe_u32 v11, v10, 20, 1
	v_add_co_u32_e64 v11, s[20:21], v10, v11
	v_add_co_u32_e64 v14, s[20:21], -1, v11
; %bb.15014:                            ;   in Loop: Header=BB6_12355 Depth=2
	s_or_b64 exec, exec, s[90:91]
	v_add_u32_e32 v6, 0xffffff81, v6
	v_mov_b32_e32 v11, 0xffffff82
	v_cndmask_b32_e32 v6, v6, v11, vcc
	v_lshrrev_b32_e32 v11, 23, v10
	v_add3_u32 v16, v16, v6, v11
	v_add_u32_e32 v15, 6, v16
	v_and_b32_e32 v6, 0xfffff, v14
	v_add_u32_e32 v52, v6, v10
	v_cmp_ne_u32_e32 vcc, 0, v15
                                        ; implicit-def: $vgpr10_vgpr11
                                        ; implicit-def: $vgpr6
	s_and_saveexec_b64 s[20:21], vcc
	s_xor_b64 s[20:21], exec, s[20:21]
; %bb.15015:                            ;   in Loop: Header=BB6_12355 Depth=2
	v_cmp_lt_u64_e32 vcc, s[58:59], v[52:53]
	v_add_u32_e32 v6, 7, v16
	v_cndmask_b32_e64 v10, 0, 1, vcc
	v_lshrrev_b64 v[10:11], v10, v[52:53]
	v_cndmask_b32_e32 v6, v15, v6, vcc
; %bb.15016:                            ;   in Loop: Header=BB6_12355 Depth=2
	s_andn2_saveexec_b64 s[20:21], s[20:21]
; %bb.15017:                            ;   in Loop: Header=BB6_12355 Depth=2
	v_mov_b32_e32 v10, v52
	v_bfe_u32 v6, v52, 23, 1
	v_mov_b32_e32 v11, v53
; %bb.15018:                            ;   in Loop: Header=BB6_12355 Depth=2
	s_or_b64 exec, exec, s[20:21]
	v_lshrrev_b64 v[10:11], 20, v[10:11]
	v_cmp_gt_i32_e32 vcc, 16, v6
	v_cndmask_b32_e32 v11, 0, v11, vcc
	v_cndmask_b32_e32 v10, 7, v10, vcc
	v_cmp_eq_u32_e32 vcc, 0, v6
	v_min_i32_e32 v6, 15, v6
	v_cmp_eq_u64_e64 s[20:21], 0, v[10:11]
	v_lshlrev_b32_e32 v6, 3, v6
	v_and_b32_e32 v6, 0xf8, v6
	v_and_or_b32 v6, v10, 7, v6
	s_and_b64 s[20:21], vcc, s[20:21]
	v_cndmask_b32_e64 v6, v6, 0, s[20:21]
	v_or_b32_e32 v6, v6, v7
.LBB6_15019:                            ;   in Loop: Header=BB6_12355 Depth=2
	s_or_b64 exec, exec, s[88:89]
                                        ; implicit-def: $vgpr7
.LBB6_15020:                            ;   in Loop: Header=BB6_12355 Depth=2
	s_andn2_saveexec_b64 s[20:21], s[78:79]
; %bb.15021:                            ;   in Loop: Header=BB6_12355 Depth=2
	v_or_b32_e32 v6, 0x7e, v7
; %bb.15022:                            ;   in Loop: Header=BB6_12355 Depth=2
	s_or_b64 exec, exec, s[20:21]
                                        ; implicit-def: $vgpr10
.LBB6_15023:                            ;   in Loop: Header=BB6_12355 Depth=2
	s_andn2_saveexec_b64 s[20:21], s[76:77]
; %bb.15024:                            ;   in Loop: Header=BB6_12355 Depth=2
	v_or_b32_sdwa v6, v10, s39 dst_sel:DWORD dst_unused:UNUSED_PAD src0_sel:BYTE_3 src1_sel:DWORD
; %bb.15025:                            ;   in Loop: Header=BB6_12355 Depth=2
	s_or_b64 exec, exec, s[20:21]
	v_lshrrev_b16_e32 v10, 8, v12
	v_cmp_ne_u16_e32 vcc, 0, v10
	v_mov_b32_e32 v7, 0
	s_and_saveexec_b64 s[20:21], vcc
	s_cbranch_execz .LBB6_15031
; %bb.15026:                            ;   in Loop: Header=BB6_12355 Depth=2
	v_cmp_ne_u16_e32 vcc, s48, v10
	v_bfrev_b32_e32 v7, 1
	s_and_saveexec_b64 s[76:77], vcc
	s_cbranch_execz .LBB6_15030
; %bb.15027:                            ;   in Loop: Header=BB6_12355 Depth=2
	v_and_b32_e32 v11, 0x7f, v10
	v_cmp_ne_u32_e32 vcc, s39, v11
	v_mov_b32_e32 v7, 0x7f800001
	s_and_saveexec_b64 s[78:79], vcc
	s_cbranch_execz .LBB6_15029
; %bb.15028:                            ;   in Loop: Header=BB6_12355 Depth=2
	v_and_b32_e32 v7, 7, v10
	v_lshrrev_b32_e32 v14, 3, v11
	v_cmp_gt_u32_e32 vcc, 8, v11
	v_ffbh_u32_e32 v11, v7
	v_min_u32_e32 v15, 32, v11
	v_subrev_u32_e32 v11, 28, v15
	v_lshlrev_b64 v[10:11], v11, v[10:11]
	v_sub_u32_e32 v11, 29, v15
	v_and_b32_e32 v10, 7, v10
	v_cndmask_b32_e32 v11, v14, v11, vcc
	v_cndmask_b32_e32 v7, v7, v10, vcc
	v_lshlrev_b32_e32 v10, 16, v12
	v_bfrev_b32_e32 v14, 60
	v_lshlrev_b32_e32 v7, 20, v7
	v_and_b32_e32 v10, 0x80000000, v10
	v_lshl_add_u32 v11, v11, 23, v14
	v_or3_b32 v7, v10, v11, v7
.LBB6_15029:                            ;   in Loop: Header=BB6_12355 Depth=2
	s_or_b64 exec, exec, s[78:79]
.LBB6_15030:                            ;   in Loop: Header=BB6_12355 Depth=2
	s_or_b64 exec, exec, s[76:77]
.LBB6_15031:                            ;   in Loop: Header=BB6_12355 Depth=2
	s_or_b64 exec, exec, s[20:21]
	v_mul_f32_e32 v10, v19, v7
	v_and_b32_e32 v52, 0x7f800000, v10
	v_cmp_ne_u64_e32 vcc, s[46:47], v[52:53]
                                        ; implicit-def: $vgpr40
	s_and_saveexec_b64 s[20:21], vcc
	s_xor_b64 s[76:77], exec, s[20:21]
	s_cbranch_execz .LBB6_15045
; %bb.15032:                            ;   in Loop: Header=BB6_12355 Depth=2
	v_and_b32_e32 v52, 0x7fffffff, v10
	v_cmp_gt_u64_e32 vcc, s[56:57], v[52:53]
	v_and_b32_sdwa v7, v10, s48 dst_sel:DWORD dst_unused:UNUSED_PAD src0_sel:BYTE_3 src1_sel:DWORD
                                        ; implicit-def: $vgpr40
	s_and_saveexec_b64 s[20:21], vcc
	s_xor_b64 s[78:79], exec, s[20:21]
	s_cbranch_execz .LBB6_15042
; %bb.15033:                            ;   in Loop: Header=BB6_12355 Depth=2
	v_mov_b32_e32 v40, 0
	v_cmp_ne_u32_e32 vcc, 0, v10
	s_and_saveexec_b64 s[88:89], vcc
	s_cbranch_execz .LBB6_15041
; %bb.15034:                            ;   in Loop: Header=BB6_12355 Depth=2
	v_bfe_u32 v16, v10, 23, 8
	v_and_b32_e32 v11, 0x7fffff, v10
	v_cmp_gt_u32_e64 s[20:21], s49, v16
	v_sub_u32_e32 v10, 0x79, v16
	v_cmp_eq_u32_e32 vcc, 0, v16
	v_cndmask_b32_e64 v10, 0, v10, s[20:21]
	v_mov_b32_e32 v15, 0x78
	v_cndmask_b32_e32 v32, v10, v15, vcc
	v_or_b32_e32 v14, 0x800000, v11
	v_add_u32_e32 v10, 20, v32
	v_cndmask_b32_e32 v52, v14, v11, vcc
	v_lshlrev_b64 v[10:11], v10, -1
	v_add_u32_e32 v14, 19, v32
	v_lshlrev_b64 v[14:15], v14, 1
	v_bfi_b32 v11, v11, 0, 0
	v_bfi_b32 v10, v10, 0, v52
	v_cmp_eq_u64_e64 s[20:21], v[10:11], v[14:15]
	v_lshrrev_b64 v[10:11], v32, v[52:53]
	v_mov_b32_e32 v15, v11
	v_mov_b32_e32 v14, v10
	s_and_saveexec_b64 s[90:91], s[20:21]
; %bb.15035:                            ;   in Loop: Header=BB6_12355 Depth=2
	v_bfe_u32 v11, v10, 20, 1
	v_add_co_u32_e64 v11, s[20:21], v10, v11
	v_add_co_u32_e64 v14, s[20:21], -1, v11
; %bb.15036:                            ;   in Loop: Header=BB6_12355 Depth=2
	s_or_b64 exec, exec, s[90:91]
	v_add_u32_e32 v11, 0xffffff81, v16
	v_mov_b32_e32 v15, 0xffffff82
	v_cndmask_b32_e32 v11, v11, v15, vcc
	v_lshrrev_b32_e32 v15, 23, v10
	v_add3_u32 v16, v32, v11, v15
	v_add_u32_e32 v15, 6, v16
	v_and_b32_e32 v11, 0xfffff, v14
	v_add_u32_e32 v52, v11, v10
	v_cmp_ne_u32_e32 vcc, 0, v15
                                        ; implicit-def: $vgpr10_vgpr11
                                        ; implicit-def: $vgpr14
	s_and_saveexec_b64 s[20:21], vcc
	s_xor_b64 s[20:21], exec, s[20:21]
; %bb.15037:                            ;   in Loop: Header=BB6_12355 Depth=2
	v_cmp_lt_u64_e32 vcc, s[58:59], v[52:53]
	v_add_u32_e32 v10, 7, v16
	v_cndmask_b32_e32 v14, v15, v10, vcc
	v_cndmask_b32_e64 v10, 0, 1, vcc
	v_lshrrev_b64 v[10:11], v10, v[52:53]
; %bb.15038:                            ;   in Loop: Header=BB6_12355 Depth=2
	s_andn2_saveexec_b64 s[20:21], s[20:21]
; %bb.15039:                            ;   in Loop: Header=BB6_12355 Depth=2
	v_mov_b32_e32 v10, v52
	v_bfe_u32 v14, v52, 23, 1
	v_mov_b32_e32 v11, v53
; %bb.15040:                            ;   in Loop: Header=BB6_12355 Depth=2
	s_or_b64 exec, exec, s[20:21]
	v_lshrrev_b64 v[10:11], 20, v[10:11]
	v_cmp_gt_i32_e32 vcc, 16, v14
	v_cndmask_b32_e32 v11, 0, v11, vcc
	v_cndmask_b32_e32 v10, 7, v10, vcc
	v_cmp_eq_u64_e64 s[20:21], 0, v[10:11]
	v_min_i32_e32 v11, 15, v14
	v_lshlrev_b32_e32 v11, 3, v11
	v_cmp_eq_u32_e32 vcc, 0, v14
	v_and_b32_e32 v11, 0xf8, v11
	v_and_or_b32 v10, v10, 7, v11
	s_and_b64 s[20:21], vcc, s[20:21]
	v_cndmask_b32_e64 v10, v10, 0, s[20:21]
	v_or_b32_e32 v40, v10, v7
.LBB6_15041:                            ;   in Loop: Header=BB6_12355 Depth=2
	s_or_b64 exec, exec, s[88:89]
                                        ; implicit-def: $vgpr7
.LBB6_15042:                            ;   in Loop: Header=BB6_12355 Depth=2
	s_andn2_saveexec_b64 s[20:21], s[78:79]
; %bb.15043:                            ;   in Loop: Header=BB6_12355 Depth=2
	v_or_b32_e32 v40, 0x7e, v7
; %bb.15044:                            ;   in Loop: Header=BB6_12355 Depth=2
	s_or_b64 exec, exec, s[20:21]
                                        ; implicit-def: $vgpr10
.LBB6_15045:                            ;   in Loop: Header=BB6_12355 Depth=2
	s_andn2_saveexec_b64 s[20:21], s[76:77]
; %bb.15046:                            ;   in Loop: Header=BB6_12355 Depth=2
	v_or_b32_sdwa v40, v10, s39 dst_sel:DWORD dst_unused:UNUSED_PAD src0_sel:BYTE_3 src1_sel:DWORD
; %bb.15047:                            ;   in Loop: Header=BB6_12355 Depth=2
	s_or_b64 exec, exec, s[20:21]
	v_lshrrev_b32_e32 v10, 16, v12
	v_cmp_ne_u16_sdwa s[76:77], v10, v53 src0_sel:BYTE_0 src1_sel:DWORD
	v_mov_b32_e32 v7, 0
	s_and_saveexec_b64 s[20:21], s[76:77]
	s_cbranch_execz .LBB6_15053
; %bb.15048:                            ;   in Loop: Header=BB6_12355 Depth=2
	v_cmp_ne_u16_sdwa s[78:79], v10, s48 src0_sel:BYTE_0 src1_sel:DWORD
	v_bfrev_b32_e32 v7, 1
	s_and_saveexec_b64 s[76:77], s[78:79]
	s_cbranch_execz .LBB6_15052
; %bb.15049:                            ;   in Loop: Header=BB6_12355 Depth=2
	v_bfe_u32 v11, v12, 16, 7
	v_cmp_ne_u32_e32 vcc, s39, v11
	v_mov_b32_e32 v7, 0x7f800001
	s_and_saveexec_b64 s[78:79], vcc
	s_cbranch_execz .LBB6_15051
; %bb.15050:                            ;   in Loop: Header=BB6_12355 Depth=2
	v_and_b32_e32 v7, 7, v10
	v_lshrrev_b32_e32 v16, 3, v11
	v_cmp_gt_u32_e32 vcc, 8, v11
	v_ffbh_u32_e32 v11, v7
	v_min_u32_e32 v11, 32, v11
	v_subrev_u32_e32 v14, 28, v11
	v_lshlrev_b64 v[14:15], v14, v[10:11]
	v_sub_u32_e32 v11, 29, v11
	v_and_b32_e32 v14, 7, v14
	v_cndmask_b32_e32 v11, v16, v11, vcc
	v_cndmask_b32_e32 v7, v7, v14, vcc
	v_lshlrev_b32_e32 v10, 24, v10
	v_bfrev_b32_e32 v14, 60
	v_lshlrev_b32_e32 v7, 20, v7
	v_and_b32_e32 v10, 0x80000000, v10
	v_lshl_add_u32 v11, v11, 23, v14
	v_or3_b32 v7, v10, v11, v7
.LBB6_15051:                            ;   in Loop: Header=BB6_12355 Depth=2
	s_or_b64 exec, exec, s[78:79]
.LBB6_15052:                            ;   in Loop: Header=BB6_12355 Depth=2
	s_or_b64 exec, exec, s[76:77]
.LBB6_15053:                            ;   in Loop: Header=BB6_12355 Depth=2
	s_or_b64 exec, exec, s[20:21]
	v_mul_f32_e32 v10, v19, v7
	v_and_b32_e32 v52, 0x7f800000, v10
	v_cmp_ne_u64_e32 vcc, s[46:47], v[52:53]
                                        ; implicit-def: $vgpr7
	s_and_saveexec_b64 s[20:21], vcc
	s_xor_b64 s[76:77], exec, s[20:21]
	s_cbranch_execz .LBB6_15067
; %bb.15054:                            ;   in Loop: Header=BB6_12355 Depth=2
	v_and_b32_e32 v52, 0x7fffffff, v10
	v_cmp_gt_u64_e32 vcc, s[56:57], v[52:53]
	v_and_b32_sdwa v16, v10, s48 dst_sel:DWORD dst_unused:UNUSED_PAD src0_sel:BYTE_3 src1_sel:DWORD
                                        ; implicit-def: $vgpr7
	s_and_saveexec_b64 s[20:21], vcc
	s_xor_b64 s[78:79], exec, s[20:21]
	s_cbranch_execz .LBB6_15064
; %bb.15055:                            ;   in Loop: Header=BB6_12355 Depth=2
	v_mov_b32_e32 v7, 0
	v_cmp_ne_u32_e32 vcc, 0, v10
	s_and_saveexec_b64 s[88:89], vcc
	s_cbranch_execz .LBB6_15063
; %bb.15056:                            ;   in Loop: Header=BB6_12355 Depth=2
	v_bfe_u32 v7, v10, 23, 8
	v_and_b32_e32 v11, 0x7fffff, v10
	v_cmp_gt_u32_e64 s[20:21], s49, v7
	v_sub_u32_e32 v10, 0x79, v7
	v_cmp_eq_u32_e32 vcc, 0, v7
	v_cndmask_b32_e64 v10, 0, v10, s[20:21]
	v_mov_b32_e32 v15, 0x78
	v_cndmask_b32_e32 v32, v10, v15, vcc
	v_or_b32_e32 v14, 0x800000, v11
	v_add_u32_e32 v10, 20, v32
	v_cndmask_b32_e32 v52, v14, v11, vcc
	v_lshlrev_b64 v[10:11], v10, -1
	v_add_u32_e32 v14, 19, v32
	v_lshlrev_b64 v[14:15], v14, 1
	v_bfi_b32 v11, v11, 0, 0
	v_bfi_b32 v10, v10, 0, v52
	v_cmp_eq_u64_e64 s[20:21], v[10:11], v[14:15]
	v_lshrrev_b64 v[10:11], v32, v[52:53]
	v_mov_b32_e32 v15, v11
	v_mov_b32_e32 v14, v10
	s_and_saveexec_b64 s[90:91], s[20:21]
; %bb.15057:                            ;   in Loop: Header=BB6_12355 Depth=2
	v_bfe_u32 v11, v10, 20, 1
	v_add_co_u32_e64 v11, s[20:21], v10, v11
	v_add_co_u32_e64 v14, s[20:21], -1, v11
; %bb.15058:                            ;   in Loop: Header=BB6_12355 Depth=2
	s_or_b64 exec, exec, s[90:91]
	v_add_u32_e32 v7, 0xffffff81, v7
	v_mov_b32_e32 v11, 0xffffff82
	v_cndmask_b32_e32 v7, v7, v11, vcc
	v_lshrrev_b32_e32 v11, 23, v10
	v_add3_u32 v23, v32, v7, v11
	v_add_u32_e32 v15, 6, v23
	v_and_b32_e32 v7, 0xfffff, v14
	v_add_u32_e32 v52, v7, v10
	v_cmp_ne_u32_e32 vcc, 0, v15
                                        ; implicit-def: $vgpr10_vgpr11
                                        ; implicit-def: $vgpr7
	s_and_saveexec_b64 s[20:21], vcc
	s_xor_b64 s[20:21], exec, s[20:21]
; %bb.15059:                            ;   in Loop: Header=BB6_12355 Depth=2
	v_cmp_lt_u64_e32 vcc, s[58:59], v[52:53]
	v_add_u32_e32 v7, 7, v23
	v_cndmask_b32_e64 v10, 0, 1, vcc
	v_lshrrev_b64 v[10:11], v10, v[52:53]
	v_cndmask_b32_e32 v7, v15, v7, vcc
; %bb.15060:                            ;   in Loop: Header=BB6_12355 Depth=2
	s_andn2_saveexec_b64 s[20:21], s[20:21]
; %bb.15061:                            ;   in Loop: Header=BB6_12355 Depth=2
	v_mov_b32_e32 v10, v52
	v_bfe_u32 v7, v52, 23, 1
	v_mov_b32_e32 v11, v53
; %bb.15062:                            ;   in Loop: Header=BB6_12355 Depth=2
	s_or_b64 exec, exec, s[20:21]
	v_lshrrev_b64 v[10:11], 20, v[10:11]
	v_cmp_gt_i32_e32 vcc, 16, v7
	v_cndmask_b32_e32 v11, 0, v11, vcc
	v_cndmask_b32_e32 v10, 7, v10, vcc
	v_cmp_eq_u32_e32 vcc, 0, v7
	v_min_i32_e32 v7, 15, v7
	v_cmp_eq_u64_e64 s[20:21], 0, v[10:11]
	v_lshlrev_b32_e32 v7, 3, v7
	v_and_b32_e32 v7, 0xf8, v7
	v_and_or_b32 v7, v10, 7, v7
	s_and_b64 s[20:21], vcc, s[20:21]
	v_cndmask_b32_e64 v7, v7, 0, s[20:21]
	v_or_b32_e32 v7, v7, v16
.LBB6_15063:                            ;   in Loop: Header=BB6_12355 Depth=2
	s_or_b64 exec, exec, s[88:89]
                                        ; implicit-def: $vgpr16
.LBB6_15064:                            ;   in Loop: Header=BB6_12355 Depth=2
	s_andn2_saveexec_b64 s[20:21], s[78:79]
; %bb.15065:                            ;   in Loop: Header=BB6_12355 Depth=2
	v_or_b32_e32 v7, 0x7e, v16
; %bb.15066:                            ;   in Loop: Header=BB6_12355 Depth=2
	s_or_b64 exec, exec, s[20:21]
                                        ; implicit-def: $vgpr10
.LBB6_15067:                            ;   in Loop: Header=BB6_12355 Depth=2
	s_andn2_saveexec_b64 s[20:21], s[76:77]
; %bb.15068:                            ;   in Loop: Header=BB6_12355 Depth=2
	v_or_b32_sdwa v7, v10, s39 dst_sel:DWORD dst_unused:UNUSED_PAD src0_sel:BYTE_3 src1_sel:DWORD
; %bb.15069:                            ;   in Loop: Header=BB6_12355 Depth=2
	s_or_b64 exec, exec, s[20:21]
	v_cmp_lt_u32_e32 vcc, s61, v12
	v_mov_b32_e32 v11, 0
	s_and_saveexec_b64 s[20:21], vcc
	s_cbranch_execz .LBB6_15075
; %bb.15070:                            ;   in Loop: Header=BB6_12355 Depth=2
	v_lshrrev_b32_e32 v10, 24, v12
	v_cmp_ne_u32_e32 vcc, s48, v10
	v_bfrev_b32_e32 v11, 1
	s_and_saveexec_b64 s[76:77], vcc
	s_cbranch_execz .LBB6_15074
; %bb.15071:                            ;   in Loop: Header=BB6_12355 Depth=2
	v_bfe_u32 v14, v12, 24, 7
	v_cmp_ne_u32_e32 vcc, s39, v14
	v_mov_b32_e32 v11, 0x7f800001
	s_and_saveexec_b64 s[78:79], vcc
	s_cbranch_execz .LBB6_15073
; %bb.15072:                            ;   in Loop: Header=BB6_12355 Depth=2
	v_and_b32_e32 v11, 7, v10
	v_lshrrev_b32_e32 v16, 3, v14
	v_cmp_gt_u32_e32 vcc, 8, v14
	v_ffbh_u32_e32 v14, v11
	v_min_u32_e32 v23, 32, v14
	v_subrev_u32_e32 v14, 28, v23
	v_lshlrev_b64 v[14:15], v14, v[10:11]
	v_sub_u32_e32 v15, 29, v23
	v_and_b32_e32 v14, 7, v14
	v_cndmask_b32_e32 v15, v16, v15, vcc
	v_cndmask_b32_e32 v11, v11, v14, vcc
	v_lshlrev_b32_e32 v10, 24, v10
	v_bfrev_b32_e32 v14, 60
	v_lshlrev_b32_e32 v11, 20, v11
	v_and_b32_e32 v10, 0x80000000, v10
	v_lshl_add_u32 v14, v15, 23, v14
	v_or3_b32 v11, v10, v14, v11
.LBB6_15073:                            ;   in Loop: Header=BB6_12355 Depth=2
	s_or_b64 exec, exec, s[78:79]
.LBB6_15074:                            ;   in Loop: Header=BB6_12355 Depth=2
	s_or_b64 exec, exec, s[76:77]
.LBB6_15075:                            ;   in Loop: Header=BB6_12355 Depth=2
	s_or_b64 exec, exec, s[20:21]
	v_mul_f32_e32 v10, v19, v11
	v_and_b32_e32 v52, 0x7f800000, v10
	v_cmp_ne_u64_e32 vcc, s[46:47], v[52:53]
                                        ; implicit-def: $vgpr32
	s_and_saveexec_b64 s[20:21], vcc
	s_xor_b64 s[76:77], exec, s[20:21]
	s_cbranch_execz .LBB6_15089
; %bb.15076:                            ;   in Loop: Header=BB6_12355 Depth=2
	v_and_b32_e32 v52, 0x7fffffff, v10
	v_cmp_gt_u64_e32 vcc, s[56:57], v[52:53]
	v_and_b32_sdwa v16, v10, s48 dst_sel:DWORD dst_unused:UNUSED_PAD src0_sel:BYTE_3 src1_sel:DWORD
                                        ; implicit-def: $vgpr32
	s_and_saveexec_b64 s[20:21], vcc
	s_xor_b64 s[78:79], exec, s[20:21]
	s_cbranch_execz .LBB6_15086
; %bb.15077:                            ;   in Loop: Header=BB6_12355 Depth=2
	v_mov_b32_e32 v32, 0
	v_cmp_ne_u32_e32 vcc, 0, v10
	s_and_saveexec_b64 s[88:89], vcc
	s_cbranch_execz .LBB6_15085
; %bb.15078:                            ;   in Loop: Header=BB6_12355 Depth=2
	v_bfe_u32 v32, v10, 23, 8
	v_and_b32_e32 v11, 0x7fffff, v10
	v_cmp_gt_u32_e64 s[20:21], s49, v32
	v_sub_u32_e32 v10, 0x79, v32
	v_cmp_eq_u32_e32 vcc, 0, v32
	v_cndmask_b32_e64 v10, 0, v10, s[20:21]
	v_mov_b32_e32 v15, 0x78
	v_cndmask_b32_e32 v33, v10, v15, vcc
	v_or_b32_e32 v14, 0x800000, v11
	v_add_u32_e32 v10, 20, v33
	v_cndmask_b32_e32 v52, v14, v11, vcc
	v_lshlrev_b64 v[10:11], v10, -1
	v_add_u32_e32 v14, 19, v33
	v_lshlrev_b64 v[14:15], v14, 1
	v_bfi_b32 v11, v11, 0, 0
	v_bfi_b32 v10, v10, 0, v52
	v_cmp_eq_u64_e64 s[20:21], v[10:11], v[14:15]
	v_lshrrev_b64 v[10:11], v33, v[52:53]
	v_mov_b32_e32 v15, v11
	v_mov_b32_e32 v14, v10
	s_and_saveexec_b64 s[90:91], s[20:21]
; %bb.15079:                            ;   in Loop: Header=BB6_12355 Depth=2
	v_bfe_u32 v11, v10, 20, 1
	v_add_co_u32_e64 v11, s[20:21], v10, v11
	v_add_co_u32_e64 v14, s[20:21], -1, v11
; %bb.15080:                            ;   in Loop: Header=BB6_12355 Depth=2
	s_or_b64 exec, exec, s[90:91]
	v_add_u32_e32 v11, 0xffffff81, v32
	v_mov_b32_e32 v15, 0xffffff82
	v_cndmask_b32_e32 v11, v11, v15, vcc
	v_lshrrev_b32_e32 v15, 23, v10
	v_add3_u32 v23, v33, v11, v15
	v_add_u32_e32 v15, 6, v23
	v_and_b32_e32 v11, 0xfffff, v14
	v_add_u32_e32 v52, v11, v10
	v_cmp_ne_u32_e32 vcc, 0, v15
                                        ; implicit-def: $vgpr10_vgpr11
                                        ; implicit-def: $vgpr14
	s_and_saveexec_b64 s[20:21], vcc
	s_xor_b64 s[20:21], exec, s[20:21]
; %bb.15081:                            ;   in Loop: Header=BB6_12355 Depth=2
	v_cmp_lt_u64_e32 vcc, s[58:59], v[52:53]
	v_add_u32_e32 v10, 7, v23
	v_cndmask_b32_e32 v14, v15, v10, vcc
	v_cndmask_b32_e64 v10, 0, 1, vcc
	v_lshrrev_b64 v[10:11], v10, v[52:53]
; %bb.15082:                            ;   in Loop: Header=BB6_12355 Depth=2
	s_andn2_saveexec_b64 s[20:21], s[20:21]
; %bb.15083:                            ;   in Loop: Header=BB6_12355 Depth=2
	v_mov_b32_e32 v10, v52
	v_bfe_u32 v14, v52, 23, 1
	v_mov_b32_e32 v11, v53
; %bb.15084:                            ;   in Loop: Header=BB6_12355 Depth=2
	s_or_b64 exec, exec, s[20:21]
	v_lshrrev_b64 v[10:11], 20, v[10:11]
	v_cmp_gt_i32_e32 vcc, 16, v14
	v_cndmask_b32_e32 v11, 0, v11, vcc
	v_cndmask_b32_e32 v10, 7, v10, vcc
	v_cmp_eq_u64_e64 s[20:21], 0, v[10:11]
	v_min_i32_e32 v11, 15, v14
	v_lshlrev_b32_e32 v11, 3, v11
	v_cmp_eq_u32_e32 vcc, 0, v14
	v_and_b32_e32 v11, 0xf8, v11
	v_and_or_b32 v10, v10, 7, v11
	s_and_b64 s[20:21], vcc, s[20:21]
	v_cndmask_b32_e64 v10, v10, 0, s[20:21]
	v_or_b32_e32 v32, v10, v16
.LBB6_15085:                            ;   in Loop: Header=BB6_12355 Depth=2
	s_or_b64 exec, exec, s[88:89]
                                        ; implicit-def: $vgpr16
.LBB6_15086:                            ;   in Loop: Header=BB6_12355 Depth=2
	s_andn2_saveexec_b64 s[20:21], s[78:79]
; %bb.15087:                            ;   in Loop: Header=BB6_12355 Depth=2
	v_or_b32_e32 v32, 0x7e, v16
; %bb.15088:                            ;   in Loop: Header=BB6_12355 Depth=2
	s_or_b64 exec, exec, s[20:21]
                                        ; implicit-def: $vgpr10
.LBB6_15089:                            ;   in Loop: Header=BB6_12355 Depth=2
	s_andn2_saveexec_b64 s[20:21], s[76:77]
; %bb.15090:                            ;   in Loop: Header=BB6_12355 Depth=2
	v_or_b32_sdwa v32, v10, s39 dst_sel:DWORD dst_unused:UNUSED_PAD src0_sel:BYTE_3 src1_sel:DWORD
; %bb.15091:                            ;   in Loop: Header=BB6_12355 Depth=2
	s_or_b64 exec, exec, s[20:21]
	v_mov_b32_e32 v52, v13
	v_cmp_ne_u16_sdwa s[76:77], v13, v53 src0_sel:BYTE_0 src1_sel:DWORD
	v_mov_b32_e32 v10, 0
	s_and_saveexec_b64 s[20:21], s[76:77]
	s_cbranch_execz .LBB6_15097
; %bb.15092:                            ;   in Loop: Header=BB6_12355 Depth=2
	v_cmp_ne_u16_sdwa s[78:79], v13, s48 src0_sel:BYTE_0 src1_sel:DWORD
	v_bfrev_b32_e32 v10, 1
	s_and_saveexec_b64 s[76:77], s[78:79]
	s_cbranch_execz .LBB6_15096
; %bb.15093:                            ;   in Loop: Header=BB6_12355 Depth=2
	v_and_b32_e32 v11, 0x7f, v13
	v_cmp_ne_u32_e32 vcc, s39, v11
	v_mov_b32_e32 v10, 0x7f800001
	s_and_saveexec_b64 s[78:79], vcc
	s_cbranch_execz .LBB6_15095
; %bb.15094:                            ;   in Loop: Header=BB6_12355 Depth=2
	v_and_b32_e32 v10, 7, v13
	v_ffbh_u32_e32 v10, v10
	v_min_u32_e32 v10, 32, v10
	v_lshrrev_b32_e32 v14, 3, v11
	v_cmp_gt_u32_e32 vcc, 8, v11
	v_subrev_u32_e32 v11, 28, v10
	v_sub_u32_e32 v10, 29, v10
	v_cndmask_b32_e32 v14, v14, v10, vcc
	v_cndmask_b32_e32 v10, 0, v11, vcc
	v_lshlrev_b64 v[10:11], v10, v[52:53]
	v_lshlrev_b32_e32 v11, 24, v52
	v_lshlrev_b32_e32 v10, 20, v10
	v_bfrev_b32_e32 v15, 60
	v_and_b32_e32 v10, 0x700000, v10
	v_and_b32_e32 v11, 0x80000000, v11
	v_lshl_add_u32 v14, v14, 23, v15
	v_or3_b32 v10, v11, v14, v10
.LBB6_15095:                            ;   in Loop: Header=BB6_12355 Depth=2
	s_or_b64 exec, exec, s[78:79]
.LBB6_15096:                            ;   in Loop: Header=BB6_12355 Depth=2
	s_or_b64 exec, exec, s[76:77]
.LBB6_15097:                            ;   in Loop: Header=BB6_12355 Depth=2
	s_or_b64 exec, exec, s[20:21]
	v_mul_f32_e32 v10, v19, v10
	v_and_b32_e32 v14, 0x7f800000, v10
	v_mov_b32_e32 v15, v53
	v_cmp_ne_u64_e32 vcc, s[46:47], v[14:15]
                                        ; implicit-def: $vgpr61
	s_and_saveexec_b64 s[20:21], vcc
	s_xor_b64 s[76:77], exec, s[20:21]
	s_cbranch_execz .LBB6_15111
; %bb.15098:                            ;   in Loop: Header=BB6_12355 Depth=2
	v_and_b32_e32 v14, 0x7fffffff, v10
	v_mov_b32_e32 v15, v53
	v_cmp_gt_u64_e32 vcc, s[56:57], v[14:15]
	v_and_b32_sdwa v16, v10, s48 dst_sel:DWORD dst_unused:UNUSED_PAD src0_sel:BYTE_3 src1_sel:DWORD
                                        ; implicit-def: $vgpr61
	s_and_saveexec_b64 s[20:21], vcc
	s_xor_b64 s[78:79], exec, s[20:21]
	s_cbranch_execz .LBB6_15108
; %bb.15099:                            ;   in Loop: Header=BB6_12355 Depth=2
	v_mov_b32_e32 v61, 0
	v_cmp_ne_u32_e32 vcc, 0, v10
	s_and_saveexec_b64 s[88:89], vcc
	s_cbranch_execz .LBB6_15107
; %bb.15100:                            ;   in Loop: Header=BB6_12355 Depth=2
	v_bfe_u32 v33, v10, 23, 8
	v_and_b32_e32 v11, 0x7fffff, v10
	v_cmp_gt_u32_e64 s[20:21], s49, v33
	v_sub_u32_e32 v10, 0x79, v33
	v_cmp_eq_u32_e32 vcc, 0, v33
	v_cndmask_b32_e64 v10, 0, v10, s[20:21]
	v_mov_b32_e32 v15, 0x78
	v_or_b32_e32 v14, 0x800000, v11
	v_cndmask_b32_e32 v38, v10, v15, vcc
	v_cndmask_b32_e32 v10, v14, v11, vcc
	v_add_u32_e32 v14, 20, v38
	v_lshlrev_b64 v[14:15], v14, -1
	v_mov_b32_e32 v11, v53
	v_add_u32_e32 v23, 19, v38
	v_mov_b32_e32 v57, v46
	v_mov_b32_e32 v41, v45
	v_bfi_b32 v14, v14, 0, v10
	v_lshlrev_b64 v[45:46], v23, 1
	v_lshrrev_b64 v[10:11], v38, v[10:11]
	v_bfi_b32 v15, v15, 0, 0
	v_cmp_eq_u64_e64 s[20:21], v[14:15], v[45:46]
	v_mov_b32_e32 v15, v11
	v_mov_b32_e32 v14, v10
	s_and_saveexec_b64 s[90:91], s[20:21]
; %bb.15101:                            ;   in Loop: Header=BB6_12355 Depth=2
	v_bfe_u32 v11, v10, 20, 1
	v_add_co_u32_e64 v11, s[20:21], v10, v11
	v_add_co_u32_e64 v14, s[20:21], -1, v11
; %bb.15102:                            ;   in Loop: Header=BB6_12355 Depth=2
	s_or_b64 exec, exec, s[90:91]
	v_add_u32_e32 v11, 0xffffff81, v33
	v_mov_b32_e32 v15, 0xffffff82
	v_cndmask_b32_e32 v11, v11, v15, vcc
	v_lshrrev_b32_e32 v15, 23, v10
	v_add3_u32 v23, v38, v11, v15
	v_add_u32_e32 v15, 6, v23
	v_and_b32_e32 v11, 0xfffff, v14
	v_add_u32_e32 v10, v11, v10
	v_mov_b32_e32 v11, v53
	v_cmp_ne_u32_e32 vcc, 0, v15
                                        ; implicit-def: $vgpr14
	s_and_saveexec_b64 s[20:21], vcc
	s_xor_b64 s[20:21], exec, s[20:21]
; %bb.15103:                            ;   in Loop: Header=BB6_12355 Depth=2
	v_cmp_lt_u64_e32 vcc, s[58:59], v[10:11]
	v_add_u32_e32 v14, 7, v23
	v_cndmask_b32_e32 v14, v15, v14, vcc
	v_cndmask_b32_e64 v15, 0, 1, vcc
	v_lshrrev_b64 v[10:11], v15, v[10:11]
; %bb.15104:                            ;   in Loop: Header=BB6_12355 Depth=2
	s_or_saveexec_b64 s[20:21], s[20:21]
	v_mov_b32_e32 v45, v41
	v_mov_b32_e32 v46, v57
	s_xor_b64 exec, exec, s[20:21]
; %bb.15105:                            ;   in Loop: Header=BB6_12355 Depth=2
	v_bfe_u32 v14, v10, 23, 1
; %bb.15106:                            ;   in Loop: Header=BB6_12355 Depth=2
	s_or_b64 exec, exec, s[20:21]
	v_lshrrev_b64 v[10:11], 20, v[10:11]
	v_cmp_gt_i32_e32 vcc, 16, v14
	v_cndmask_b32_e32 v11, 0, v11, vcc
	v_cndmask_b32_e32 v10, 7, v10, vcc
	v_cmp_eq_u64_e64 s[20:21], 0, v[10:11]
	v_min_i32_e32 v11, 15, v14
	v_lshlrev_b32_e32 v11, 3, v11
	v_cmp_eq_u32_e32 vcc, 0, v14
	v_and_b32_e32 v11, 0xf8, v11
	v_and_or_b32 v10, v10, 7, v11
	s_and_b64 s[20:21], vcc, s[20:21]
	v_cndmask_b32_e64 v10, v10, 0, s[20:21]
	v_or_b32_e32 v61, v10, v16
.LBB6_15107:                            ;   in Loop: Header=BB6_12355 Depth=2
	s_or_b64 exec, exec, s[88:89]
                                        ; implicit-def: $vgpr16
.LBB6_15108:                            ;   in Loop: Header=BB6_12355 Depth=2
	s_andn2_saveexec_b64 s[20:21], s[78:79]
; %bb.15109:                            ;   in Loop: Header=BB6_12355 Depth=2
	v_or_b32_e32 v61, 0x7e, v16
; %bb.15110:                            ;   in Loop: Header=BB6_12355 Depth=2
	s_or_b64 exec, exec, s[20:21]
                                        ; implicit-def: $vgpr10
.LBB6_15111:                            ;   in Loop: Header=BB6_12355 Depth=2
	s_andn2_saveexec_b64 s[20:21], s[76:77]
; %bb.15112:                            ;   in Loop: Header=BB6_12355 Depth=2
	v_or_b32_sdwa v61, v10, s39 dst_sel:DWORD dst_unused:UNUSED_PAD src0_sel:BYTE_3 src1_sel:DWORD
; %bb.15113:                            ;   in Loop: Header=BB6_12355 Depth=2
	s_or_b64 exec, exec, s[20:21]
	v_lshrrev_b16_e32 v10, 8, v52
	v_cmp_ne_u16_e32 vcc, 0, v10
	v_mov_b32_e32 v11, 0
	s_and_saveexec_b64 s[20:21], vcc
	s_cbranch_execz .LBB6_15119
; %bb.15114:                            ;   in Loop: Header=BB6_12355 Depth=2
	v_cmp_ne_u16_e32 vcc, s48, v10
	v_bfrev_b32_e32 v11, 1
	s_and_saveexec_b64 s[76:77], vcc
	s_cbranch_execz .LBB6_15118
; %bb.15115:                            ;   in Loop: Header=BB6_12355 Depth=2
	v_and_b32_e32 v14, 0x7f, v10
	v_cmp_ne_u32_e32 vcc, s39, v14
	v_mov_b32_e32 v11, 0x7f800001
	s_and_saveexec_b64 s[78:79], vcc
	s_cbranch_execz .LBB6_15117
; %bb.15116:                            ;   in Loop: Header=BB6_12355 Depth=2
	v_and_b32_e32 v15, 7, v10
	v_ffbh_u32_e32 v11, v15
	v_lshrrev_b32_e32 v16, 3, v14
	v_cmp_gt_u32_e32 vcc, 8, v14
	v_min_u32_e32 v14, 32, v11
	v_subrev_u32_e32 v11, 28, v14
	v_lshlrev_b64 v[10:11], v11, v[10:11]
	v_sub_u32_e32 v11, 29, v14
	v_and_b32_e32 v10, 7, v10
	v_cndmask_b32_e32 v11, v16, v11, vcc
	v_cndmask_b32_e32 v10, v15, v10, vcc
	v_lshlrev_b32_e32 v14, 16, v52
	v_bfrev_b32_e32 v15, 60
	v_lshlrev_b32_e32 v10, 20, v10
	v_and_b32_e32 v14, 0x80000000, v14
	v_lshl_add_u32 v11, v11, 23, v15
	v_or3_b32 v11, v14, v11, v10
.LBB6_15117:                            ;   in Loop: Header=BB6_12355 Depth=2
	s_or_b64 exec, exec, s[78:79]
.LBB6_15118:                            ;   in Loop: Header=BB6_12355 Depth=2
	s_or_b64 exec, exec, s[76:77]
.LBB6_15119:                            ;   in Loop: Header=BB6_12355 Depth=2
	s_or_b64 exec, exec, s[20:21]
	v_mul_f32_e32 v10, v19, v11
	v_and_b32_e32 v52, 0x7f800000, v10
	v_cmp_ne_u64_e32 vcc, s[46:47], v[52:53]
                                        ; implicit-def: $vgpr33
	s_and_saveexec_b64 s[20:21], vcc
	s_xor_b64 s[76:77], exec, s[20:21]
	s_cbranch_execz .LBB6_15133
; %bb.15120:                            ;   in Loop: Header=BB6_12355 Depth=2
	v_and_b32_e32 v52, 0x7fffffff, v10
	v_cmp_gt_u64_e32 vcc, s[56:57], v[52:53]
	v_and_b32_sdwa v16, v10, s48 dst_sel:DWORD dst_unused:UNUSED_PAD src0_sel:BYTE_3 src1_sel:DWORD
                                        ; implicit-def: $vgpr33
	s_and_saveexec_b64 s[20:21], vcc
	s_xor_b64 s[78:79], exec, s[20:21]
	s_cbranch_execz .LBB6_15130
; %bb.15121:                            ;   in Loop: Header=BB6_12355 Depth=2
	v_mov_b32_e32 v33, 0
	v_cmp_ne_u32_e32 vcc, 0, v10
	s_and_saveexec_b64 s[88:89], vcc
	s_cbranch_execz .LBB6_15129
; %bb.15122:                            ;   in Loop: Header=BB6_12355 Depth=2
	v_bfe_u32 v33, v10, 23, 8
	v_and_b32_e32 v11, 0x7fffff, v10
	v_cmp_gt_u32_e64 s[20:21], s49, v33
	v_sub_u32_e32 v10, 0x79, v33
	v_cmp_eq_u32_e32 vcc, 0, v33
	v_cndmask_b32_e64 v10, 0, v10, s[20:21]
	v_mov_b32_e32 v15, 0x78
	v_cndmask_b32_e32 v38, v10, v15, vcc
	v_or_b32_e32 v14, 0x800000, v11
	v_add_u32_e32 v10, 20, v38
	v_cndmask_b32_e32 v52, v14, v11, vcc
	v_lshlrev_b64 v[10:11], v10, -1
	v_add_u32_e32 v14, 19, v38
	v_lshlrev_b64 v[14:15], v14, 1
	v_bfi_b32 v11, v11, 0, 0
	v_bfi_b32 v10, v10, 0, v52
	v_cmp_eq_u64_e64 s[20:21], v[10:11], v[14:15]
	v_lshrrev_b64 v[10:11], v38, v[52:53]
	v_mov_b32_e32 v15, v11
	v_mov_b32_e32 v14, v10
	s_and_saveexec_b64 s[90:91], s[20:21]
; %bb.15123:                            ;   in Loop: Header=BB6_12355 Depth=2
	v_bfe_u32 v11, v10, 20, 1
	v_add_co_u32_e64 v11, s[20:21], v10, v11
	v_add_co_u32_e64 v14, s[20:21], -1, v11
; %bb.15124:                            ;   in Loop: Header=BB6_12355 Depth=2
	s_or_b64 exec, exec, s[90:91]
	v_add_u32_e32 v11, 0xffffff81, v33
	v_mov_b32_e32 v15, 0xffffff82
	v_cndmask_b32_e32 v11, v11, v15, vcc
	v_lshrrev_b32_e32 v15, 23, v10
	v_add3_u32 v23, v38, v11, v15
	v_add_u32_e32 v15, 6, v23
	v_and_b32_e32 v11, 0xfffff, v14
	v_add_u32_e32 v52, v11, v10
	v_cmp_ne_u32_e32 vcc, 0, v15
                                        ; implicit-def: $vgpr10_vgpr11
                                        ; implicit-def: $vgpr14
	s_and_saveexec_b64 s[20:21], vcc
	s_xor_b64 s[20:21], exec, s[20:21]
; %bb.15125:                            ;   in Loop: Header=BB6_12355 Depth=2
	v_cmp_lt_u64_e32 vcc, s[58:59], v[52:53]
	v_add_u32_e32 v10, 7, v23
	v_cndmask_b32_e32 v14, v15, v10, vcc
	v_cndmask_b32_e64 v10, 0, 1, vcc
	v_lshrrev_b64 v[10:11], v10, v[52:53]
; %bb.15126:                            ;   in Loop: Header=BB6_12355 Depth=2
	s_andn2_saveexec_b64 s[20:21], s[20:21]
; %bb.15127:                            ;   in Loop: Header=BB6_12355 Depth=2
	v_mov_b32_e32 v10, v52
	v_bfe_u32 v14, v52, 23, 1
	v_mov_b32_e32 v11, v53
; %bb.15128:                            ;   in Loop: Header=BB6_12355 Depth=2
	s_or_b64 exec, exec, s[20:21]
	v_lshrrev_b64 v[10:11], 20, v[10:11]
	v_cmp_gt_i32_e32 vcc, 16, v14
	v_cndmask_b32_e32 v11, 0, v11, vcc
	v_cndmask_b32_e32 v10, 7, v10, vcc
	v_cmp_eq_u64_e64 s[20:21], 0, v[10:11]
	v_min_i32_e32 v11, 15, v14
	v_lshlrev_b32_e32 v11, 3, v11
	v_cmp_eq_u32_e32 vcc, 0, v14
	v_and_b32_e32 v11, 0xf8, v11
	v_and_or_b32 v10, v10, 7, v11
	s_and_b64 s[20:21], vcc, s[20:21]
	v_cndmask_b32_e64 v10, v10, 0, s[20:21]
	v_or_b32_e32 v33, v10, v16
.LBB6_15129:                            ;   in Loop: Header=BB6_12355 Depth=2
	s_or_b64 exec, exec, s[88:89]
                                        ; implicit-def: $vgpr16
.LBB6_15130:                            ;   in Loop: Header=BB6_12355 Depth=2
	s_andn2_saveexec_b64 s[20:21], s[78:79]
; %bb.15131:                            ;   in Loop: Header=BB6_12355 Depth=2
	v_or_b32_e32 v33, 0x7e, v16
; %bb.15132:                            ;   in Loop: Header=BB6_12355 Depth=2
	s_or_b64 exec, exec, s[20:21]
                                        ; implicit-def: $vgpr10
.LBB6_15133:                            ;   in Loop: Header=BB6_12355 Depth=2
	s_andn2_saveexec_b64 s[20:21], s[76:77]
; %bb.15134:                            ;   in Loop: Header=BB6_12355 Depth=2
	v_or_b32_sdwa v33, v10, s39 dst_sel:DWORD dst_unused:UNUSED_PAD src0_sel:BYTE_3 src1_sel:DWORD
; %bb.15135:                            ;   in Loop: Header=BB6_12355 Depth=2
	s_or_b64 exec, exec, s[20:21]
	v_lshrrev_b32_e32 v10, 16, v13
	v_cmp_ne_u16_sdwa s[76:77], v10, v53 src0_sel:BYTE_0 src1_sel:DWORD
	v_mov_b32_e32 v11, 0
	s_and_saveexec_b64 s[20:21], s[76:77]
	s_cbranch_execz .LBB6_15141
; %bb.15136:                            ;   in Loop: Header=BB6_12355 Depth=2
	v_cmp_ne_u16_sdwa s[78:79], v10, s48 src0_sel:BYTE_0 src1_sel:DWORD
	v_bfrev_b32_e32 v11, 1
	s_and_saveexec_b64 s[76:77], s[78:79]
	s_cbranch_execz .LBB6_15140
; %bb.15137:                            ;   in Loop: Header=BB6_12355 Depth=2
	v_bfe_u32 v14, v13, 16, 7
	v_cmp_ne_u32_e32 vcc, s39, v14
	v_mov_b32_e32 v11, 0x7f800001
	s_and_saveexec_b64 s[78:79], vcc
	s_cbranch_execz .LBB6_15139
; %bb.15138:                            ;   in Loop: Header=BB6_12355 Depth=2
	v_and_b32_e32 v11, 7, v10
	v_lshrrev_b32_e32 v16, 3, v14
	v_cmp_gt_u32_e32 vcc, 8, v14
	v_ffbh_u32_e32 v14, v11
	v_min_u32_e32 v23, 32, v14
	v_subrev_u32_e32 v14, 28, v23
	v_lshlrev_b64 v[14:15], v14, v[10:11]
	v_sub_u32_e32 v15, 29, v23
	v_and_b32_e32 v14, 7, v14
	v_cndmask_b32_e32 v15, v16, v15, vcc
	v_cndmask_b32_e32 v11, v11, v14, vcc
	v_lshlrev_b32_e32 v10, 24, v10
	v_bfrev_b32_e32 v14, 60
	v_lshlrev_b32_e32 v11, 20, v11
	v_and_b32_e32 v10, 0x80000000, v10
	v_lshl_add_u32 v14, v15, 23, v14
	v_or3_b32 v11, v10, v14, v11
.LBB6_15139:                            ;   in Loop: Header=BB6_12355 Depth=2
	s_or_b64 exec, exec, s[78:79]
.LBB6_15140:                            ;   in Loop: Header=BB6_12355 Depth=2
	s_or_b64 exec, exec, s[76:77]
.LBB6_15141:                            ;   in Loop: Header=BB6_12355 Depth=2
	s_or_b64 exec, exec, s[20:21]
	v_mul_f32_e32 v10, v19, v11
	v_and_b32_e32 v52, 0x7f800000, v10
	v_cmp_ne_u64_e32 vcc, s[46:47], v[52:53]
                                        ; implicit-def: $vgpr38
	s_and_saveexec_b64 s[20:21], vcc
	s_xor_b64 s[76:77], exec, s[20:21]
	s_cbranch_execz .LBB6_15155
; %bb.15142:                            ;   in Loop: Header=BB6_12355 Depth=2
	v_and_b32_e32 v52, 0x7fffffff, v10
	v_cmp_gt_u64_e32 vcc, s[56:57], v[52:53]
	v_and_b32_sdwa v16, v10, s48 dst_sel:DWORD dst_unused:UNUSED_PAD src0_sel:BYTE_3 src1_sel:DWORD
                                        ; implicit-def: $vgpr38
	s_and_saveexec_b64 s[20:21], vcc
	s_xor_b64 s[78:79], exec, s[20:21]
	s_cbranch_execz .LBB6_15152
; %bb.15143:                            ;   in Loop: Header=BB6_12355 Depth=2
	v_mov_b32_e32 v38, 0
	v_cmp_ne_u32_e32 vcc, 0, v10
	s_and_saveexec_b64 s[88:89], vcc
	s_cbranch_execz .LBB6_15151
; %bb.15144:                            ;   in Loop: Header=BB6_12355 Depth=2
	v_bfe_u32 v38, v10, 23, 8
	v_and_b32_e32 v11, 0x7fffff, v10
	v_cmp_gt_u32_e64 s[20:21], s49, v38
	v_sub_u32_e32 v10, 0x79, v38
	v_cmp_eq_u32_e32 vcc, 0, v38
	v_cndmask_b32_e64 v10, 0, v10, s[20:21]
	v_mov_b32_e32 v15, 0x78
	v_cndmask_b32_e32 v23, v10, v15, vcc
	v_or_b32_e32 v14, 0x800000, v11
	v_add_u32_e32 v10, 20, v23
	v_cndmask_b32_e32 v52, v14, v11, vcc
	v_lshlrev_b64 v[10:11], v10, -1
	v_add_u32_e32 v14, 19, v23
	v_lshlrev_b64 v[14:15], v14, 1
	v_bfi_b32 v11, v11, 0, 0
	v_bfi_b32 v10, v10, 0, v52
	v_cmp_eq_u64_e64 s[20:21], v[10:11], v[14:15]
	v_lshrrev_b64 v[10:11], v23, v[52:53]
	v_mov_b32_e32 v15, v11
	v_mov_b32_e32 v14, v10
	s_and_saveexec_b64 s[90:91], s[20:21]
; %bb.15145:                            ;   in Loop: Header=BB6_12355 Depth=2
	v_bfe_u32 v11, v10, 20, 1
	v_add_co_u32_e64 v11, s[20:21], v10, v11
	v_add_co_u32_e64 v14, s[20:21], -1, v11
; %bb.15146:                            ;   in Loop: Header=BB6_12355 Depth=2
	s_or_b64 exec, exec, s[90:91]
	v_add_u32_e32 v11, 0xffffff81, v38
	v_mov_b32_e32 v15, 0xffffff82
	v_cndmask_b32_e32 v11, v11, v15, vcc
	v_lshrrev_b32_e32 v15, 23, v10
	v_add3_u32 v23, v23, v11, v15
	v_add_u32_e32 v15, 6, v23
	v_and_b32_e32 v11, 0xfffff, v14
	v_add_u32_e32 v52, v11, v10
	v_cmp_ne_u32_e32 vcc, 0, v15
                                        ; implicit-def: $vgpr10_vgpr11
                                        ; implicit-def: $vgpr14
	s_and_saveexec_b64 s[20:21], vcc
	s_xor_b64 s[20:21], exec, s[20:21]
; %bb.15147:                            ;   in Loop: Header=BB6_12355 Depth=2
	v_cmp_lt_u64_e32 vcc, s[58:59], v[52:53]
	v_add_u32_e32 v10, 7, v23
	v_cndmask_b32_e32 v14, v15, v10, vcc
	v_cndmask_b32_e64 v10, 0, 1, vcc
	v_lshrrev_b64 v[10:11], v10, v[52:53]
; %bb.15148:                            ;   in Loop: Header=BB6_12355 Depth=2
	s_andn2_saveexec_b64 s[20:21], s[20:21]
; %bb.15149:                            ;   in Loop: Header=BB6_12355 Depth=2
	v_mov_b32_e32 v10, v52
	v_bfe_u32 v14, v52, 23, 1
	v_mov_b32_e32 v11, v53
; %bb.15150:                            ;   in Loop: Header=BB6_12355 Depth=2
	s_or_b64 exec, exec, s[20:21]
	v_lshrrev_b64 v[10:11], 20, v[10:11]
	v_cmp_gt_i32_e32 vcc, 16, v14
	v_cndmask_b32_e32 v11, 0, v11, vcc
	v_cndmask_b32_e32 v10, 7, v10, vcc
	v_cmp_eq_u64_e64 s[20:21], 0, v[10:11]
	v_min_i32_e32 v11, 15, v14
	v_lshlrev_b32_e32 v11, 3, v11
	v_cmp_eq_u32_e32 vcc, 0, v14
	v_and_b32_e32 v11, 0xf8, v11
	v_and_or_b32 v10, v10, 7, v11
	s_and_b64 s[20:21], vcc, s[20:21]
	v_cndmask_b32_e64 v10, v10, 0, s[20:21]
	v_or_b32_e32 v38, v10, v16
.LBB6_15151:                            ;   in Loop: Header=BB6_12355 Depth=2
	s_or_b64 exec, exec, s[88:89]
                                        ; implicit-def: $vgpr16
.LBB6_15152:                            ;   in Loop: Header=BB6_12355 Depth=2
	s_andn2_saveexec_b64 s[20:21], s[78:79]
; %bb.15153:                            ;   in Loop: Header=BB6_12355 Depth=2
	v_or_b32_e32 v38, 0x7e, v16
; %bb.15154:                            ;   in Loop: Header=BB6_12355 Depth=2
	s_or_b64 exec, exec, s[20:21]
                                        ; implicit-def: $vgpr10
.LBB6_15155:                            ;   in Loop: Header=BB6_12355 Depth=2
	s_andn2_saveexec_b64 s[20:21], s[76:77]
; %bb.15156:                            ;   in Loop: Header=BB6_12355 Depth=2
	v_or_b32_sdwa v38, v10, s39 dst_sel:DWORD dst_unused:UNUSED_PAD src0_sel:BYTE_3 src1_sel:DWORD
; %bb.15157:                            ;   in Loop: Header=BB6_12355 Depth=2
	s_or_b64 exec, exec, s[20:21]
	v_cmp_lt_u64_e32 vcc, s[60:61], v[12:13]
	v_mov_b32_e32 v11, 0
	s_and_saveexec_b64 s[20:21], vcc
	s_cbranch_execz .LBB6_15163
; %bb.15158:                            ;   in Loop: Header=BB6_12355 Depth=2
	v_lshrrev_b32_e32 v10, 24, v13
	v_cmp_ne_u32_e32 vcc, s48, v10
	v_bfrev_b32_e32 v11, 1
	s_and_saveexec_b64 s[76:77], vcc
	s_cbranch_execz .LBB6_15162
; %bb.15159:                            ;   in Loop: Header=BB6_12355 Depth=2
	v_bfe_u32 v12, v13, 24, 7
	v_cmp_ne_u32_e32 vcc, s39, v12
	v_mov_b32_e32 v11, 0x7f800001
	s_and_saveexec_b64 s[78:79], vcc
	s_cbranch_execz .LBB6_15161
; %bb.15160:                            ;   in Loop: Header=BB6_12355 Depth=2
	v_and_b32_e32 v13, 7, v10
	v_ffbh_u32_e32 v11, v13
	v_min_u32_e32 v15, 32, v11
	v_subrev_u32_e32 v11, 28, v15
	v_lshrrev_b32_e32 v14, 3, v12
	v_cmp_gt_u32_e32 vcc, 8, v12
	v_lshlrev_b64 v[11:12], v11, v[10:11]
	v_sub_u32_e32 v12, 29, v15
	v_and_b32_e32 v11, 7, v11
	v_cndmask_b32_e32 v12, v14, v12, vcc
	v_cndmask_b32_e32 v11, v13, v11, vcc
	v_lshlrev_b32_e32 v10, 24, v10
	v_bfrev_b32_e32 v13, 60
	v_lshlrev_b32_e32 v11, 20, v11
	v_and_b32_e32 v10, 0x80000000, v10
	v_lshl_add_u32 v12, v12, 23, v13
	v_or3_b32 v11, v10, v12, v11
.LBB6_15161:                            ;   in Loop: Header=BB6_12355 Depth=2
	s_or_b64 exec, exec, s[78:79]
.LBB6_15162:                            ;   in Loop: Header=BB6_12355 Depth=2
	s_or_b64 exec, exec, s[76:77]
.LBB6_15163:                            ;   in Loop: Header=BB6_12355 Depth=2
	s_or_b64 exec, exec, s[20:21]
	v_mul_f32_e32 v10, v19, v11
	v_and_b32_e32 v52, 0x7f800000, v10
	v_cmp_ne_u64_e32 vcc, s[46:47], v[52:53]
                                        ; implicit-def: $vgpr52
	s_and_saveexec_b64 s[20:21], vcc
	s_xor_b64 s[76:77], exec, s[20:21]
	s_cbranch_execz .LBB6_15177
; %bb.15164:                            ;   in Loop: Header=BB6_12355 Depth=2
	v_and_b32_e32 v52, 0x7fffffff, v10
	v_cmp_gt_u64_e32 vcc, s[56:57], v[52:53]
	v_and_b32_sdwa v13, v10, s48 dst_sel:DWORD dst_unused:UNUSED_PAD src0_sel:BYTE_3 src1_sel:DWORD
                                        ; implicit-def: $vgpr52
	s_and_saveexec_b64 s[20:21], vcc
	s_xor_b64 s[78:79], exec, s[20:21]
	s_cbranch_execz .LBB6_15174
; %bb.15165:                            ;   in Loop: Header=BB6_12355 Depth=2
	v_mov_b32_e32 v52, 0
	v_cmp_ne_u32_e32 vcc, 0, v10
	s_and_saveexec_b64 s[88:89], vcc
	s_cbranch_execz .LBB6_15173
; %bb.15166:                            ;   in Loop: Header=BB6_12355 Depth=2
	v_bfe_u32 v14, v10, 23, 8
	v_and_b32_e32 v11, 0x7fffff, v10
	v_cmp_gt_u32_e64 s[20:21], s49, v14
	v_sub_u32_e32 v10, 0x79, v14
	v_cmp_eq_u32_e32 vcc, 0, v14
	v_cndmask_b32_e64 v10, 0, v10, s[20:21]
	v_mov_b32_e32 v15, 0x78
	v_cndmask_b32_e32 v15, v10, v15, vcc
	v_or_b32_e32 v12, 0x800000, v11
	v_add_u32_e32 v10, 20, v15
	v_cndmask_b32_e32 v52, v12, v11, vcc
	v_lshlrev_b64 v[10:11], v10, -1
	v_add_u32_e32 v12, 19, v15
	v_mov_b32_e32 v19, v46
	v_mov_b32_e32 v16, v45
	v_lshlrev_b64 v[45:46], v12, 1
	v_bfi_b32 v11, v11, 0, 0
	v_bfi_b32 v10, v10, 0, v52
	v_cmp_eq_u64_e64 s[20:21], v[10:11], v[45:46]
	v_lshrrev_b64 v[10:11], v15, v[52:53]
	v_mov_b32_e32 v12, v11
	v_mov_b32_e32 v11, v10
	s_and_saveexec_b64 s[90:91], s[20:21]
; %bb.15167:                            ;   in Loop: Header=BB6_12355 Depth=2
	v_bfe_u32 v11, v10, 20, 1
	v_add_co_u32_e64 v11, s[20:21], v10, v11
	v_add_co_u32_e64 v11, s[20:21], -1, v11
; %bb.15168:                            ;   in Loop: Header=BB6_12355 Depth=2
	s_or_b64 exec, exec, s[90:91]
	v_add_u32_e32 v12, 0xffffff81, v14
	v_mov_b32_e32 v14, 0xffffff82
	v_cndmask_b32_e32 v12, v12, v14, vcc
	v_lshrrev_b32_e32 v14, 23, v10
	v_add3_u32 v15, v15, v12, v14
	v_add_u32_e32 v14, 6, v15
	v_and_b32_e32 v11, 0xfffff, v11
	v_add_u32_e32 v52, v11, v10
	v_cmp_ne_u32_e32 vcc, 0, v14
                                        ; implicit-def: $vgpr10_vgpr11
                                        ; implicit-def: $vgpr12
	s_and_saveexec_b64 s[20:21], vcc
	s_xor_b64 s[20:21], exec, s[20:21]
; %bb.15169:                            ;   in Loop: Header=BB6_12355 Depth=2
	v_cmp_lt_u64_e32 vcc, s[58:59], v[52:53]
	v_add_u32_e32 v10, 7, v15
	v_cndmask_b32_e32 v12, v14, v10, vcc
	v_cndmask_b32_e64 v10, 0, 1, vcc
	v_lshrrev_b64 v[10:11], v10, v[52:53]
; %bb.15170:                            ;   in Loop: Header=BB6_12355 Depth=2
	s_or_saveexec_b64 s[20:21], s[20:21]
	v_mov_b32_e32 v45, v16
	v_mov_b32_e32 v46, v19
	s_xor_b64 exec, exec, s[20:21]
; %bb.15171:                            ;   in Loop: Header=BB6_12355 Depth=2
	v_mov_b32_e32 v10, v52
	v_bfe_u32 v12, v52, 23, 1
	v_mov_b32_e32 v11, v53
; %bb.15172:                            ;   in Loop: Header=BB6_12355 Depth=2
	s_or_b64 exec, exec, s[20:21]
	v_lshrrev_b64 v[10:11], 20, v[10:11]
	v_cmp_gt_i32_e32 vcc, 16, v12
	v_cndmask_b32_e32 v11, 0, v11, vcc
	v_cndmask_b32_e32 v10, 7, v10, vcc
	v_cmp_eq_u64_e64 s[20:21], 0, v[10:11]
	v_min_i32_e32 v11, 15, v12
	v_lshlrev_b32_e32 v11, 3, v11
	v_cmp_eq_u32_e32 vcc, 0, v12
	v_and_b32_e32 v11, 0xf8, v11
	v_and_or_b32 v10, v10, 7, v11
	s_and_b64 s[20:21], vcc, s[20:21]
	v_cndmask_b32_e64 v10, v10, 0, s[20:21]
	v_or_b32_e32 v52, v10, v13
.LBB6_15173:                            ;   in Loop: Header=BB6_12355 Depth=2
	s_or_b64 exec, exec, s[88:89]
                                        ; implicit-def: $vgpr13
.LBB6_15174:                            ;   in Loop: Header=BB6_12355 Depth=2
	s_andn2_saveexec_b64 s[20:21], s[78:79]
; %bb.15175:                            ;   in Loop: Header=BB6_12355 Depth=2
	v_or_b32_e32 v52, 0x7e, v13
; %bb.15176:                            ;   in Loop: Header=BB6_12355 Depth=2
	s_or_b64 exec, exec, s[20:21]
                                        ; implicit-def: $vgpr10
.LBB6_15177:                            ;   in Loop: Header=BB6_12355 Depth=2
	s_or_saveexec_b64 s[20:21], s[76:77]
	v_mov_b32_e32 v41, v47
	s_xor_b64 exec, exec, s[20:21]
	s_cbranch_execz .LBB6_12354
; %bb.15178:                            ;   in Loop: Header=BB6_12355 Depth=2
	v_or_b32_sdwa v52, v10, s39 dst_sel:DWORD dst_unused:UNUSED_PAD src0_sel:BYTE_3 src1_sel:DWORD
	s_branch .LBB6_12354
.LBB6_15179:                            ;   in Loop: Header=BB6_12279 Depth=1
	s_or_b64 exec, exec, s[74:75]
.LBB6_15180:                            ;   in Loop: Header=BB6_12279 Depth=1
	s_or_b64 exec, exec, s[22:23]
	buffer_load_dword v0, off, s[0:3], s33 offset:584 ; 4-byte Folded Reload
	s_mov_b64 s[20:21], 0
                                        ; implicit-def: $vgpr1
                                        ; implicit-def: $vgpr2
	s_waitcnt vmcnt(0)
	v_and_b32_e32 v4, 0x3fffe000, v0
	v_cmp_ne_u32_e32 vcc, v0, v4
	v_mov_b32_e32 v0, 0
	s_and_saveexec_b64 s[74:75], vcc
	s_cbranch_execz .LBB6_15546
; %bb.15181:                            ;   in Loop: Header=BB6_12279 Depth=1
	buffer_load_dword v7, off, s[0:3], s33 offset:584 ; 4-byte Folded Reload
	buffer_load_dword v2, off, s[0:3], s33 offset:620 ; 4-byte Folded Reload
	v_lshlrev_b32_e32 v1, 6, v3
	s_waitcnt vmcnt(1)
	v_and_b32_e32 v0, 0x1fff, v7
	s_waitcnt vmcnt(0)
	v_sub_u32_e32 v1, v2, v1
	v_ashrrev_i32_e32 v2, 31, v1
	v_lshrrev_b32_e32 v2, 26, v2
	v_add_u32_e32 v2, v1, v2
	v_ashrrev_i32_e32 v3, 6, v2
	v_and_b32_e32 v2, 0xffffffc0, v2
	v_sub_u32_e32 v2, v1, v2
	v_lshlrev_b32_e32 v1, 4, v2
	v_lshl_add_u32 v5, v3, 10, v1
	v_and_b32_e32 v1, 0x3ff, v7
	v_bfe_u32 v6, v7, 10, 3
	v_cmp_lt_u32_e64 s[20:21], 15, v1
	v_sub_u32_e32 v0, v0, v5
	v_addc_co_u32_e64 v6, vcc, 0, v6, s[20:21]
	v_sub_u32_e32 v3, v6, v3
	v_cmp_lt_i32_e32 vcc, 15, v0
	s_and_saveexec_b64 s[76:77], vcc
	s_cbranch_execz .LBB6_15545
; %bb.15182:                            ;   in Loop: Header=BB6_12279 Depth=1
	s_trap 2
	ds_read_b64 v[6:7], v0
	v_add_u32_e32 v4, v5, v4
	v_ashrrev_i32_e32 v5, 31, v4
	s_waitcnt lgkmcnt(0)
	v_readfirstlane_b32 s22, v6
	s_and_b32 s23, s22, 7
	s_flbit_i32_b32 s23, s23
	s_min_u32 s23, s23, 32
	s_and_b32 s78, s22, 0x7f
	s_bfe_u32 s79, s22, 0x40003
	s_sub_i32 s88, s23, 28
	s_sub_i32 s23, 29, s23
	s_cmp_lt_u32 s78, 8
	s_cselect_b32 s88, s88, 0
	s_cselect_b32 s23, s23, s79
	v_lshlrev_b64 v[6:7], s88, v[6:7]
	s_lshl_b32 s79, s22, 24
	s_lshl_b32 s23, s23, 23
	s_and_b32 s79, s79, 0x80000000
	s_add_i32 s23, s23, 0x3c000000
	v_lshlrev_b32_e32 v6, 20, v6
	s_or_b32 s23, s79, s23
	v_and_b32_e32 v6, 0x700000, v6
	s_cmpk_lg_i32 s78, 0x7f
	v_or_b32_e32 v6, s23, v6
	s_cselect_b64 vcc, -1, 0
	v_mov_b32_e32 v7, 0x7f800001
	v_cndmask_b32_e32 v6, v7, v6, vcc
	s_mov_b64 s[78:79], 0
	s_and_b32 s30, s22, 0xff
	s_branch .LBB6_15184
.LBB6_15183:                            ;   in Loop: Header=BB6_15184 Depth=2
	s_or_b64 exec, exec, s[22:23]
	v_lshl_or_b32 v7, v20, 8, v19
	v_lshlrev_b32_e32 v11, 16, v16
	v_lshlrev_b32_e32 v12, 24, v21
	v_or3_b32 v12, v7, v11, v12
	v_lshl_or_b32 v7, v9, 8, v8
	v_lshlrev_b32_e32 v8, 16, v17
	v_lshlrev_b32_e32 v9, 24, v18
	v_or3_b32 v11, v7, v8, v9
	;; [unrolled: 4-line block ×3, first 2 shown]
	v_lshlrev_b32_e32 v7, 24, v10
	v_lshlrev_b32_e32 v8, 16, v14
	v_lshl_or_b32 v9, v27, 8, v26
	v_or3_b32 v14, v9, v8, v7
	buffer_load_dword v7, off, s[0:3], s33 offset:580 ; 4-byte Folded Reload
	v_add_co_u32_e32 v28, vcc, v58, v4
	v_addc_co_u32_e32 v29, vcc, v59, v5, vcc
	v_sub_u32_e32 v3, v3, v47
	global_store_dwordx4 v[28:29], v[11:14], off glc slc
	s_waitcnt vmcnt(1)
	v_sub_u32_e32 v0, v0, v7
	v_cmp_gt_i32_e32 vcc, 16, v0
	s_or_b64 s[78:79], vcc, s[78:79]
	v_add_co_u32_e32 v4, vcc, v4, v7
	v_addc_co_u32_e32 v5, vcc, 0, v5, vcc
	s_andn2_b64 exec, exec, s[78:79]
	s_cbranch_execz .LBB6_15544
.LBB6_15184:                            ;   Parent Loop BB6_12279 Depth=1
                                        ; =>  This Inner Loop Header: Depth=2
	s_cmpk_lt_i32 s30, 0x80
	s_cbranch_scc1 .LBB6_15188
; %bb.15185:                            ;   in Loop: Header=BB6_15184 Depth=2
	s_and_b32 s22, 0xffff, s30
	s_cmpk_eq_i32 s22, 0x80
	s_mov_b64 s[22:23], -1
	s_cbranch_scc0 .LBB6_15187
; %bb.15186:                            ;   in Loop: Header=BB6_15184 Depth=2
	s_mov_b64 s[22:23], 0
.LBB6_15187:                            ;   in Loop: Header=BB6_15184 Depth=2
	s_brev_b32 s90, 1
	s_branch .LBB6_15190
.LBB6_15188:                            ;   in Loop: Header=BB6_15184 Depth=2
	s_mov_b64 s[22:23], 0
	s_brev_b32 s90, 1
	s_cbranch_execz .LBB6_15190
; %bb.15189:                            ;   in Loop: Header=BB6_15184 Depth=2
	s_and_b32 s22, 0xffff, s30
	s_cmp_lg_u32 s22, 0
	s_mov_b32 s90, 0
	s_cselect_b64 s[22:23], -1, 0
.LBB6_15190:                            ;   in Loop: Header=BB6_15184 Depth=2
	s_andn2_b64 vcc, exec, s[22:23]
	v_mov_b32_e32 v7, s90
	s_cbranch_vccnz .LBB6_15192
; %bb.15191:                            ;   in Loop: Header=BB6_15184 Depth=2
	v_mov_b32_e32 v7, v6
.LBB6_15192:                            ;   in Loop: Header=BB6_15184 Depth=2
	v_add_co_u32_e32 v8, vcc, v42, v4
	v_addc_co_u32_e32 v9, vcc, v43, v5, vcc
	global_load_dwordx4 v[10:13], v[8:9], off glc slc
	v_mov_b32_e32 v8, 0
	s_waitcnt vmcnt(0)
	v_cmp_ne_u16_sdwa s[88:89], v10, v53 src0_sel:BYTE_0 src1_sel:DWORD
	s_and_saveexec_b64 s[22:23], s[88:89]
	s_cbranch_execz .LBB6_15198
; %bb.15193:                            ;   in Loop: Header=BB6_15184 Depth=2
	v_cmp_ne_u16_sdwa s[90:91], v10, s48 src0_sel:BYTE_0 src1_sel:DWORD
	v_bfrev_b32_e32 v8, 1
	s_and_saveexec_b64 s[88:89], s[90:91]
	s_cbranch_execz .LBB6_15197
; %bb.15194:                            ;   in Loop: Header=BB6_15184 Depth=2
	v_and_b32_e32 v9, 0x7f, v10
	v_cmp_ne_u32_e32 vcc, s39, v9
	v_mov_b32_e32 v8, 0x7f800001
	s_and_saveexec_b64 s[90:91], vcc
	s_cbranch_execz .LBB6_15196
; %bb.15195:                            ;   in Loop: Header=BB6_15184 Depth=2
	v_and_b32_e32 v8, 7, v10
	v_ffbh_u32_e32 v8, v8
	v_min_u32_e32 v8, 32, v8
	v_lshrrev_b32_e32 v14, 3, v9
	v_cmp_gt_u32_e32 vcc, 8, v9
	v_subrev_u32_e32 v9, 28, v8
	v_sub_u32_e32 v8, 29, v8
	v_cndmask_b32_e32 v14, v14, v8, vcc
	v_cndmask_b32_e32 v8, 0, v9, vcc
	v_lshlrev_b64 v[8:9], v8, v[10:11]
	v_lshlrev_b32_e32 v9, 24, v10
	v_lshlrev_b32_e32 v8, 20, v8
	v_bfrev_b32_e32 v15, 60
	v_and_b32_e32 v8, 0x700000, v8
	v_and_b32_e32 v9, 0x80000000, v9
	v_lshl_add_u32 v14, v14, 23, v15
	v_or3_b32 v8, v9, v14, v8
.LBB6_15196:                            ;   in Loop: Header=BB6_15184 Depth=2
	s_or_b64 exec, exec, s[90:91]
.LBB6_15197:                            ;   in Loop: Header=BB6_15184 Depth=2
	s_or_b64 exec, exec, s[88:89]
.LBB6_15198:                            ;   in Loop: Header=BB6_15184 Depth=2
	s_or_b64 exec, exec, s[22:23]
	v_mul_f32_e32 v14, v7, v8
	v_and_b32_e32 v52, 0x7f800000, v14
	v_cmp_ne_u64_e32 vcc, s[46:47], v[52:53]
                                        ; implicit-def: $vgpr8
	s_and_saveexec_b64 s[22:23], vcc
	s_xor_b64 s[88:89], exec, s[22:23]
	s_cbranch_execz .LBB6_15212
; %bb.15199:                            ;   in Loop: Header=BB6_15184 Depth=2
	v_and_b32_e32 v52, 0x7fffffff, v14
	v_cmp_gt_u64_e32 vcc, s[56:57], v[52:53]
	v_and_b32_sdwa v9, v14, s48 dst_sel:DWORD dst_unused:UNUSED_PAD src0_sel:BYTE_3 src1_sel:DWORD
                                        ; implicit-def: $vgpr8
	s_and_saveexec_b64 s[22:23], vcc
	s_xor_b64 s[90:91], exec, s[22:23]
	s_cbranch_execz .LBB6_15209
; %bb.15200:                            ;   in Loop: Header=BB6_15184 Depth=2
	v_mov_b32_e32 v8, 0
	v_cmp_ne_u32_e32 vcc, 0, v14
	s_and_saveexec_b64 s[92:93], vcc
	s_cbranch_execz .LBB6_15208
; %bb.15201:                            ;   in Loop: Header=BB6_15184 Depth=2
	v_bfe_u32 v8, v14, 23, 8
	v_and_b32_e32 v15, 0x7fffff, v14
	v_cmp_gt_u32_e64 s[22:23], s49, v8
	v_sub_u32_e32 v14, 0x79, v8
	v_cmp_eq_u32_e32 vcc, 0, v8
	v_cndmask_b32_e64 v14, 0, v14, s[22:23]
	v_mov_b32_e32 v17, 0x78
	v_cndmask_b32_e32 v17, v14, v17, vcc
	v_or_b32_e32 v16, 0x800000, v15
	v_add_u32_e32 v14, 20, v17
	v_cndmask_b32_e32 v52, v16, v15, vcc
	v_lshlrev_b64 v[14:15], v14, -1
	v_add_u32_e32 v16, 19, v17
	v_lshlrev_b64 v[18:19], v16, 1
	v_bfi_b32 v15, v15, 0, 0
	v_bfi_b32 v14, v14, 0, v52
	v_cmp_eq_u64_e64 s[22:23], v[14:15], v[18:19]
	v_lshrrev_b64 v[14:15], v17, v[52:53]
	v_mov_b32_e32 v16, v15
	v_mov_b32_e32 v15, v14
	s_and_saveexec_b64 s[94:95], s[22:23]
; %bb.15202:                            ;   in Loop: Header=BB6_15184 Depth=2
	v_bfe_u32 v15, v14, 20, 1
	v_add_co_u32_e64 v15, s[22:23], v14, v15
	v_add_co_u32_e64 v15, s[22:23], -1, v15
; %bb.15203:                            ;   in Loop: Header=BB6_15184 Depth=2
	s_or_b64 exec, exec, s[94:95]
	v_add_u32_e32 v8, 0xffffff81, v8
	v_mov_b32_e32 v16, 0xffffff82
	v_cndmask_b32_e32 v8, v8, v16, vcc
	v_lshrrev_b32_e32 v16, 23, v14
	v_add3_u32 v17, v17, v8, v16
	v_add_u32_e32 v16, 6, v17
	v_and_b32_e32 v8, 0xfffff, v15
	v_add_u32_e32 v52, v8, v14
	v_cmp_ne_u32_e32 vcc, 0, v16
                                        ; implicit-def: $vgpr14_vgpr15
                                        ; implicit-def: $vgpr8
	s_and_saveexec_b64 s[22:23], vcc
	s_xor_b64 s[22:23], exec, s[22:23]
; %bb.15204:                            ;   in Loop: Header=BB6_15184 Depth=2
	v_cmp_lt_u64_e32 vcc, s[58:59], v[52:53]
	v_add_u32_e32 v8, 7, v17
	v_cndmask_b32_e64 v14, 0, 1, vcc
	v_cndmask_b32_e32 v8, v16, v8, vcc
	v_lshrrev_b64 v[14:15], v14, v[52:53]
; %bb.15205:                            ;   in Loop: Header=BB6_15184 Depth=2
	s_andn2_saveexec_b64 s[22:23], s[22:23]
; %bb.15206:                            ;   in Loop: Header=BB6_15184 Depth=2
	v_mov_b32_e32 v14, v52
	v_bfe_u32 v8, v52, 23, 1
	v_mov_b32_e32 v15, v53
; %bb.15207:                            ;   in Loop: Header=BB6_15184 Depth=2
	s_or_b64 exec, exec, s[22:23]
	v_lshrrev_b64 v[14:15], 20, v[14:15]
	v_cmp_gt_i32_e32 vcc, 16, v8
	v_cndmask_b32_e32 v15, 0, v15, vcc
	v_cndmask_b32_e32 v14, 7, v14, vcc
	v_cmp_eq_u32_e32 vcc, 0, v8
	v_min_i32_e32 v8, 15, v8
	v_cmp_eq_u64_e64 s[22:23], 0, v[14:15]
	v_lshlrev_b32_e32 v8, 3, v8
	v_and_b32_e32 v8, 0xf8, v8
	v_and_or_b32 v8, v14, 7, v8
	s_and_b64 s[22:23], vcc, s[22:23]
	v_cndmask_b32_e64 v8, v8, 0, s[22:23]
	v_or_b32_e32 v8, v8, v9
.LBB6_15208:                            ;   in Loop: Header=BB6_15184 Depth=2
	s_or_b64 exec, exec, s[92:93]
                                        ; implicit-def: $vgpr9
.LBB6_15209:                            ;   in Loop: Header=BB6_15184 Depth=2
	s_andn2_saveexec_b64 s[22:23], s[90:91]
; %bb.15210:                            ;   in Loop: Header=BB6_15184 Depth=2
	v_or_b32_e32 v8, 0x7e, v9
; %bb.15211:                            ;   in Loop: Header=BB6_15184 Depth=2
	s_or_b64 exec, exec, s[22:23]
                                        ; implicit-def: $vgpr14
.LBB6_15212:                            ;   in Loop: Header=BB6_15184 Depth=2
	s_andn2_saveexec_b64 s[22:23], s[88:89]
; %bb.15213:                            ;   in Loop: Header=BB6_15184 Depth=2
	v_or_b32_sdwa v8, v14, s39 dst_sel:DWORD dst_unused:UNUSED_PAD src0_sel:BYTE_3 src1_sel:DWORD
; %bb.15214:                            ;   in Loop: Header=BB6_15184 Depth=2
	s_or_b64 exec, exec, s[22:23]
	v_lshrrev_b16_e32 v14, 8, v10
	v_cmp_ne_u16_e32 vcc, 0, v14
	v_mov_b32_e32 v9, 0
	s_and_saveexec_b64 s[22:23], vcc
	s_cbranch_execz .LBB6_15220
; %bb.15215:                            ;   in Loop: Header=BB6_15184 Depth=2
	v_cmp_ne_u16_e32 vcc, s48, v14
	v_bfrev_b32_e32 v9, 1
	s_and_saveexec_b64 s[88:89], vcc
	s_cbranch_execz .LBB6_15219
; %bb.15216:                            ;   in Loop: Header=BB6_15184 Depth=2
	v_and_b32_e32 v15, 0x7f, v14
	v_cmp_ne_u32_e32 vcc, s39, v15
	v_mov_b32_e32 v9, 0x7f800001
	s_and_saveexec_b64 s[90:91], vcc
	s_cbranch_execz .LBB6_15218
; %bb.15217:                            ;   in Loop: Header=BB6_15184 Depth=2
	v_and_b32_e32 v9, 7, v14
	v_lshrrev_b32_e32 v16, 3, v15
	v_cmp_gt_u32_e32 vcc, 8, v15
	v_ffbh_u32_e32 v15, v9
	v_min_u32_e32 v17, 32, v15
	v_subrev_u32_e32 v15, 28, v17
	v_lshlrev_b64 v[14:15], v15, v[14:15]
	v_sub_u32_e32 v15, 29, v17
	v_and_b32_e32 v14, 7, v14
	v_cndmask_b32_e32 v15, v16, v15, vcc
	v_cndmask_b32_e32 v9, v9, v14, vcc
	v_lshlrev_b32_e32 v14, 16, v10
	v_bfrev_b32_e32 v16, 60
	v_lshlrev_b32_e32 v9, 20, v9
	v_and_b32_e32 v14, 0x80000000, v14
	v_lshl_add_u32 v15, v15, 23, v16
	v_or3_b32 v9, v14, v15, v9
.LBB6_15218:                            ;   in Loop: Header=BB6_15184 Depth=2
	s_or_b64 exec, exec, s[90:91]
.LBB6_15219:                            ;   in Loop: Header=BB6_15184 Depth=2
	s_or_b64 exec, exec, s[88:89]
.LBB6_15220:                            ;   in Loop: Header=BB6_15184 Depth=2
	s_or_b64 exec, exec, s[22:23]
	v_mul_f32_e32 v14, v7, v9
	v_and_b32_e32 v52, 0x7f800000, v14
	v_cmp_ne_u64_e32 vcc, s[46:47], v[52:53]
                                        ; implicit-def: $vgpr9
	s_and_saveexec_b64 s[22:23], vcc
	s_xor_b64 s[88:89], exec, s[22:23]
	s_cbranch_execz .LBB6_15234
; %bb.15221:                            ;   in Loop: Header=BB6_15184 Depth=2
	v_and_b32_e32 v52, 0x7fffffff, v14
	v_cmp_gt_u64_e32 vcc, s[56:57], v[52:53]
	v_and_b32_sdwa v17, v14, s48 dst_sel:DWORD dst_unused:UNUSED_PAD src0_sel:BYTE_3 src1_sel:DWORD
                                        ; implicit-def: $vgpr9
	s_and_saveexec_b64 s[22:23], vcc
	s_xor_b64 s[90:91], exec, s[22:23]
	s_cbranch_execz .LBB6_15231
; %bb.15222:                            ;   in Loop: Header=BB6_15184 Depth=2
	v_mov_b32_e32 v9, 0
	v_cmp_ne_u32_e32 vcc, 0, v14
	s_and_saveexec_b64 s[92:93], vcc
	s_cbranch_execz .LBB6_15230
; %bb.15223:                            ;   in Loop: Header=BB6_15184 Depth=2
	v_bfe_u32 v9, v14, 23, 8
	v_and_b32_e32 v15, 0x7fffff, v14
	v_cmp_gt_u32_e64 s[22:23], s49, v9
	v_sub_u32_e32 v14, 0x79, v9
	v_cmp_eq_u32_e32 vcc, 0, v9
	v_cndmask_b32_e64 v14, 0, v14, s[22:23]
	v_mov_b32_e32 v18, 0x78
	v_cndmask_b32_e32 v18, v14, v18, vcc
	v_or_b32_e32 v16, 0x800000, v15
	v_add_u32_e32 v14, 20, v18
	v_cndmask_b32_e32 v52, v16, v15, vcc
	v_lshlrev_b64 v[14:15], v14, -1
	v_add_u32_e32 v16, 19, v18
	v_lshlrev_b64 v[19:20], v16, 1
	v_bfi_b32 v15, v15, 0, 0
	v_bfi_b32 v14, v14, 0, v52
	v_cmp_eq_u64_e64 s[22:23], v[14:15], v[19:20]
	v_lshrrev_b64 v[14:15], v18, v[52:53]
	v_mov_b32_e32 v16, v15
	v_mov_b32_e32 v15, v14
	s_and_saveexec_b64 s[94:95], s[22:23]
; %bb.15224:                            ;   in Loop: Header=BB6_15184 Depth=2
	v_bfe_u32 v15, v14, 20, 1
	v_add_co_u32_e64 v15, s[22:23], v14, v15
	v_add_co_u32_e64 v15, s[22:23], -1, v15
; %bb.15225:                            ;   in Loop: Header=BB6_15184 Depth=2
	s_or_b64 exec, exec, s[94:95]
	v_add_u32_e32 v9, 0xffffff81, v9
	v_mov_b32_e32 v16, 0xffffff82
	v_cndmask_b32_e32 v9, v9, v16, vcc
	v_lshrrev_b32_e32 v16, 23, v14
	v_add3_u32 v18, v18, v9, v16
	v_add_u32_e32 v16, 6, v18
	v_and_b32_e32 v9, 0xfffff, v15
	v_add_u32_e32 v52, v9, v14
	v_cmp_ne_u32_e32 vcc, 0, v16
                                        ; implicit-def: $vgpr14_vgpr15
                                        ; implicit-def: $vgpr9
	s_and_saveexec_b64 s[22:23], vcc
	s_xor_b64 s[22:23], exec, s[22:23]
; %bb.15226:                            ;   in Loop: Header=BB6_15184 Depth=2
	v_cmp_lt_u64_e32 vcc, s[58:59], v[52:53]
	v_add_u32_e32 v9, 7, v18
	v_cndmask_b32_e64 v14, 0, 1, vcc
	v_cndmask_b32_e32 v9, v16, v9, vcc
	v_lshrrev_b64 v[14:15], v14, v[52:53]
; %bb.15227:                            ;   in Loop: Header=BB6_15184 Depth=2
	s_andn2_saveexec_b64 s[22:23], s[22:23]
; %bb.15228:                            ;   in Loop: Header=BB6_15184 Depth=2
	v_mov_b32_e32 v14, v52
	v_bfe_u32 v9, v52, 23, 1
	v_mov_b32_e32 v15, v53
; %bb.15229:                            ;   in Loop: Header=BB6_15184 Depth=2
	s_or_b64 exec, exec, s[22:23]
	v_lshrrev_b64 v[14:15], 20, v[14:15]
	v_cmp_gt_i32_e32 vcc, 16, v9
	v_cndmask_b32_e32 v15, 0, v15, vcc
	v_cndmask_b32_e32 v14, 7, v14, vcc
	v_cmp_eq_u32_e32 vcc, 0, v9
	v_min_i32_e32 v9, 15, v9
	v_cmp_eq_u64_e64 s[22:23], 0, v[14:15]
	v_lshlrev_b32_e32 v9, 3, v9
	v_and_b32_e32 v9, 0xf8, v9
	v_and_or_b32 v9, v14, 7, v9
	s_and_b64 s[22:23], vcc, s[22:23]
	v_cndmask_b32_e64 v9, v9, 0, s[22:23]
	v_or_b32_e32 v9, v9, v17
.LBB6_15230:                            ;   in Loop: Header=BB6_15184 Depth=2
	s_or_b64 exec, exec, s[92:93]
                                        ; implicit-def: $vgpr17
.LBB6_15231:                            ;   in Loop: Header=BB6_15184 Depth=2
	s_andn2_saveexec_b64 s[22:23], s[90:91]
; %bb.15232:                            ;   in Loop: Header=BB6_15184 Depth=2
	v_or_b32_e32 v9, 0x7e, v17
; %bb.15233:                            ;   in Loop: Header=BB6_15184 Depth=2
	s_or_b64 exec, exec, s[22:23]
                                        ; implicit-def: $vgpr14
.LBB6_15234:                            ;   in Loop: Header=BB6_15184 Depth=2
	s_andn2_saveexec_b64 s[22:23], s[88:89]
; %bb.15235:                            ;   in Loop: Header=BB6_15184 Depth=2
	v_or_b32_sdwa v9, v14, s39 dst_sel:DWORD dst_unused:UNUSED_PAD src0_sel:BYTE_3 src1_sel:DWORD
; %bb.15236:                            ;   in Loop: Header=BB6_15184 Depth=2
	s_or_b64 exec, exec, s[22:23]
	v_lshrrev_b32_e32 v14, 16, v10
	v_cmp_ne_u16_sdwa s[88:89], v14, v53 src0_sel:BYTE_0 src1_sel:DWORD
	v_mov_b32_e32 v15, 0
	s_and_saveexec_b64 s[22:23], s[88:89]
	s_cbranch_execz .LBB6_15242
; %bb.15237:                            ;   in Loop: Header=BB6_15184 Depth=2
	v_cmp_ne_u16_sdwa s[90:91], v14, s48 src0_sel:BYTE_0 src1_sel:DWORD
	v_bfrev_b32_e32 v15, 1
	s_and_saveexec_b64 s[88:89], s[90:91]
	s_cbranch_execz .LBB6_15241
; %bb.15238:                            ;   in Loop: Header=BB6_15184 Depth=2
	v_bfe_u32 v16, v10, 16, 7
	v_cmp_ne_u32_e32 vcc, s39, v16
	v_mov_b32_e32 v15, 0x7f800001
	s_and_saveexec_b64 s[90:91], vcc
	s_cbranch_execz .LBB6_15240
; %bb.15239:                            ;   in Loop: Header=BB6_15184 Depth=2
	v_and_b32_e32 v17, 7, v14
	v_ffbh_u32_e32 v15, v17
	v_min_u32_e32 v19, 32, v15
	v_subrev_u32_e32 v15, 28, v19
	v_lshrrev_b32_e32 v18, 3, v16
	v_cmp_gt_u32_e32 vcc, 8, v16
	v_lshlrev_b64 v[15:16], v15, v[14:15]
	v_sub_u32_e32 v16, 29, v19
	v_and_b32_e32 v15, 7, v15
	v_cndmask_b32_e32 v16, v18, v16, vcc
	v_cndmask_b32_e32 v15, v17, v15, vcc
	v_lshlrev_b32_e32 v14, 24, v14
	v_bfrev_b32_e32 v17, 60
	v_lshlrev_b32_e32 v15, 20, v15
	v_and_b32_e32 v14, 0x80000000, v14
	v_lshl_add_u32 v16, v16, 23, v17
	v_or3_b32 v15, v14, v16, v15
.LBB6_15240:                            ;   in Loop: Header=BB6_15184 Depth=2
	s_or_b64 exec, exec, s[90:91]
.LBB6_15241:                            ;   in Loop: Header=BB6_15184 Depth=2
	s_or_b64 exec, exec, s[88:89]
.LBB6_15242:                            ;   in Loop: Header=BB6_15184 Depth=2
	s_or_b64 exec, exec, s[22:23]
	v_mul_f32_e32 v14, v7, v15
	v_and_b32_e32 v52, 0x7f800000, v14
	v_cmp_ne_u64_e32 vcc, s[46:47], v[52:53]
                                        ; implicit-def: $vgpr17
	s_and_saveexec_b64 s[22:23], vcc
	s_xor_b64 s[88:89], exec, s[22:23]
	s_cbranch_execz .LBB6_15256
; %bb.15243:                            ;   in Loop: Header=BB6_15184 Depth=2
	v_and_b32_e32 v52, 0x7fffffff, v14
	v_cmp_gt_u64_e32 vcc, s[56:57], v[52:53]
	v_and_b32_sdwa v18, v14, s48 dst_sel:DWORD dst_unused:UNUSED_PAD src0_sel:BYTE_3 src1_sel:DWORD
                                        ; implicit-def: $vgpr17
	s_and_saveexec_b64 s[22:23], vcc
	s_xor_b64 s[90:91], exec, s[22:23]
	s_cbranch_execz .LBB6_15253
; %bb.15244:                            ;   in Loop: Header=BB6_15184 Depth=2
	v_mov_b32_e32 v17, 0
	v_cmp_ne_u32_e32 vcc, 0, v14
	s_and_saveexec_b64 s[92:93], vcc
	s_cbranch_execz .LBB6_15252
; %bb.15245:                            ;   in Loop: Header=BB6_15184 Depth=2
	v_bfe_u32 v17, v14, 23, 8
	v_and_b32_e32 v15, 0x7fffff, v14
	v_cmp_gt_u32_e64 s[22:23], s49, v17
	v_sub_u32_e32 v14, 0x79, v17
	v_cmp_eq_u32_e32 vcc, 0, v17
	v_cndmask_b32_e64 v14, 0, v14, s[22:23]
	v_mov_b32_e32 v19, 0x78
	v_cndmask_b32_e32 v19, v14, v19, vcc
	v_or_b32_e32 v16, 0x800000, v15
	v_add_u32_e32 v14, 20, v19
	v_cndmask_b32_e32 v52, v16, v15, vcc
	v_lshlrev_b64 v[14:15], v14, -1
	v_add_u32_e32 v16, 19, v19
	v_lshlrev_b64 v[20:21], v16, 1
	v_bfi_b32 v15, v15, 0, 0
	v_bfi_b32 v14, v14, 0, v52
	v_cmp_eq_u64_e64 s[22:23], v[14:15], v[20:21]
	v_lshrrev_b64 v[14:15], v19, v[52:53]
	v_mov_b32_e32 v16, v15
	v_mov_b32_e32 v15, v14
	s_and_saveexec_b64 s[94:95], s[22:23]
; %bb.15246:                            ;   in Loop: Header=BB6_15184 Depth=2
	v_bfe_u32 v15, v14, 20, 1
	v_add_co_u32_e64 v15, s[22:23], v14, v15
	v_add_co_u32_e64 v15, s[22:23], -1, v15
; %bb.15247:                            ;   in Loop: Header=BB6_15184 Depth=2
	s_or_b64 exec, exec, s[94:95]
	v_add_u32_e32 v16, 0xffffff81, v17
	v_mov_b32_e32 v17, 0xffffff82
	v_cndmask_b32_e32 v16, v16, v17, vcc
	v_lshrrev_b32_e32 v17, 23, v14
	v_add3_u32 v19, v19, v16, v17
	v_add_u32_e32 v17, 6, v19
	v_and_b32_e32 v15, 0xfffff, v15
	v_add_u32_e32 v52, v15, v14
	v_cmp_ne_u32_e32 vcc, 0, v17
                                        ; implicit-def: $vgpr14_vgpr15
                                        ; implicit-def: $vgpr16
	s_and_saveexec_b64 s[22:23], vcc
	s_xor_b64 s[22:23], exec, s[22:23]
; %bb.15248:                            ;   in Loop: Header=BB6_15184 Depth=2
	v_cmp_lt_u64_e32 vcc, s[58:59], v[52:53]
	v_add_u32_e32 v14, 7, v19
	v_cndmask_b32_e32 v16, v17, v14, vcc
	v_cndmask_b32_e64 v14, 0, 1, vcc
	v_lshrrev_b64 v[14:15], v14, v[52:53]
; %bb.15249:                            ;   in Loop: Header=BB6_15184 Depth=2
	s_andn2_saveexec_b64 s[22:23], s[22:23]
; %bb.15250:                            ;   in Loop: Header=BB6_15184 Depth=2
	v_mov_b32_e32 v14, v52
	v_bfe_u32 v16, v52, 23, 1
	v_mov_b32_e32 v15, v53
; %bb.15251:                            ;   in Loop: Header=BB6_15184 Depth=2
	s_or_b64 exec, exec, s[22:23]
	v_lshrrev_b64 v[14:15], 20, v[14:15]
	v_cmp_gt_i32_e32 vcc, 16, v16
	v_cndmask_b32_e32 v15, 0, v15, vcc
	v_cndmask_b32_e32 v14, 7, v14, vcc
	v_cmp_eq_u64_e64 s[22:23], 0, v[14:15]
	v_min_i32_e32 v15, 15, v16
	v_lshlrev_b32_e32 v15, 3, v15
	v_cmp_eq_u32_e32 vcc, 0, v16
	v_and_b32_e32 v15, 0xf8, v15
	v_and_or_b32 v14, v14, 7, v15
	s_and_b64 s[22:23], vcc, s[22:23]
	v_cndmask_b32_e64 v14, v14, 0, s[22:23]
	v_or_b32_e32 v17, v14, v18
.LBB6_15252:                            ;   in Loop: Header=BB6_15184 Depth=2
	s_or_b64 exec, exec, s[92:93]
                                        ; implicit-def: $vgpr18
.LBB6_15253:                            ;   in Loop: Header=BB6_15184 Depth=2
	s_andn2_saveexec_b64 s[22:23], s[90:91]
; %bb.15254:                            ;   in Loop: Header=BB6_15184 Depth=2
	v_or_b32_e32 v17, 0x7e, v18
; %bb.15255:                            ;   in Loop: Header=BB6_15184 Depth=2
	s_or_b64 exec, exec, s[22:23]
                                        ; implicit-def: $vgpr14
.LBB6_15256:                            ;   in Loop: Header=BB6_15184 Depth=2
	s_andn2_saveexec_b64 s[22:23], s[88:89]
; %bb.15257:                            ;   in Loop: Header=BB6_15184 Depth=2
	v_or_b32_sdwa v17, v14, s39 dst_sel:DWORD dst_unused:UNUSED_PAD src0_sel:BYTE_3 src1_sel:DWORD
; %bb.15258:                            ;   in Loop: Header=BB6_15184 Depth=2
	s_or_b64 exec, exec, s[22:23]
	v_cmp_lt_u32_e32 vcc, s61, v10
	v_mov_b32_e32 v15, 0
	s_and_saveexec_b64 s[22:23], vcc
	s_cbranch_execz .LBB6_15264
; %bb.15259:                            ;   in Loop: Header=BB6_15184 Depth=2
	v_lshrrev_b32_e32 v14, 24, v10
	v_cmp_ne_u32_e32 vcc, s48, v14
	v_bfrev_b32_e32 v15, 1
	s_and_saveexec_b64 s[88:89], vcc
	s_cbranch_execz .LBB6_15263
; %bb.15260:                            ;   in Loop: Header=BB6_15184 Depth=2
	v_bfe_u32 v16, v10, 24, 7
	v_cmp_ne_u32_e32 vcc, s39, v16
	v_mov_b32_e32 v15, 0x7f800001
	s_and_saveexec_b64 s[90:91], vcc
	s_cbranch_execz .LBB6_15262
; %bb.15261:                            ;   in Loop: Header=BB6_15184 Depth=2
	v_and_b32_e32 v18, 7, v14
	v_ffbh_u32_e32 v15, v18
	v_min_u32_e32 v20, 32, v15
	v_subrev_u32_e32 v15, 28, v20
	v_lshrrev_b32_e32 v19, 3, v16
	v_cmp_gt_u32_e32 vcc, 8, v16
	v_lshlrev_b64 v[15:16], v15, v[14:15]
	v_sub_u32_e32 v16, 29, v20
	v_and_b32_e32 v15, 7, v15
	v_cndmask_b32_e32 v16, v19, v16, vcc
	v_cndmask_b32_e32 v15, v18, v15, vcc
	v_lshlrev_b32_e32 v14, 24, v14
	v_bfrev_b32_e32 v18, 60
	v_lshlrev_b32_e32 v15, 20, v15
	v_and_b32_e32 v14, 0x80000000, v14
	v_lshl_add_u32 v16, v16, 23, v18
	v_or3_b32 v15, v14, v16, v15
.LBB6_15262:                            ;   in Loop: Header=BB6_15184 Depth=2
	s_or_b64 exec, exec, s[90:91]
.LBB6_15263:                            ;   in Loop: Header=BB6_15184 Depth=2
	s_or_b64 exec, exec, s[88:89]
.LBB6_15264:                            ;   in Loop: Header=BB6_15184 Depth=2
	s_or_b64 exec, exec, s[22:23]
	v_mul_f32_e32 v14, v7, v15
	v_and_b32_e32 v52, 0x7f800000, v14
	v_cmp_ne_u64_e32 vcc, s[46:47], v[52:53]
                                        ; implicit-def: $vgpr18
	s_and_saveexec_b64 s[22:23], vcc
	s_xor_b64 s[88:89], exec, s[22:23]
	s_cbranch_execz .LBB6_15278
; %bb.15265:                            ;   in Loop: Header=BB6_15184 Depth=2
	v_and_b32_e32 v52, 0x7fffffff, v14
	v_cmp_gt_u64_e32 vcc, s[56:57], v[52:53]
	v_and_b32_sdwa v19, v14, s48 dst_sel:DWORD dst_unused:UNUSED_PAD src0_sel:BYTE_3 src1_sel:DWORD
                                        ; implicit-def: $vgpr18
	s_and_saveexec_b64 s[22:23], vcc
	s_xor_b64 s[90:91], exec, s[22:23]
	s_cbranch_execz .LBB6_15275
; %bb.15266:                            ;   in Loop: Header=BB6_15184 Depth=2
	v_mov_b32_e32 v18, 0
	v_cmp_ne_u32_e32 vcc, 0, v14
	s_and_saveexec_b64 s[92:93], vcc
	s_cbranch_execz .LBB6_15274
; %bb.15267:                            ;   in Loop: Header=BB6_15184 Depth=2
	v_bfe_u32 v18, v14, 23, 8
	v_and_b32_e32 v15, 0x7fffff, v14
	v_cmp_gt_u32_e64 s[22:23], s49, v18
	v_sub_u32_e32 v14, 0x79, v18
	v_cmp_eq_u32_e32 vcc, 0, v18
	v_cndmask_b32_e64 v14, 0, v14, s[22:23]
	v_mov_b32_e32 v20, 0x78
	v_cndmask_b32_e32 v20, v14, v20, vcc
	v_or_b32_e32 v16, 0x800000, v15
	v_add_u32_e32 v14, 20, v20
	v_cndmask_b32_e32 v52, v16, v15, vcc
	v_lshlrev_b64 v[14:15], v14, -1
	v_add_u32_e32 v16, 19, v20
	v_lshlrev_b64 v[21:22], v16, 1
	v_bfi_b32 v15, v15, 0, 0
	v_bfi_b32 v14, v14, 0, v52
	v_cmp_eq_u64_e64 s[22:23], v[14:15], v[21:22]
	v_lshrrev_b64 v[14:15], v20, v[52:53]
	v_mov_b32_e32 v16, v15
	v_mov_b32_e32 v15, v14
	s_and_saveexec_b64 s[94:95], s[22:23]
; %bb.15268:                            ;   in Loop: Header=BB6_15184 Depth=2
	v_bfe_u32 v15, v14, 20, 1
	v_add_co_u32_e64 v15, s[22:23], v14, v15
	v_add_co_u32_e64 v15, s[22:23], -1, v15
; %bb.15269:                            ;   in Loop: Header=BB6_15184 Depth=2
	s_or_b64 exec, exec, s[94:95]
	v_add_u32_e32 v16, 0xffffff81, v18
	v_mov_b32_e32 v18, 0xffffff82
	v_cndmask_b32_e32 v16, v16, v18, vcc
	v_lshrrev_b32_e32 v18, 23, v14
	v_add3_u32 v20, v20, v16, v18
	v_add_u32_e32 v18, 6, v20
	v_and_b32_e32 v15, 0xfffff, v15
	v_add_u32_e32 v52, v15, v14
	v_cmp_ne_u32_e32 vcc, 0, v18
                                        ; implicit-def: $vgpr14_vgpr15
                                        ; implicit-def: $vgpr16
	s_and_saveexec_b64 s[22:23], vcc
	s_xor_b64 s[22:23], exec, s[22:23]
; %bb.15270:                            ;   in Loop: Header=BB6_15184 Depth=2
	v_cmp_lt_u64_e32 vcc, s[58:59], v[52:53]
	v_add_u32_e32 v14, 7, v20
	v_cndmask_b32_e32 v16, v18, v14, vcc
	v_cndmask_b32_e64 v14, 0, 1, vcc
	v_lshrrev_b64 v[14:15], v14, v[52:53]
; %bb.15271:                            ;   in Loop: Header=BB6_15184 Depth=2
	s_andn2_saveexec_b64 s[22:23], s[22:23]
; %bb.15272:                            ;   in Loop: Header=BB6_15184 Depth=2
	v_mov_b32_e32 v14, v52
	v_bfe_u32 v16, v52, 23, 1
	v_mov_b32_e32 v15, v53
; %bb.15273:                            ;   in Loop: Header=BB6_15184 Depth=2
	s_or_b64 exec, exec, s[22:23]
	v_lshrrev_b64 v[14:15], 20, v[14:15]
	v_cmp_gt_i32_e32 vcc, 16, v16
	v_cndmask_b32_e32 v15, 0, v15, vcc
	v_cndmask_b32_e32 v14, 7, v14, vcc
	v_cmp_eq_u64_e64 s[22:23], 0, v[14:15]
	v_min_i32_e32 v15, 15, v16
	v_lshlrev_b32_e32 v15, 3, v15
	v_cmp_eq_u32_e32 vcc, 0, v16
	v_and_b32_e32 v15, 0xf8, v15
	v_and_or_b32 v14, v14, 7, v15
	s_and_b64 s[22:23], vcc, s[22:23]
	v_cndmask_b32_e64 v14, v14, 0, s[22:23]
	v_or_b32_e32 v18, v14, v19
.LBB6_15274:                            ;   in Loop: Header=BB6_15184 Depth=2
	s_or_b64 exec, exec, s[92:93]
                                        ; implicit-def: $vgpr19
.LBB6_15275:                            ;   in Loop: Header=BB6_15184 Depth=2
	s_andn2_saveexec_b64 s[22:23], s[90:91]
; %bb.15276:                            ;   in Loop: Header=BB6_15184 Depth=2
	v_or_b32_e32 v18, 0x7e, v19
; %bb.15277:                            ;   in Loop: Header=BB6_15184 Depth=2
	s_or_b64 exec, exec, s[22:23]
                                        ; implicit-def: $vgpr14
.LBB6_15278:                            ;   in Loop: Header=BB6_15184 Depth=2
	s_andn2_saveexec_b64 s[22:23], s[88:89]
; %bb.15279:                            ;   in Loop: Header=BB6_15184 Depth=2
	v_or_b32_sdwa v18, v14, s39 dst_sel:DWORD dst_unused:UNUSED_PAD src0_sel:BYTE_3 src1_sel:DWORD
; %bb.15280:                            ;   in Loop: Header=BB6_15184 Depth=2
	s_or_b64 exec, exec, s[22:23]
	v_mov_b32_e32 v52, v11
	v_cmp_ne_u16_sdwa s[88:89], v11, v53 src0_sel:BYTE_0 src1_sel:DWORD
	v_mov_b32_e32 v14, 0
	s_and_saveexec_b64 s[22:23], s[88:89]
	s_cbranch_execz .LBB6_15286
; %bb.15281:                            ;   in Loop: Header=BB6_15184 Depth=2
	v_cmp_ne_u16_sdwa s[90:91], v11, s48 src0_sel:BYTE_0 src1_sel:DWORD
	v_bfrev_b32_e32 v14, 1
	s_and_saveexec_b64 s[88:89], s[90:91]
	s_cbranch_execz .LBB6_15285
; %bb.15282:                            ;   in Loop: Header=BB6_15184 Depth=2
	v_and_b32_e32 v15, 0x7f, v11
	v_cmp_ne_u32_e32 vcc, s39, v15
	v_mov_b32_e32 v14, 0x7f800001
	s_and_saveexec_b64 s[90:91], vcc
	s_cbranch_execz .LBB6_15284
; %bb.15283:                            ;   in Loop: Header=BB6_15184 Depth=2
	v_and_b32_e32 v14, 7, v11
	v_ffbh_u32_e32 v14, v14
	v_min_u32_e32 v14, 32, v14
	v_lshrrev_b32_e32 v16, 3, v15
	v_cmp_gt_u32_e32 vcc, 8, v15
	v_subrev_u32_e32 v15, 28, v14
	v_sub_u32_e32 v14, 29, v14
	v_cndmask_b32_e32 v16, v16, v14, vcc
	v_cndmask_b32_e32 v14, 0, v15, vcc
	v_lshlrev_b64 v[14:15], v14, v[52:53]
	v_lshlrev_b32_e32 v15, 24, v52
	v_lshlrev_b32_e32 v14, 20, v14
	v_bfrev_b32_e32 v19, 60
	v_and_b32_e32 v14, 0x700000, v14
	v_and_b32_e32 v15, 0x80000000, v15
	v_lshl_add_u32 v16, v16, 23, v19
	v_or3_b32 v14, v15, v16, v14
.LBB6_15284:                            ;   in Loop: Header=BB6_15184 Depth=2
	s_or_b64 exec, exec, s[90:91]
.LBB6_15285:                            ;   in Loop: Header=BB6_15184 Depth=2
	s_or_b64 exec, exec, s[88:89]
.LBB6_15286:                            ;   in Loop: Header=BB6_15184 Depth=2
	s_or_b64 exec, exec, s[22:23]
	v_mul_f32_e32 v14, v7, v14
	v_and_b32_e32 v15, 0x7f800000, v14
	v_mov_b32_e32 v16, v53
	v_cmp_ne_u64_e32 vcc, s[46:47], v[15:16]
                                        ; implicit-def: $vgpr19
	s_and_saveexec_b64 s[22:23], vcc
	s_xor_b64 s[88:89], exec, s[22:23]
	s_cbranch_execz .LBB6_15300
; %bb.15287:                            ;   in Loop: Header=BB6_15184 Depth=2
	v_and_b32_e32 v15, 0x7fffffff, v14
	v_mov_b32_e32 v16, v53
	v_cmp_gt_u64_e32 vcc, s[56:57], v[15:16]
	v_and_b32_sdwa v20, v14, s48 dst_sel:DWORD dst_unused:UNUSED_PAD src0_sel:BYTE_3 src1_sel:DWORD
                                        ; implicit-def: $vgpr19
	s_and_saveexec_b64 s[22:23], vcc
	s_xor_b64 s[90:91], exec, s[22:23]
	s_cbranch_execz .LBB6_15297
; %bb.15288:                            ;   in Loop: Header=BB6_15184 Depth=2
	v_mov_b32_e32 v19, 0
	v_cmp_ne_u32_e32 vcc, 0, v14
	s_and_saveexec_b64 s[92:93], vcc
	s_cbranch_execz .LBB6_15296
; %bb.15289:                            ;   in Loop: Header=BB6_15184 Depth=2
	v_bfe_u32 v19, v14, 23, 8
	v_and_b32_e32 v15, 0x7fffff, v14
	v_cmp_gt_u32_e64 s[22:23], s49, v19
	v_sub_u32_e32 v14, 0x79, v19
	v_cmp_eq_u32_e32 vcc, 0, v19
	v_cndmask_b32_e64 v14, 0, v14, s[22:23]
	v_mov_b32_e32 v21, 0x78
	v_or_b32_e32 v16, 0x800000, v15
	v_cndmask_b32_e32 v21, v14, v21, vcc
	v_cndmask_b32_e32 v14, v16, v15, vcc
	v_add_u32_e32 v16, 20, v21
	v_lshlrev_b64 v[22:23], v16, -1
	v_mov_b32_e32 v15, v53
	v_add_u32_e32 v16, 19, v21
	v_bfi_b32 v22, v22, 0, v14
	v_lshlrev_b64 v[24:25], v16, 1
	v_lshrrev_b64 v[14:15], v21, v[14:15]
	v_bfi_b32 v23, v23, 0, 0
	v_cmp_eq_u64_e64 s[22:23], v[22:23], v[24:25]
	v_mov_b32_e32 v16, v15
	v_mov_b32_e32 v15, v14
	s_and_saveexec_b64 s[94:95], s[22:23]
; %bb.15290:                            ;   in Loop: Header=BB6_15184 Depth=2
	v_bfe_u32 v15, v14, 20, 1
	v_add_co_u32_e64 v15, s[22:23], v14, v15
	v_add_co_u32_e64 v15, s[22:23], -1, v15
; %bb.15291:                            ;   in Loop: Header=BB6_15184 Depth=2
	s_or_b64 exec, exec, s[94:95]
	v_add_u32_e32 v16, 0xffffff81, v19
	v_mov_b32_e32 v19, 0xffffff82
	v_cndmask_b32_e32 v16, v16, v19, vcc
	v_lshrrev_b32_e32 v19, 23, v14
	v_add3_u32 v21, v21, v16, v19
	v_add_u32_e32 v19, 6, v21
	v_and_b32_e32 v15, 0xfffff, v15
	v_add_u32_e32 v14, v15, v14
	v_mov_b32_e32 v15, v53
	v_cmp_ne_u32_e32 vcc, 0, v19
                                        ; implicit-def: $vgpr16
	s_and_saveexec_b64 s[22:23], vcc
	s_xor_b64 s[22:23], exec, s[22:23]
; %bb.15292:                            ;   in Loop: Header=BB6_15184 Depth=2
	v_cmp_lt_u64_e32 vcc, s[58:59], v[14:15]
	v_add_u32_e32 v16, 7, v21
	v_cndmask_b32_e32 v16, v19, v16, vcc
	v_cndmask_b32_e64 v19, 0, 1, vcc
	v_lshrrev_b64 v[14:15], v19, v[14:15]
; %bb.15293:                            ;   in Loop: Header=BB6_15184 Depth=2
	s_andn2_saveexec_b64 s[22:23], s[22:23]
; %bb.15294:                            ;   in Loop: Header=BB6_15184 Depth=2
	v_bfe_u32 v16, v14, 23, 1
; %bb.15295:                            ;   in Loop: Header=BB6_15184 Depth=2
	s_or_b64 exec, exec, s[22:23]
	v_lshrrev_b64 v[14:15], 20, v[14:15]
	v_cmp_gt_i32_e32 vcc, 16, v16
	v_cndmask_b32_e32 v15, 0, v15, vcc
	v_cndmask_b32_e32 v14, 7, v14, vcc
	v_cmp_eq_u64_e64 s[22:23], 0, v[14:15]
	v_min_i32_e32 v15, 15, v16
	v_lshlrev_b32_e32 v15, 3, v15
	v_cmp_eq_u32_e32 vcc, 0, v16
	v_and_b32_e32 v15, 0xf8, v15
	v_and_or_b32 v14, v14, 7, v15
	s_and_b64 s[22:23], vcc, s[22:23]
	v_cndmask_b32_e64 v14, v14, 0, s[22:23]
	v_or_b32_e32 v19, v14, v20
.LBB6_15296:                            ;   in Loop: Header=BB6_15184 Depth=2
	s_or_b64 exec, exec, s[92:93]
                                        ; implicit-def: $vgpr20
.LBB6_15297:                            ;   in Loop: Header=BB6_15184 Depth=2
	s_andn2_saveexec_b64 s[22:23], s[90:91]
; %bb.15298:                            ;   in Loop: Header=BB6_15184 Depth=2
	v_or_b32_e32 v19, 0x7e, v20
; %bb.15299:                            ;   in Loop: Header=BB6_15184 Depth=2
	s_or_b64 exec, exec, s[22:23]
                                        ; implicit-def: $vgpr14
.LBB6_15300:                            ;   in Loop: Header=BB6_15184 Depth=2
	s_andn2_saveexec_b64 s[22:23], s[88:89]
; %bb.15301:                            ;   in Loop: Header=BB6_15184 Depth=2
	v_or_b32_sdwa v19, v14, s39 dst_sel:DWORD dst_unused:UNUSED_PAD src0_sel:BYTE_3 src1_sel:DWORD
; %bb.15302:                            ;   in Loop: Header=BB6_15184 Depth=2
	s_or_b64 exec, exec, s[22:23]
	v_lshrrev_b16_e32 v14, 8, v52
	v_cmp_ne_u16_e32 vcc, 0, v14
	v_mov_b32_e32 v15, 0
	s_and_saveexec_b64 s[22:23], vcc
	s_cbranch_execz .LBB6_15308
; %bb.15303:                            ;   in Loop: Header=BB6_15184 Depth=2
	v_cmp_ne_u16_e32 vcc, s48, v14
	v_bfrev_b32_e32 v15, 1
	s_and_saveexec_b64 s[88:89], vcc
	s_cbranch_execz .LBB6_15307
; %bb.15304:                            ;   in Loop: Header=BB6_15184 Depth=2
	v_and_b32_e32 v16, 0x7f, v14
	v_cmp_ne_u32_e32 vcc, s39, v16
	v_mov_b32_e32 v15, 0x7f800001
	s_and_saveexec_b64 s[90:91], vcc
	s_cbranch_execz .LBB6_15306
; %bb.15305:                            ;   in Loop: Header=BB6_15184 Depth=2
	v_and_b32_e32 v20, 7, v14
	v_ffbh_u32_e32 v15, v20
	v_lshrrev_b32_e32 v21, 3, v16
	v_cmp_gt_u32_e32 vcc, 8, v16
	v_min_u32_e32 v16, 32, v15
	v_subrev_u32_e32 v15, 28, v16
	v_lshlrev_b64 v[14:15], v15, v[14:15]
	v_sub_u32_e32 v15, 29, v16
	v_and_b32_e32 v14, 7, v14
	v_cndmask_b32_e32 v15, v21, v15, vcc
	v_cndmask_b32_e32 v14, v20, v14, vcc
	v_lshlrev_b32_e32 v16, 16, v52
	v_bfrev_b32_e32 v20, 60
	v_lshlrev_b32_e32 v14, 20, v14
	v_and_b32_e32 v16, 0x80000000, v16
	v_lshl_add_u32 v15, v15, 23, v20
	v_or3_b32 v15, v16, v15, v14
.LBB6_15306:                            ;   in Loop: Header=BB6_15184 Depth=2
	s_or_b64 exec, exec, s[90:91]
.LBB6_15307:                            ;   in Loop: Header=BB6_15184 Depth=2
	s_or_b64 exec, exec, s[88:89]
.LBB6_15308:                            ;   in Loop: Header=BB6_15184 Depth=2
	s_or_b64 exec, exec, s[22:23]
	v_mul_f32_e32 v14, v7, v15
	v_and_b32_e32 v52, 0x7f800000, v14
	v_cmp_ne_u64_e32 vcc, s[46:47], v[52:53]
                                        ; implicit-def: $vgpr20
	s_and_saveexec_b64 s[22:23], vcc
	s_xor_b64 s[88:89], exec, s[22:23]
	s_cbranch_execz .LBB6_15322
; %bb.15309:                            ;   in Loop: Header=BB6_15184 Depth=2
	v_and_b32_e32 v52, 0x7fffffff, v14
	v_cmp_gt_u64_e32 vcc, s[56:57], v[52:53]
	v_and_b32_sdwa v21, v14, s48 dst_sel:DWORD dst_unused:UNUSED_PAD src0_sel:BYTE_3 src1_sel:DWORD
                                        ; implicit-def: $vgpr20
	s_and_saveexec_b64 s[22:23], vcc
	s_xor_b64 s[90:91], exec, s[22:23]
	s_cbranch_execz .LBB6_15319
; %bb.15310:                            ;   in Loop: Header=BB6_15184 Depth=2
	v_mov_b32_e32 v20, 0
	v_cmp_ne_u32_e32 vcc, 0, v14
	s_and_saveexec_b64 s[92:93], vcc
	s_cbranch_execz .LBB6_15318
; %bb.15311:                            ;   in Loop: Header=BB6_15184 Depth=2
	v_bfe_u32 v20, v14, 23, 8
	v_and_b32_e32 v15, 0x7fffff, v14
	v_cmp_gt_u32_e64 s[22:23], s49, v20
	v_sub_u32_e32 v14, 0x79, v20
	v_cmp_eq_u32_e32 vcc, 0, v20
	v_cndmask_b32_e64 v14, 0, v14, s[22:23]
	v_mov_b32_e32 v22, 0x78
	v_cndmask_b32_e32 v22, v14, v22, vcc
	v_or_b32_e32 v16, 0x800000, v15
	v_add_u32_e32 v14, 20, v22
	v_cndmask_b32_e32 v52, v16, v15, vcc
	v_lshlrev_b64 v[14:15], v14, -1
	v_add_u32_e32 v16, 19, v22
	v_lshlrev_b64 v[23:24], v16, 1
	v_bfi_b32 v15, v15, 0, 0
	v_bfi_b32 v14, v14, 0, v52
	v_cmp_eq_u64_e64 s[22:23], v[14:15], v[23:24]
	v_lshrrev_b64 v[14:15], v22, v[52:53]
	v_mov_b32_e32 v16, v15
	v_mov_b32_e32 v15, v14
	s_and_saveexec_b64 s[94:95], s[22:23]
; %bb.15312:                            ;   in Loop: Header=BB6_15184 Depth=2
	v_bfe_u32 v15, v14, 20, 1
	v_add_co_u32_e64 v15, s[22:23], v14, v15
	v_add_co_u32_e64 v15, s[22:23], -1, v15
; %bb.15313:                            ;   in Loop: Header=BB6_15184 Depth=2
	s_or_b64 exec, exec, s[94:95]
	v_add_u32_e32 v16, 0xffffff81, v20
	v_mov_b32_e32 v20, 0xffffff82
	v_cndmask_b32_e32 v16, v16, v20, vcc
	v_lshrrev_b32_e32 v20, 23, v14
	v_add3_u32 v22, v22, v16, v20
	v_add_u32_e32 v20, 6, v22
	v_and_b32_e32 v15, 0xfffff, v15
	v_add_u32_e32 v52, v15, v14
	v_cmp_ne_u32_e32 vcc, 0, v20
                                        ; implicit-def: $vgpr14_vgpr15
                                        ; implicit-def: $vgpr16
	s_and_saveexec_b64 s[22:23], vcc
	s_xor_b64 s[22:23], exec, s[22:23]
; %bb.15314:                            ;   in Loop: Header=BB6_15184 Depth=2
	v_cmp_lt_u64_e32 vcc, s[58:59], v[52:53]
	v_add_u32_e32 v14, 7, v22
	v_cndmask_b32_e32 v16, v20, v14, vcc
	v_cndmask_b32_e64 v14, 0, 1, vcc
	v_lshrrev_b64 v[14:15], v14, v[52:53]
; %bb.15315:                            ;   in Loop: Header=BB6_15184 Depth=2
	s_andn2_saveexec_b64 s[22:23], s[22:23]
; %bb.15316:                            ;   in Loop: Header=BB6_15184 Depth=2
	v_mov_b32_e32 v14, v52
	v_bfe_u32 v16, v52, 23, 1
	v_mov_b32_e32 v15, v53
; %bb.15317:                            ;   in Loop: Header=BB6_15184 Depth=2
	s_or_b64 exec, exec, s[22:23]
	v_lshrrev_b64 v[14:15], 20, v[14:15]
	v_cmp_gt_i32_e32 vcc, 16, v16
	v_cndmask_b32_e32 v15, 0, v15, vcc
	v_cndmask_b32_e32 v14, 7, v14, vcc
	v_cmp_eq_u64_e64 s[22:23], 0, v[14:15]
	v_min_i32_e32 v15, 15, v16
	v_lshlrev_b32_e32 v15, 3, v15
	v_cmp_eq_u32_e32 vcc, 0, v16
	v_and_b32_e32 v15, 0xf8, v15
	v_and_or_b32 v14, v14, 7, v15
	s_and_b64 s[22:23], vcc, s[22:23]
	v_cndmask_b32_e64 v14, v14, 0, s[22:23]
	v_or_b32_e32 v20, v14, v21
.LBB6_15318:                            ;   in Loop: Header=BB6_15184 Depth=2
	s_or_b64 exec, exec, s[92:93]
                                        ; implicit-def: $vgpr21
.LBB6_15319:                            ;   in Loop: Header=BB6_15184 Depth=2
	s_andn2_saveexec_b64 s[22:23], s[90:91]
; %bb.15320:                            ;   in Loop: Header=BB6_15184 Depth=2
	v_or_b32_e32 v20, 0x7e, v21
; %bb.15321:                            ;   in Loop: Header=BB6_15184 Depth=2
	s_or_b64 exec, exec, s[22:23]
                                        ; implicit-def: $vgpr14
.LBB6_15322:                            ;   in Loop: Header=BB6_15184 Depth=2
	s_andn2_saveexec_b64 s[22:23], s[88:89]
; %bb.15323:                            ;   in Loop: Header=BB6_15184 Depth=2
	v_or_b32_sdwa v20, v14, s39 dst_sel:DWORD dst_unused:UNUSED_PAD src0_sel:BYTE_3 src1_sel:DWORD
; %bb.15324:                            ;   in Loop: Header=BB6_15184 Depth=2
	s_or_b64 exec, exec, s[22:23]
	v_lshrrev_b32_e32 v14, 16, v11
	v_cmp_ne_u16_sdwa s[88:89], v14, v53 src0_sel:BYTE_0 src1_sel:DWORD
	v_mov_b32_e32 v15, 0
	s_and_saveexec_b64 s[22:23], s[88:89]
	s_cbranch_execz .LBB6_15330
; %bb.15325:                            ;   in Loop: Header=BB6_15184 Depth=2
	v_cmp_ne_u16_sdwa s[90:91], v14, s48 src0_sel:BYTE_0 src1_sel:DWORD
	v_bfrev_b32_e32 v15, 1
	s_and_saveexec_b64 s[88:89], s[90:91]
	s_cbranch_execz .LBB6_15329
; %bb.15326:                            ;   in Loop: Header=BB6_15184 Depth=2
	v_bfe_u32 v16, v11, 16, 7
	v_cmp_ne_u32_e32 vcc, s39, v16
	v_mov_b32_e32 v15, 0x7f800001
	s_and_saveexec_b64 s[90:91], vcc
	s_cbranch_execz .LBB6_15328
; %bb.15327:                            ;   in Loop: Header=BB6_15184 Depth=2
	v_and_b32_e32 v21, 7, v14
	v_ffbh_u32_e32 v15, v21
	v_min_u32_e32 v23, 32, v15
	v_subrev_u32_e32 v15, 28, v23
	v_lshrrev_b32_e32 v22, 3, v16
	v_cmp_gt_u32_e32 vcc, 8, v16
	v_lshlrev_b64 v[15:16], v15, v[14:15]
	v_sub_u32_e32 v16, 29, v23
	v_and_b32_e32 v15, 7, v15
	v_cndmask_b32_e32 v16, v22, v16, vcc
	v_cndmask_b32_e32 v15, v21, v15, vcc
	v_lshlrev_b32_e32 v14, 24, v14
	v_bfrev_b32_e32 v21, 60
	v_lshlrev_b32_e32 v15, 20, v15
	v_and_b32_e32 v14, 0x80000000, v14
	v_lshl_add_u32 v16, v16, 23, v21
	v_or3_b32 v15, v14, v16, v15
.LBB6_15328:                            ;   in Loop: Header=BB6_15184 Depth=2
	s_or_b64 exec, exec, s[90:91]
.LBB6_15329:                            ;   in Loop: Header=BB6_15184 Depth=2
	s_or_b64 exec, exec, s[88:89]
.LBB6_15330:                            ;   in Loop: Header=BB6_15184 Depth=2
	s_or_b64 exec, exec, s[22:23]
	v_mul_f32_e32 v14, v7, v15
	v_and_b32_e32 v52, 0x7f800000, v14
	v_cmp_ne_u64_e32 vcc, s[46:47], v[52:53]
                                        ; implicit-def: $vgpr16
	s_and_saveexec_b64 s[22:23], vcc
	s_xor_b64 s[88:89], exec, s[22:23]
	s_cbranch_execz .LBB6_15344
; %bb.15331:                            ;   in Loop: Header=BB6_15184 Depth=2
	v_and_b32_e32 v52, 0x7fffffff, v14
	v_cmp_gt_u64_e32 vcc, s[56:57], v[52:53]
	v_and_b32_sdwa v21, v14, s48 dst_sel:DWORD dst_unused:UNUSED_PAD src0_sel:BYTE_3 src1_sel:DWORD
                                        ; implicit-def: $vgpr16
	s_and_saveexec_b64 s[22:23], vcc
	s_xor_b64 s[90:91], exec, s[22:23]
	s_cbranch_execz .LBB6_15341
; %bb.15332:                            ;   in Loop: Header=BB6_15184 Depth=2
	v_mov_b32_e32 v16, 0
	v_cmp_ne_u32_e32 vcc, 0, v14
	s_and_saveexec_b64 s[92:93], vcc
	s_cbranch_execz .LBB6_15340
; %bb.15333:                            ;   in Loop: Header=BB6_15184 Depth=2
	v_bfe_u32 v22, v14, 23, 8
	v_and_b32_e32 v15, 0x7fffff, v14
	v_cmp_gt_u32_e64 s[22:23], s49, v22
	v_sub_u32_e32 v14, 0x79, v22
	v_cmp_eq_u32_e32 vcc, 0, v22
	v_cndmask_b32_e64 v14, 0, v14, s[22:23]
	v_mov_b32_e32 v23, 0x78
	v_cndmask_b32_e32 v23, v14, v23, vcc
	v_or_b32_e32 v16, 0x800000, v15
	v_add_u32_e32 v14, 20, v23
	v_cndmask_b32_e32 v52, v16, v15, vcc
	v_lshlrev_b64 v[14:15], v14, -1
	v_add_u32_e32 v16, 19, v23
	v_lshlrev_b64 v[24:25], v16, 1
	v_bfi_b32 v15, v15, 0, 0
	v_bfi_b32 v14, v14, 0, v52
	v_cmp_eq_u64_e64 s[22:23], v[14:15], v[24:25]
	v_lshrrev_b64 v[14:15], v23, v[52:53]
	v_mov_b32_e32 v16, v15
	v_mov_b32_e32 v15, v14
	s_and_saveexec_b64 s[94:95], s[22:23]
; %bb.15334:                            ;   in Loop: Header=BB6_15184 Depth=2
	v_bfe_u32 v15, v14, 20, 1
	v_add_co_u32_e64 v15, s[22:23], v14, v15
	v_add_co_u32_e64 v15, s[22:23], -1, v15
; %bb.15335:                            ;   in Loop: Header=BB6_15184 Depth=2
	s_or_b64 exec, exec, s[94:95]
	v_add_u32_e32 v16, 0xffffff81, v22
	v_mov_b32_e32 v22, 0xffffff82
	v_cndmask_b32_e32 v16, v16, v22, vcc
	v_lshrrev_b32_e32 v22, 23, v14
	v_add3_u32 v23, v23, v16, v22
	v_add_u32_e32 v22, 6, v23
	v_and_b32_e32 v15, 0xfffff, v15
	v_add_u32_e32 v52, v15, v14
	v_cmp_ne_u32_e32 vcc, 0, v22
                                        ; implicit-def: $vgpr14_vgpr15
                                        ; implicit-def: $vgpr16
	s_and_saveexec_b64 s[22:23], vcc
	s_xor_b64 s[22:23], exec, s[22:23]
; %bb.15336:                            ;   in Loop: Header=BB6_15184 Depth=2
	v_cmp_lt_u64_e32 vcc, s[58:59], v[52:53]
	v_add_u32_e32 v14, 7, v23
	v_cndmask_b32_e32 v16, v22, v14, vcc
	v_cndmask_b32_e64 v14, 0, 1, vcc
	v_lshrrev_b64 v[14:15], v14, v[52:53]
; %bb.15337:                            ;   in Loop: Header=BB6_15184 Depth=2
	s_andn2_saveexec_b64 s[22:23], s[22:23]
; %bb.15338:                            ;   in Loop: Header=BB6_15184 Depth=2
	v_mov_b32_e32 v14, v52
	v_bfe_u32 v16, v52, 23, 1
	v_mov_b32_e32 v15, v53
; %bb.15339:                            ;   in Loop: Header=BB6_15184 Depth=2
	s_or_b64 exec, exec, s[22:23]
	v_lshrrev_b64 v[14:15], 20, v[14:15]
	v_cmp_gt_i32_e32 vcc, 16, v16
	v_cndmask_b32_e32 v15, 0, v15, vcc
	v_cndmask_b32_e32 v14, 7, v14, vcc
	v_cmp_eq_u64_e64 s[22:23], 0, v[14:15]
	v_min_i32_e32 v15, 15, v16
	v_lshlrev_b32_e32 v15, 3, v15
	v_cmp_eq_u32_e32 vcc, 0, v16
	v_and_b32_e32 v15, 0xf8, v15
	v_and_or_b32 v14, v14, 7, v15
	s_and_b64 s[22:23], vcc, s[22:23]
	v_cndmask_b32_e64 v14, v14, 0, s[22:23]
	v_or_b32_e32 v16, v14, v21
.LBB6_15340:                            ;   in Loop: Header=BB6_15184 Depth=2
	s_or_b64 exec, exec, s[92:93]
                                        ; implicit-def: $vgpr21
.LBB6_15341:                            ;   in Loop: Header=BB6_15184 Depth=2
	s_andn2_saveexec_b64 s[22:23], s[90:91]
; %bb.15342:                            ;   in Loop: Header=BB6_15184 Depth=2
	v_or_b32_e32 v16, 0x7e, v21
; %bb.15343:                            ;   in Loop: Header=BB6_15184 Depth=2
	s_or_b64 exec, exec, s[22:23]
                                        ; implicit-def: $vgpr14
.LBB6_15344:                            ;   in Loop: Header=BB6_15184 Depth=2
	s_andn2_saveexec_b64 s[22:23], s[88:89]
; %bb.15345:                            ;   in Loop: Header=BB6_15184 Depth=2
	v_or_b32_sdwa v16, v14, s39 dst_sel:DWORD dst_unused:UNUSED_PAD src0_sel:BYTE_3 src1_sel:DWORD
; %bb.15346:                            ;   in Loop: Header=BB6_15184 Depth=2
	s_or_b64 exec, exec, s[22:23]
	v_cmp_lt_u64_e32 vcc, s[60:61], v[10:11]
	v_mov_b32_e32 v14, 0
	s_and_saveexec_b64 s[22:23], vcc
	s_cbranch_execz .LBB6_15352
; %bb.15347:                            ;   in Loop: Header=BB6_15184 Depth=2
	v_lshrrev_b32_e32 v10, 24, v11
	v_cmp_ne_u32_e32 vcc, s48, v10
	v_bfrev_b32_e32 v14, 1
	s_and_saveexec_b64 s[88:89], vcc
	s_cbranch_execz .LBB6_15351
; %bb.15348:                            ;   in Loop: Header=BB6_15184 Depth=2
	v_bfe_u32 v11, v11, 24, 7
	v_cmp_ne_u32_e32 vcc, s39, v11
	v_mov_b32_e32 v14, 0x7f800001
	s_and_saveexec_b64 s[90:91], vcc
	s_cbranch_execz .LBB6_15350
; %bb.15349:                            ;   in Loop: Header=BB6_15184 Depth=2
	v_and_b32_e32 v21, 7, v10
	v_lshrrev_b32_e32 v22, 3, v11
	v_cmp_gt_u32_e32 vcc, 8, v11
	v_ffbh_u32_e32 v11, v21
	v_min_u32_e32 v11, 32, v11
	v_subrev_u32_e32 v14, 28, v11
	v_lshlrev_b64 v[14:15], v14, v[10:11]
	v_sub_u32_e32 v11, 29, v11
	v_and_b32_e32 v14, 7, v14
	v_cndmask_b32_e32 v11, v22, v11, vcc
	v_cndmask_b32_e32 v14, v21, v14, vcc
	v_lshlrev_b32_e32 v10, 24, v10
	v_bfrev_b32_e32 v15, 60
	v_lshlrev_b32_e32 v14, 20, v14
	v_and_b32_e32 v10, 0x80000000, v10
	v_lshl_add_u32 v11, v11, 23, v15
	v_or3_b32 v14, v10, v11, v14
.LBB6_15350:                            ;   in Loop: Header=BB6_15184 Depth=2
	s_or_b64 exec, exec, s[90:91]
.LBB6_15351:                            ;   in Loop: Header=BB6_15184 Depth=2
	s_or_b64 exec, exec, s[88:89]
.LBB6_15352:                            ;   in Loop: Header=BB6_15184 Depth=2
	s_or_b64 exec, exec, s[22:23]
	v_mul_f32_e32 v10, v7, v14
	v_and_b32_e32 v52, 0x7f800000, v10
	v_cmp_ne_u64_e32 vcc, s[46:47], v[52:53]
                                        ; implicit-def: $vgpr21
	s_and_saveexec_b64 s[22:23], vcc
	s_xor_b64 s[88:89], exec, s[22:23]
	s_cbranch_execz .LBB6_15366
; %bb.15353:                            ;   in Loop: Header=BB6_15184 Depth=2
	v_and_b32_e32 v52, 0x7fffffff, v10
	v_cmp_gt_u64_e32 vcc, s[56:57], v[52:53]
	v_and_b32_sdwa v22, v10, s48 dst_sel:DWORD dst_unused:UNUSED_PAD src0_sel:BYTE_3 src1_sel:DWORD
                                        ; implicit-def: $vgpr21
	s_and_saveexec_b64 s[22:23], vcc
	s_xor_b64 s[90:91], exec, s[22:23]
	s_cbranch_execz .LBB6_15363
; %bb.15354:                            ;   in Loop: Header=BB6_15184 Depth=2
	v_mov_b32_e32 v21, 0
	v_cmp_ne_u32_e32 vcc, 0, v10
	s_and_saveexec_b64 s[92:93], vcc
	s_cbranch_execz .LBB6_15362
; %bb.15355:                            ;   in Loop: Header=BB6_15184 Depth=2
	v_bfe_u32 v21, v10, 23, 8
	v_and_b32_e32 v11, 0x7fffff, v10
	v_cmp_gt_u32_e64 s[22:23], s49, v21
	v_sub_u32_e32 v10, 0x79, v21
	v_cmp_eq_u32_e32 vcc, 0, v21
	v_cndmask_b32_e64 v10, 0, v10, s[22:23]
	v_mov_b32_e32 v15, 0x78
	v_cndmask_b32_e32 v23, v10, v15, vcc
	v_or_b32_e32 v14, 0x800000, v11
	v_add_u32_e32 v10, 20, v23
	v_cndmask_b32_e32 v52, v14, v11, vcc
	v_lshlrev_b64 v[10:11], v10, -1
	v_add_u32_e32 v14, 19, v23
	v_lshlrev_b64 v[14:15], v14, 1
	v_bfi_b32 v11, v11, 0, 0
	v_bfi_b32 v10, v10, 0, v52
	v_cmp_eq_u64_e64 s[22:23], v[10:11], v[14:15]
	v_lshrrev_b64 v[10:11], v23, v[52:53]
	v_mov_b32_e32 v15, v11
	v_mov_b32_e32 v14, v10
	s_and_saveexec_b64 s[94:95], s[22:23]
; %bb.15356:                            ;   in Loop: Header=BB6_15184 Depth=2
	v_bfe_u32 v11, v10, 20, 1
	v_add_co_u32_e64 v11, s[22:23], v10, v11
	v_add_co_u32_e64 v14, s[22:23], -1, v11
; %bb.15357:                            ;   in Loop: Header=BB6_15184 Depth=2
	s_or_b64 exec, exec, s[94:95]
	v_add_u32_e32 v11, 0xffffff81, v21
	v_mov_b32_e32 v15, 0xffffff82
	v_cndmask_b32_e32 v11, v11, v15, vcc
	v_lshrrev_b32_e32 v15, 23, v10
	v_add3_u32 v21, v23, v11, v15
	v_add_u32_e32 v15, 6, v21
	v_and_b32_e32 v11, 0xfffff, v14
	v_add_u32_e32 v52, v11, v10
	v_cmp_ne_u32_e32 vcc, 0, v15
                                        ; implicit-def: $vgpr10_vgpr11
                                        ; implicit-def: $vgpr14
	s_and_saveexec_b64 s[22:23], vcc
	s_xor_b64 s[22:23], exec, s[22:23]
; %bb.15358:                            ;   in Loop: Header=BB6_15184 Depth=2
	v_cmp_lt_u64_e32 vcc, s[58:59], v[52:53]
	v_add_u32_e32 v10, 7, v21
	v_cndmask_b32_e32 v14, v15, v10, vcc
	v_cndmask_b32_e64 v10, 0, 1, vcc
	v_lshrrev_b64 v[10:11], v10, v[52:53]
; %bb.15359:                            ;   in Loop: Header=BB6_15184 Depth=2
	s_andn2_saveexec_b64 s[22:23], s[22:23]
; %bb.15360:                            ;   in Loop: Header=BB6_15184 Depth=2
	v_mov_b32_e32 v10, v52
	v_bfe_u32 v14, v52, 23, 1
	v_mov_b32_e32 v11, v53
; %bb.15361:                            ;   in Loop: Header=BB6_15184 Depth=2
	s_or_b64 exec, exec, s[22:23]
	v_lshrrev_b64 v[10:11], 20, v[10:11]
	v_cmp_gt_i32_e32 vcc, 16, v14
	v_cndmask_b32_e32 v11, 0, v11, vcc
	v_cndmask_b32_e32 v10, 7, v10, vcc
	v_cmp_eq_u64_e64 s[22:23], 0, v[10:11]
	v_min_i32_e32 v11, 15, v14
	v_lshlrev_b32_e32 v11, 3, v11
	v_cmp_eq_u32_e32 vcc, 0, v14
	v_and_b32_e32 v11, 0xf8, v11
	v_and_or_b32 v10, v10, 7, v11
	s_and_b64 s[22:23], vcc, s[22:23]
	v_cndmask_b32_e64 v10, v10, 0, s[22:23]
	v_or_b32_e32 v21, v10, v22
.LBB6_15362:                            ;   in Loop: Header=BB6_15184 Depth=2
	s_or_b64 exec, exec, s[92:93]
                                        ; implicit-def: $vgpr22
.LBB6_15363:                            ;   in Loop: Header=BB6_15184 Depth=2
	s_andn2_saveexec_b64 s[22:23], s[90:91]
; %bb.15364:                            ;   in Loop: Header=BB6_15184 Depth=2
	v_or_b32_e32 v21, 0x7e, v22
; %bb.15365:                            ;   in Loop: Header=BB6_15184 Depth=2
	s_or_b64 exec, exec, s[22:23]
                                        ; implicit-def: $vgpr10
.LBB6_15366:                            ;   in Loop: Header=BB6_15184 Depth=2
	s_andn2_saveexec_b64 s[22:23], s[88:89]
; %bb.15367:                            ;   in Loop: Header=BB6_15184 Depth=2
	v_or_b32_sdwa v21, v10, s39 dst_sel:DWORD dst_unused:UNUSED_PAD src0_sel:BYTE_3 src1_sel:DWORD
; %bb.15368:                            ;   in Loop: Header=BB6_15184 Depth=2
	s_or_b64 exec, exec, s[22:23]
	v_cmp_ne_u16_sdwa s[88:89], v12, v53 src0_sel:BYTE_0 src1_sel:DWORD
	v_mov_b32_e32 v10, 0
	s_and_saveexec_b64 s[22:23], s[88:89]
	s_cbranch_execz .LBB6_15374
; %bb.15369:                            ;   in Loop: Header=BB6_15184 Depth=2
	v_cmp_ne_u16_sdwa s[90:91], v12, s48 src0_sel:BYTE_0 src1_sel:DWORD
	v_bfrev_b32_e32 v10, 1
	s_and_saveexec_b64 s[88:89], s[90:91]
	s_cbranch_execz .LBB6_15373
; %bb.15370:                            ;   in Loop: Header=BB6_15184 Depth=2
	v_and_b32_e32 v11, 0x7f, v12
	v_cmp_ne_u32_e32 vcc, s39, v11
	v_mov_b32_e32 v10, 0x7f800001
	s_and_saveexec_b64 s[90:91], vcc
	s_cbranch_execz .LBB6_15372
; %bb.15371:                            ;   in Loop: Header=BB6_15184 Depth=2
	v_and_b32_e32 v10, 7, v12
	v_ffbh_u32_e32 v10, v10
	v_min_u32_e32 v10, 32, v10
	v_lshrrev_b32_e32 v14, 3, v11
	v_cmp_gt_u32_e32 vcc, 8, v11
	v_subrev_u32_e32 v11, 28, v10
	v_sub_u32_e32 v10, 29, v10
	v_cndmask_b32_e32 v14, v14, v10, vcc
	v_cndmask_b32_e32 v10, 0, v11, vcc
	v_lshlrev_b64 v[10:11], v10, v[12:13]
	v_lshlrev_b32_e32 v11, 24, v12
	v_lshlrev_b32_e32 v10, 20, v10
	v_bfrev_b32_e32 v15, 60
	v_and_b32_e32 v10, 0x700000, v10
	v_and_b32_e32 v11, 0x80000000, v11
	v_lshl_add_u32 v14, v14, 23, v15
	v_or3_b32 v10, v11, v14, v10
.LBB6_15372:                            ;   in Loop: Header=BB6_15184 Depth=2
	s_or_b64 exec, exec, s[90:91]
.LBB6_15373:                            ;   in Loop: Header=BB6_15184 Depth=2
	s_or_b64 exec, exec, s[88:89]
.LBB6_15374:                            ;   in Loop: Header=BB6_15184 Depth=2
	s_or_b64 exec, exec, s[22:23]
	v_mul_f32_e32 v10, v7, v10
	v_and_b32_e32 v52, 0x7f800000, v10
	v_cmp_ne_u64_e32 vcc, s[46:47], v[52:53]
                                        ; implicit-def: $vgpr22
	s_and_saveexec_b64 s[22:23], vcc
	s_xor_b64 s[88:89], exec, s[22:23]
	s_cbranch_execz .LBB6_15388
; %bb.15375:                            ;   in Loop: Header=BB6_15184 Depth=2
	v_and_b32_e32 v52, 0x7fffffff, v10
	v_cmp_gt_u64_e32 vcc, s[56:57], v[52:53]
	v_and_b32_sdwa v23, v10, s48 dst_sel:DWORD dst_unused:UNUSED_PAD src0_sel:BYTE_3 src1_sel:DWORD
                                        ; implicit-def: $vgpr22
	s_and_saveexec_b64 s[22:23], vcc
	s_xor_b64 s[90:91], exec, s[22:23]
	s_cbranch_execz .LBB6_15385
; %bb.15376:                            ;   in Loop: Header=BB6_15184 Depth=2
	v_mov_b32_e32 v22, 0
	v_cmp_ne_u32_e32 vcc, 0, v10
	s_and_saveexec_b64 s[92:93], vcc
	s_cbranch_execz .LBB6_15384
; %bb.15377:                            ;   in Loop: Header=BB6_15184 Depth=2
	v_bfe_u32 v22, v10, 23, 8
	v_and_b32_e32 v11, 0x7fffff, v10
	v_cmp_gt_u32_e64 s[22:23], s49, v22
	v_sub_u32_e32 v10, 0x79, v22
	v_cmp_eq_u32_e32 vcc, 0, v22
	v_cndmask_b32_e64 v10, 0, v10, s[22:23]
	v_mov_b32_e32 v15, 0x78
	v_cndmask_b32_e32 v24, v10, v15, vcc
	v_or_b32_e32 v14, 0x800000, v11
	v_add_u32_e32 v10, 20, v24
	v_cndmask_b32_e32 v52, v14, v11, vcc
	v_lshlrev_b64 v[10:11], v10, -1
	v_add_u32_e32 v14, 19, v24
	v_lshlrev_b64 v[14:15], v14, 1
	v_bfi_b32 v11, v11, 0, 0
	v_bfi_b32 v10, v10, 0, v52
	v_cmp_eq_u64_e64 s[22:23], v[10:11], v[14:15]
	v_lshrrev_b64 v[10:11], v24, v[52:53]
	v_mov_b32_e32 v15, v11
	v_mov_b32_e32 v14, v10
	s_and_saveexec_b64 s[94:95], s[22:23]
; %bb.15378:                            ;   in Loop: Header=BB6_15184 Depth=2
	v_bfe_u32 v11, v10, 20, 1
	v_add_co_u32_e64 v11, s[22:23], v10, v11
	v_add_co_u32_e64 v14, s[22:23], -1, v11
; %bb.15379:                            ;   in Loop: Header=BB6_15184 Depth=2
	s_or_b64 exec, exec, s[94:95]
	v_add_u32_e32 v11, 0xffffff81, v22
	v_mov_b32_e32 v15, 0xffffff82
	v_cndmask_b32_e32 v11, v11, v15, vcc
	v_lshrrev_b32_e32 v15, 23, v10
	v_add3_u32 v22, v24, v11, v15
	v_add_u32_e32 v15, 6, v22
	v_and_b32_e32 v11, 0xfffff, v14
	v_add_u32_e32 v52, v11, v10
	v_cmp_ne_u32_e32 vcc, 0, v15
                                        ; implicit-def: $vgpr10_vgpr11
                                        ; implicit-def: $vgpr14
	s_and_saveexec_b64 s[22:23], vcc
	s_xor_b64 s[22:23], exec, s[22:23]
; %bb.15380:                            ;   in Loop: Header=BB6_15184 Depth=2
	v_cmp_lt_u64_e32 vcc, s[58:59], v[52:53]
	v_add_u32_e32 v10, 7, v22
	v_cndmask_b32_e32 v14, v15, v10, vcc
	v_cndmask_b32_e64 v10, 0, 1, vcc
	v_lshrrev_b64 v[10:11], v10, v[52:53]
; %bb.15381:                            ;   in Loop: Header=BB6_15184 Depth=2
	s_andn2_saveexec_b64 s[22:23], s[22:23]
; %bb.15382:                            ;   in Loop: Header=BB6_15184 Depth=2
	v_mov_b32_e32 v10, v52
	v_bfe_u32 v14, v52, 23, 1
	v_mov_b32_e32 v11, v53
; %bb.15383:                            ;   in Loop: Header=BB6_15184 Depth=2
	s_or_b64 exec, exec, s[22:23]
	v_lshrrev_b64 v[10:11], 20, v[10:11]
	v_cmp_gt_i32_e32 vcc, 16, v14
	v_cndmask_b32_e32 v11, 0, v11, vcc
	v_cndmask_b32_e32 v10, 7, v10, vcc
	v_cmp_eq_u64_e64 s[22:23], 0, v[10:11]
	v_min_i32_e32 v11, 15, v14
	v_lshlrev_b32_e32 v11, 3, v11
	v_cmp_eq_u32_e32 vcc, 0, v14
	v_and_b32_e32 v11, 0xf8, v11
	v_and_or_b32 v10, v10, 7, v11
	s_and_b64 s[22:23], vcc, s[22:23]
	v_cndmask_b32_e64 v10, v10, 0, s[22:23]
	v_or_b32_e32 v22, v10, v23
.LBB6_15384:                            ;   in Loop: Header=BB6_15184 Depth=2
	s_or_b64 exec, exec, s[92:93]
                                        ; implicit-def: $vgpr23
.LBB6_15385:                            ;   in Loop: Header=BB6_15184 Depth=2
	s_andn2_saveexec_b64 s[22:23], s[90:91]
; %bb.15386:                            ;   in Loop: Header=BB6_15184 Depth=2
	v_or_b32_e32 v22, 0x7e, v23
; %bb.15387:                            ;   in Loop: Header=BB6_15184 Depth=2
	s_or_b64 exec, exec, s[22:23]
                                        ; implicit-def: $vgpr10
.LBB6_15388:                            ;   in Loop: Header=BB6_15184 Depth=2
	s_andn2_saveexec_b64 s[22:23], s[88:89]
; %bb.15389:                            ;   in Loop: Header=BB6_15184 Depth=2
	v_or_b32_sdwa v22, v10, s39 dst_sel:DWORD dst_unused:UNUSED_PAD src0_sel:BYTE_3 src1_sel:DWORD
; %bb.15390:                            ;   in Loop: Header=BB6_15184 Depth=2
	s_or_b64 exec, exec, s[22:23]
	v_lshrrev_b16_e32 v10, 8, v12
	v_cmp_ne_u16_e32 vcc, 0, v10
	v_mov_b32_e32 v11, 0
	s_and_saveexec_b64 s[22:23], vcc
	s_cbranch_execz .LBB6_15396
; %bb.15391:                            ;   in Loop: Header=BB6_15184 Depth=2
	v_cmp_ne_u16_e32 vcc, s48, v10
	v_bfrev_b32_e32 v11, 1
	s_and_saveexec_b64 s[88:89], vcc
	s_cbranch_execz .LBB6_15395
; %bb.15392:                            ;   in Loop: Header=BB6_15184 Depth=2
	v_and_b32_e32 v14, 0x7f, v10
	v_cmp_ne_u32_e32 vcc, s39, v14
	v_mov_b32_e32 v11, 0x7f800001
	s_and_saveexec_b64 s[90:91], vcc
	s_cbranch_execz .LBB6_15394
; %bb.15393:                            ;   in Loop: Header=BB6_15184 Depth=2
	v_and_b32_e32 v15, 7, v10
	v_ffbh_u32_e32 v11, v15
	v_lshrrev_b32_e32 v23, 3, v14
	v_cmp_gt_u32_e32 vcc, 8, v14
	v_min_u32_e32 v14, 32, v11
	v_subrev_u32_e32 v11, 28, v14
	v_lshlrev_b64 v[10:11], v11, v[10:11]
	v_sub_u32_e32 v11, 29, v14
	v_and_b32_e32 v10, 7, v10
	v_cndmask_b32_e32 v11, v23, v11, vcc
	v_cndmask_b32_e32 v10, v15, v10, vcc
	v_lshlrev_b32_e32 v14, 16, v12
	v_bfrev_b32_e32 v15, 60
	v_lshlrev_b32_e32 v10, 20, v10
	v_and_b32_e32 v14, 0x80000000, v14
	v_lshl_add_u32 v11, v11, 23, v15
	v_or3_b32 v11, v14, v11, v10
.LBB6_15394:                            ;   in Loop: Header=BB6_15184 Depth=2
	s_or_b64 exec, exec, s[90:91]
.LBB6_15395:                            ;   in Loop: Header=BB6_15184 Depth=2
	s_or_b64 exec, exec, s[88:89]
.LBB6_15396:                            ;   in Loop: Header=BB6_15184 Depth=2
	s_or_b64 exec, exec, s[22:23]
	v_mul_f32_e32 v10, v7, v11
	v_and_b32_e32 v52, 0x7f800000, v10
	v_cmp_ne_u64_e32 vcc, s[46:47], v[52:53]
                                        ; implicit-def: $vgpr23
	s_and_saveexec_b64 s[22:23], vcc
	s_xor_b64 s[88:89], exec, s[22:23]
	s_cbranch_execz .LBB6_15410
; %bb.15397:                            ;   in Loop: Header=BB6_15184 Depth=2
	v_and_b32_e32 v52, 0x7fffffff, v10
	v_cmp_gt_u64_e32 vcc, s[56:57], v[52:53]
	v_and_b32_sdwa v24, v10, s48 dst_sel:DWORD dst_unused:UNUSED_PAD src0_sel:BYTE_3 src1_sel:DWORD
                                        ; implicit-def: $vgpr23
	s_and_saveexec_b64 s[22:23], vcc
	s_xor_b64 s[90:91], exec, s[22:23]
	s_cbranch_execz .LBB6_15407
; %bb.15398:                            ;   in Loop: Header=BB6_15184 Depth=2
	v_mov_b32_e32 v23, 0
	v_cmp_ne_u32_e32 vcc, 0, v10
	s_and_saveexec_b64 s[92:93], vcc
	s_cbranch_execz .LBB6_15406
; %bb.15399:                            ;   in Loop: Header=BB6_15184 Depth=2
	v_bfe_u32 v23, v10, 23, 8
	v_and_b32_e32 v11, 0x7fffff, v10
	v_cmp_gt_u32_e64 s[22:23], s49, v23
	v_sub_u32_e32 v10, 0x79, v23
	v_cmp_eq_u32_e32 vcc, 0, v23
	v_cndmask_b32_e64 v10, 0, v10, s[22:23]
	v_mov_b32_e32 v15, 0x78
	v_cndmask_b32_e32 v25, v10, v15, vcc
	v_or_b32_e32 v14, 0x800000, v11
	v_add_u32_e32 v10, 20, v25
	v_cndmask_b32_e32 v52, v14, v11, vcc
	v_lshlrev_b64 v[10:11], v10, -1
	v_add_u32_e32 v14, 19, v25
	v_lshlrev_b64 v[14:15], v14, 1
	v_bfi_b32 v11, v11, 0, 0
	v_bfi_b32 v10, v10, 0, v52
	v_cmp_eq_u64_e64 s[22:23], v[10:11], v[14:15]
	v_lshrrev_b64 v[10:11], v25, v[52:53]
	v_mov_b32_e32 v15, v11
	v_mov_b32_e32 v14, v10
	s_and_saveexec_b64 s[94:95], s[22:23]
; %bb.15400:                            ;   in Loop: Header=BB6_15184 Depth=2
	v_bfe_u32 v11, v10, 20, 1
	v_add_co_u32_e64 v11, s[22:23], v10, v11
	v_add_co_u32_e64 v14, s[22:23], -1, v11
; %bb.15401:                            ;   in Loop: Header=BB6_15184 Depth=2
	s_or_b64 exec, exec, s[94:95]
	v_add_u32_e32 v11, 0xffffff81, v23
	v_mov_b32_e32 v15, 0xffffff82
	v_cndmask_b32_e32 v11, v11, v15, vcc
	v_lshrrev_b32_e32 v15, 23, v10
	v_add3_u32 v23, v25, v11, v15
	v_add_u32_e32 v15, 6, v23
	v_and_b32_e32 v11, 0xfffff, v14
	v_add_u32_e32 v52, v11, v10
	v_cmp_ne_u32_e32 vcc, 0, v15
                                        ; implicit-def: $vgpr10_vgpr11
                                        ; implicit-def: $vgpr14
	s_and_saveexec_b64 s[22:23], vcc
	s_xor_b64 s[22:23], exec, s[22:23]
; %bb.15402:                            ;   in Loop: Header=BB6_15184 Depth=2
	v_cmp_lt_u64_e32 vcc, s[58:59], v[52:53]
	v_add_u32_e32 v10, 7, v23
	v_cndmask_b32_e32 v14, v15, v10, vcc
	v_cndmask_b32_e64 v10, 0, 1, vcc
	v_lshrrev_b64 v[10:11], v10, v[52:53]
; %bb.15403:                            ;   in Loop: Header=BB6_15184 Depth=2
	s_andn2_saveexec_b64 s[22:23], s[22:23]
; %bb.15404:                            ;   in Loop: Header=BB6_15184 Depth=2
	v_mov_b32_e32 v10, v52
	v_bfe_u32 v14, v52, 23, 1
	v_mov_b32_e32 v11, v53
; %bb.15405:                            ;   in Loop: Header=BB6_15184 Depth=2
	s_or_b64 exec, exec, s[22:23]
	v_lshrrev_b64 v[10:11], 20, v[10:11]
	v_cmp_gt_i32_e32 vcc, 16, v14
	v_cndmask_b32_e32 v11, 0, v11, vcc
	v_cndmask_b32_e32 v10, 7, v10, vcc
	v_cmp_eq_u64_e64 s[22:23], 0, v[10:11]
	v_min_i32_e32 v11, 15, v14
	v_lshlrev_b32_e32 v11, 3, v11
	v_cmp_eq_u32_e32 vcc, 0, v14
	v_and_b32_e32 v11, 0xf8, v11
	v_and_or_b32 v10, v10, 7, v11
	s_and_b64 s[22:23], vcc, s[22:23]
	v_cndmask_b32_e64 v10, v10, 0, s[22:23]
	v_or_b32_e32 v23, v10, v24
.LBB6_15406:                            ;   in Loop: Header=BB6_15184 Depth=2
	s_or_b64 exec, exec, s[92:93]
                                        ; implicit-def: $vgpr24
.LBB6_15407:                            ;   in Loop: Header=BB6_15184 Depth=2
	s_andn2_saveexec_b64 s[22:23], s[90:91]
; %bb.15408:                            ;   in Loop: Header=BB6_15184 Depth=2
	v_or_b32_e32 v23, 0x7e, v24
; %bb.15409:                            ;   in Loop: Header=BB6_15184 Depth=2
	s_or_b64 exec, exec, s[22:23]
                                        ; implicit-def: $vgpr10
.LBB6_15410:                            ;   in Loop: Header=BB6_15184 Depth=2
	s_andn2_saveexec_b64 s[22:23], s[88:89]
; %bb.15411:                            ;   in Loop: Header=BB6_15184 Depth=2
	v_or_b32_sdwa v23, v10, s39 dst_sel:DWORD dst_unused:UNUSED_PAD src0_sel:BYTE_3 src1_sel:DWORD
; %bb.15412:                            ;   in Loop: Header=BB6_15184 Depth=2
	s_or_b64 exec, exec, s[22:23]
	v_lshrrev_b32_e32 v10, 16, v12
	v_cmp_ne_u16_sdwa s[88:89], v10, v53 src0_sel:BYTE_0 src1_sel:DWORD
	v_mov_b32_e32 v11, 0
	s_and_saveexec_b64 s[22:23], s[88:89]
	s_cbranch_execz .LBB6_15418
; %bb.15413:                            ;   in Loop: Header=BB6_15184 Depth=2
	v_cmp_ne_u16_sdwa s[90:91], v10, s48 src0_sel:BYTE_0 src1_sel:DWORD
	v_bfrev_b32_e32 v11, 1
	s_and_saveexec_b64 s[88:89], s[90:91]
	s_cbranch_execz .LBB6_15417
; %bb.15414:                            ;   in Loop: Header=BB6_15184 Depth=2
	v_bfe_u32 v14, v12, 16, 7
	v_cmp_ne_u32_e32 vcc, s39, v14
	v_mov_b32_e32 v11, 0x7f800001
	s_and_saveexec_b64 s[90:91], vcc
	s_cbranch_execz .LBB6_15416
; %bb.15415:                            ;   in Loop: Header=BB6_15184 Depth=2
	v_and_b32_e32 v11, 7, v10
	v_lshrrev_b32_e32 v24, 3, v14
	v_cmp_gt_u32_e32 vcc, 8, v14
	v_ffbh_u32_e32 v14, v11
	v_min_u32_e32 v25, 32, v14
	v_subrev_u32_e32 v14, 28, v25
	v_lshlrev_b64 v[14:15], v14, v[10:11]
	v_sub_u32_e32 v15, 29, v25
	v_and_b32_e32 v14, 7, v14
	v_cndmask_b32_e32 v15, v24, v15, vcc
	v_cndmask_b32_e32 v11, v11, v14, vcc
	v_lshlrev_b32_e32 v10, 24, v10
	v_bfrev_b32_e32 v14, 60
	v_lshlrev_b32_e32 v11, 20, v11
	v_and_b32_e32 v10, 0x80000000, v10
	v_lshl_add_u32 v14, v15, 23, v14
	v_or3_b32 v11, v10, v14, v11
.LBB6_15416:                            ;   in Loop: Header=BB6_15184 Depth=2
	s_or_b64 exec, exec, s[90:91]
.LBB6_15417:                            ;   in Loop: Header=BB6_15184 Depth=2
	s_or_b64 exec, exec, s[88:89]
.LBB6_15418:                            ;   in Loop: Header=BB6_15184 Depth=2
	s_or_b64 exec, exec, s[22:23]
	v_mul_f32_e32 v10, v7, v11
	v_and_b32_e32 v52, 0x7f800000, v10
	v_cmp_ne_u64_e32 vcc, s[46:47], v[52:53]
                                        ; implicit-def: $vgpr24
	s_and_saveexec_b64 s[22:23], vcc
	s_xor_b64 s[88:89], exec, s[22:23]
	s_cbranch_execz .LBB6_15432
; %bb.15419:                            ;   in Loop: Header=BB6_15184 Depth=2
	v_and_b32_e32 v52, 0x7fffffff, v10
	v_cmp_gt_u64_e32 vcc, s[56:57], v[52:53]
	v_and_b32_sdwa v25, v10, s48 dst_sel:DWORD dst_unused:UNUSED_PAD src0_sel:BYTE_3 src1_sel:DWORD
                                        ; implicit-def: $vgpr24
	s_and_saveexec_b64 s[22:23], vcc
	s_xor_b64 s[90:91], exec, s[22:23]
	s_cbranch_execz .LBB6_15429
; %bb.15420:                            ;   in Loop: Header=BB6_15184 Depth=2
	v_mov_b32_e32 v24, 0
	v_cmp_ne_u32_e32 vcc, 0, v10
	s_and_saveexec_b64 s[92:93], vcc
	s_cbranch_execz .LBB6_15428
; %bb.15421:                            ;   in Loop: Header=BB6_15184 Depth=2
	v_bfe_u32 v24, v10, 23, 8
	v_and_b32_e32 v11, 0x7fffff, v10
	v_cmp_gt_u32_e64 s[22:23], s49, v24
	v_sub_u32_e32 v10, 0x79, v24
	v_cmp_eq_u32_e32 vcc, 0, v24
	v_cndmask_b32_e64 v10, 0, v10, s[22:23]
	v_mov_b32_e32 v15, 0x78
	v_cndmask_b32_e32 v26, v10, v15, vcc
	v_or_b32_e32 v14, 0x800000, v11
	v_add_u32_e32 v10, 20, v26
	v_cndmask_b32_e32 v52, v14, v11, vcc
	v_lshlrev_b64 v[10:11], v10, -1
	v_add_u32_e32 v14, 19, v26
	v_lshlrev_b64 v[14:15], v14, 1
	v_bfi_b32 v11, v11, 0, 0
	v_bfi_b32 v10, v10, 0, v52
	v_cmp_eq_u64_e64 s[22:23], v[10:11], v[14:15]
	v_lshrrev_b64 v[10:11], v26, v[52:53]
	v_mov_b32_e32 v15, v11
	v_mov_b32_e32 v14, v10
	s_and_saveexec_b64 s[94:95], s[22:23]
; %bb.15422:                            ;   in Loop: Header=BB6_15184 Depth=2
	v_bfe_u32 v11, v10, 20, 1
	v_add_co_u32_e64 v11, s[22:23], v10, v11
	v_add_co_u32_e64 v14, s[22:23], -1, v11
; %bb.15423:                            ;   in Loop: Header=BB6_15184 Depth=2
	s_or_b64 exec, exec, s[94:95]
	v_add_u32_e32 v11, 0xffffff81, v24
	v_mov_b32_e32 v15, 0xffffff82
	v_cndmask_b32_e32 v11, v11, v15, vcc
	v_lshrrev_b32_e32 v15, 23, v10
	v_add3_u32 v24, v26, v11, v15
	v_add_u32_e32 v15, 6, v24
	v_and_b32_e32 v11, 0xfffff, v14
	v_add_u32_e32 v52, v11, v10
	v_cmp_ne_u32_e32 vcc, 0, v15
                                        ; implicit-def: $vgpr10_vgpr11
                                        ; implicit-def: $vgpr14
	s_and_saveexec_b64 s[22:23], vcc
	s_xor_b64 s[22:23], exec, s[22:23]
; %bb.15424:                            ;   in Loop: Header=BB6_15184 Depth=2
	v_cmp_lt_u64_e32 vcc, s[58:59], v[52:53]
	v_add_u32_e32 v10, 7, v24
	v_cndmask_b32_e32 v14, v15, v10, vcc
	v_cndmask_b32_e64 v10, 0, 1, vcc
	v_lshrrev_b64 v[10:11], v10, v[52:53]
; %bb.15425:                            ;   in Loop: Header=BB6_15184 Depth=2
	s_andn2_saveexec_b64 s[22:23], s[22:23]
; %bb.15426:                            ;   in Loop: Header=BB6_15184 Depth=2
	v_mov_b32_e32 v10, v52
	v_bfe_u32 v14, v52, 23, 1
	v_mov_b32_e32 v11, v53
; %bb.15427:                            ;   in Loop: Header=BB6_15184 Depth=2
	s_or_b64 exec, exec, s[22:23]
	v_lshrrev_b64 v[10:11], 20, v[10:11]
	v_cmp_gt_i32_e32 vcc, 16, v14
	v_cndmask_b32_e32 v11, 0, v11, vcc
	v_cndmask_b32_e32 v10, 7, v10, vcc
	v_cmp_eq_u64_e64 s[22:23], 0, v[10:11]
	v_min_i32_e32 v11, 15, v14
	v_lshlrev_b32_e32 v11, 3, v11
	v_cmp_eq_u32_e32 vcc, 0, v14
	v_and_b32_e32 v11, 0xf8, v11
	v_and_or_b32 v10, v10, 7, v11
	s_and_b64 s[22:23], vcc, s[22:23]
	v_cndmask_b32_e64 v10, v10, 0, s[22:23]
	v_or_b32_e32 v24, v10, v25
.LBB6_15428:                            ;   in Loop: Header=BB6_15184 Depth=2
	s_or_b64 exec, exec, s[92:93]
                                        ; implicit-def: $vgpr25
.LBB6_15429:                            ;   in Loop: Header=BB6_15184 Depth=2
	s_andn2_saveexec_b64 s[22:23], s[90:91]
; %bb.15430:                            ;   in Loop: Header=BB6_15184 Depth=2
	v_or_b32_e32 v24, 0x7e, v25
; %bb.15431:                            ;   in Loop: Header=BB6_15184 Depth=2
	s_or_b64 exec, exec, s[22:23]
                                        ; implicit-def: $vgpr10
.LBB6_15432:                            ;   in Loop: Header=BB6_15184 Depth=2
	s_andn2_saveexec_b64 s[22:23], s[88:89]
; %bb.15433:                            ;   in Loop: Header=BB6_15184 Depth=2
	v_or_b32_sdwa v24, v10, s39 dst_sel:DWORD dst_unused:UNUSED_PAD src0_sel:BYTE_3 src1_sel:DWORD
; %bb.15434:                            ;   in Loop: Header=BB6_15184 Depth=2
	s_or_b64 exec, exec, s[22:23]
	v_cmp_lt_u32_e32 vcc, s61, v12
	v_mov_b32_e32 v11, 0
	s_and_saveexec_b64 s[22:23], vcc
	s_cbranch_execz .LBB6_15440
; %bb.15435:                            ;   in Loop: Header=BB6_15184 Depth=2
	v_lshrrev_b32_e32 v10, 24, v12
	v_cmp_ne_u32_e32 vcc, s48, v10
	v_bfrev_b32_e32 v11, 1
	s_and_saveexec_b64 s[88:89], vcc
	s_cbranch_execz .LBB6_15439
; %bb.15436:                            ;   in Loop: Header=BB6_15184 Depth=2
	v_bfe_u32 v14, v12, 24, 7
	v_cmp_ne_u32_e32 vcc, s39, v14
	v_mov_b32_e32 v11, 0x7f800001
	s_and_saveexec_b64 s[90:91], vcc
	s_cbranch_execz .LBB6_15438
; %bb.15437:                            ;   in Loop: Header=BB6_15184 Depth=2
	v_and_b32_e32 v11, 7, v10
	v_lshrrev_b32_e32 v25, 3, v14
	v_cmp_gt_u32_e32 vcc, 8, v14
	v_ffbh_u32_e32 v14, v11
	v_min_u32_e32 v26, 32, v14
	v_subrev_u32_e32 v14, 28, v26
	v_lshlrev_b64 v[14:15], v14, v[10:11]
	v_sub_u32_e32 v15, 29, v26
	v_and_b32_e32 v14, 7, v14
	v_cndmask_b32_e32 v15, v25, v15, vcc
	v_cndmask_b32_e32 v11, v11, v14, vcc
	v_lshlrev_b32_e32 v10, 24, v10
	v_bfrev_b32_e32 v14, 60
	v_lshlrev_b32_e32 v11, 20, v11
	v_and_b32_e32 v10, 0x80000000, v10
	v_lshl_add_u32 v14, v15, 23, v14
	v_or3_b32 v11, v10, v14, v11
.LBB6_15438:                            ;   in Loop: Header=BB6_15184 Depth=2
	s_or_b64 exec, exec, s[90:91]
.LBB6_15439:                            ;   in Loop: Header=BB6_15184 Depth=2
	s_or_b64 exec, exec, s[88:89]
.LBB6_15440:                            ;   in Loop: Header=BB6_15184 Depth=2
	s_or_b64 exec, exec, s[22:23]
	v_mul_f32_e32 v10, v7, v11
	v_and_b32_e32 v52, 0x7f800000, v10
	v_cmp_ne_u64_e32 vcc, s[46:47], v[52:53]
                                        ; implicit-def: $vgpr25
	s_and_saveexec_b64 s[22:23], vcc
	s_xor_b64 s[88:89], exec, s[22:23]
	s_cbranch_execz .LBB6_15454
; %bb.15441:                            ;   in Loop: Header=BB6_15184 Depth=2
	v_and_b32_e32 v52, 0x7fffffff, v10
	v_cmp_gt_u64_e32 vcc, s[56:57], v[52:53]
	v_and_b32_sdwa v26, v10, s48 dst_sel:DWORD dst_unused:UNUSED_PAD src0_sel:BYTE_3 src1_sel:DWORD
                                        ; implicit-def: $vgpr25
	s_and_saveexec_b64 s[22:23], vcc
	s_xor_b64 s[90:91], exec, s[22:23]
	s_cbranch_execz .LBB6_15451
; %bb.15442:                            ;   in Loop: Header=BB6_15184 Depth=2
	v_mov_b32_e32 v25, 0
	v_cmp_ne_u32_e32 vcc, 0, v10
	s_and_saveexec_b64 s[92:93], vcc
	s_cbranch_execz .LBB6_15450
; %bb.15443:                            ;   in Loop: Header=BB6_15184 Depth=2
	v_bfe_u32 v25, v10, 23, 8
	v_and_b32_e32 v11, 0x7fffff, v10
	v_cmp_gt_u32_e64 s[22:23], s49, v25
	v_sub_u32_e32 v10, 0x79, v25
	v_cmp_eq_u32_e32 vcc, 0, v25
	v_cndmask_b32_e64 v10, 0, v10, s[22:23]
	v_mov_b32_e32 v15, 0x78
	v_cndmask_b32_e32 v27, v10, v15, vcc
	v_or_b32_e32 v14, 0x800000, v11
	v_add_u32_e32 v10, 20, v27
	v_cndmask_b32_e32 v52, v14, v11, vcc
	v_lshlrev_b64 v[10:11], v10, -1
	v_add_u32_e32 v14, 19, v27
	v_lshlrev_b64 v[14:15], v14, 1
	v_bfi_b32 v11, v11, 0, 0
	v_bfi_b32 v10, v10, 0, v52
	v_cmp_eq_u64_e64 s[22:23], v[10:11], v[14:15]
	v_lshrrev_b64 v[10:11], v27, v[52:53]
	v_mov_b32_e32 v15, v11
	v_mov_b32_e32 v14, v10
	s_and_saveexec_b64 s[94:95], s[22:23]
; %bb.15444:                            ;   in Loop: Header=BB6_15184 Depth=2
	v_bfe_u32 v11, v10, 20, 1
	v_add_co_u32_e64 v11, s[22:23], v10, v11
	v_add_co_u32_e64 v14, s[22:23], -1, v11
; %bb.15445:                            ;   in Loop: Header=BB6_15184 Depth=2
	s_or_b64 exec, exec, s[94:95]
	v_add_u32_e32 v11, 0xffffff81, v25
	v_mov_b32_e32 v15, 0xffffff82
	v_cndmask_b32_e32 v11, v11, v15, vcc
	v_lshrrev_b32_e32 v15, 23, v10
	v_add3_u32 v25, v27, v11, v15
	v_add_u32_e32 v15, 6, v25
	v_and_b32_e32 v11, 0xfffff, v14
	v_add_u32_e32 v52, v11, v10
	v_cmp_ne_u32_e32 vcc, 0, v15
                                        ; implicit-def: $vgpr10_vgpr11
                                        ; implicit-def: $vgpr14
	s_and_saveexec_b64 s[22:23], vcc
	s_xor_b64 s[22:23], exec, s[22:23]
; %bb.15446:                            ;   in Loop: Header=BB6_15184 Depth=2
	v_cmp_lt_u64_e32 vcc, s[58:59], v[52:53]
	v_add_u32_e32 v10, 7, v25
	v_cndmask_b32_e32 v14, v15, v10, vcc
	v_cndmask_b32_e64 v10, 0, 1, vcc
	v_lshrrev_b64 v[10:11], v10, v[52:53]
; %bb.15447:                            ;   in Loop: Header=BB6_15184 Depth=2
	s_andn2_saveexec_b64 s[22:23], s[22:23]
; %bb.15448:                            ;   in Loop: Header=BB6_15184 Depth=2
	v_mov_b32_e32 v10, v52
	v_bfe_u32 v14, v52, 23, 1
	v_mov_b32_e32 v11, v53
; %bb.15449:                            ;   in Loop: Header=BB6_15184 Depth=2
	s_or_b64 exec, exec, s[22:23]
	v_lshrrev_b64 v[10:11], 20, v[10:11]
	v_cmp_gt_i32_e32 vcc, 16, v14
	v_cndmask_b32_e32 v11, 0, v11, vcc
	v_cndmask_b32_e32 v10, 7, v10, vcc
	v_cmp_eq_u64_e64 s[22:23], 0, v[10:11]
	v_min_i32_e32 v11, 15, v14
	v_lshlrev_b32_e32 v11, 3, v11
	v_cmp_eq_u32_e32 vcc, 0, v14
	v_and_b32_e32 v11, 0xf8, v11
	v_and_or_b32 v10, v10, 7, v11
	s_and_b64 s[22:23], vcc, s[22:23]
	v_cndmask_b32_e64 v10, v10, 0, s[22:23]
	v_or_b32_e32 v25, v10, v26
.LBB6_15450:                            ;   in Loop: Header=BB6_15184 Depth=2
	s_or_b64 exec, exec, s[92:93]
                                        ; implicit-def: $vgpr26
.LBB6_15451:                            ;   in Loop: Header=BB6_15184 Depth=2
	s_andn2_saveexec_b64 s[22:23], s[90:91]
; %bb.15452:                            ;   in Loop: Header=BB6_15184 Depth=2
	v_or_b32_e32 v25, 0x7e, v26
; %bb.15453:                            ;   in Loop: Header=BB6_15184 Depth=2
	s_or_b64 exec, exec, s[22:23]
                                        ; implicit-def: $vgpr10
.LBB6_15454:                            ;   in Loop: Header=BB6_15184 Depth=2
	s_andn2_saveexec_b64 s[22:23], s[88:89]
; %bb.15455:                            ;   in Loop: Header=BB6_15184 Depth=2
	v_or_b32_sdwa v25, v10, s39 dst_sel:DWORD dst_unused:UNUSED_PAD src0_sel:BYTE_3 src1_sel:DWORD
; %bb.15456:                            ;   in Loop: Header=BB6_15184 Depth=2
	s_or_b64 exec, exec, s[22:23]
	v_mov_b32_e32 v52, v13
	v_cmp_ne_u16_sdwa s[88:89], v13, v53 src0_sel:BYTE_0 src1_sel:DWORD
	v_mov_b32_e32 v10, 0
	s_and_saveexec_b64 s[22:23], s[88:89]
	s_cbranch_execz .LBB6_15462
; %bb.15457:                            ;   in Loop: Header=BB6_15184 Depth=2
	v_cmp_ne_u16_sdwa s[90:91], v13, s48 src0_sel:BYTE_0 src1_sel:DWORD
	v_bfrev_b32_e32 v10, 1
	s_and_saveexec_b64 s[88:89], s[90:91]
	s_cbranch_execz .LBB6_15461
; %bb.15458:                            ;   in Loop: Header=BB6_15184 Depth=2
	v_and_b32_e32 v11, 0x7f, v13
	v_cmp_ne_u32_e32 vcc, s39, v11
	v_mov_b32_e32 v10, 0x7f800001
	s_and_saveexec_b64 s[90:91], vcc
	s_cbranch_execz .LBB6_15460
; %bb.15459:                            ;   in Loop: Header=BB6_15184 Depth=2
	v_and_b32_e32 v10, 7, v13
	v_ffbh_u32_e32 v10, v10
	v_min_u32_e32 v10, 32, v10
	v_lshrrev_b32_e32 v14, 3, v11
	v_cmp_gt_u32_e32 vcc, 8, v11
	v_subrev_u32_e32 v11, 28, v10
	v_sub_u32_e32 v10, 29, v10
	v_cndmask_b32_e32 v14, v14, v10, vcc
	v_cndmask_b32_e32 v10, 0, v11, vcc
	v_lshlrev_b64 v[10:11], v10, v[52:53]
	v_lshlrev_b32_e32 v11, 24, v52
	v_lshlrev_b32_e32 v10, 20, v10
	v_bfrev_b32_e32 v15, 60
	v_and_b32_e32 v10, 0x700000, v10
	v_and_b32_e32 v11, 0x80000000, v11
	v_lshl_add_u32 v14, v14, 23, v15
	v_or3_b32 v10, v11, v14, v10
.LBB6_15460:                            ;   in Loop: Header=BB6_15184 Depth=2
	s_or_b64 exec, exec, s[90:91]
.LBB6_15461:                            ;   in Loop: Header=BB6_15184 Depth=2
	s_or_b64 exec, exec, s[88:89]
.LBB6_15462:                            ;   in Loop: Header=BB6_15184 Depth=2
	s_or_b64 exec, exec, s[22:23]
	v_mul_f32_e32 v10, v7, v10
	v_and_b32_e32 v14, 0x7f800000, v10
	v_mov_b32_e32 v15, v53
	v_cmp_ne_u64_e32 vcc, s[46:47], v[14:15]
                                        ; implicit-def: $vgpr26
	s_and_saveexec_b64 s[22:23], vcc
	s_xor_b64 s[88:89], exec, s[22:23]
	s_cbranch_execz .LBB6_15476
; %bb.15463:                            ;   in Loop: Header=BB6_15184 Depth=2
	v_and_b32_e32 v14, 0x7fffffff, v10
	v_mov_b32_e32 v15, v53
	v_cmp_gt_u64_e32 vcc, s[56:57], v[14:15]
	v_and_b32_sdwa v27, v10, s48 dst_sel:DWORD dst_unused:UNUSED_PAD src0_sel:BYTE_3 src1_sel:DWORD
                                        ; implicit-def: $vgpr26
	s_and_saveexec_b64 s[22:23], vcc
	s_xor_b64 s[90:91], exec, s[22:23]
	s_cbranch_execz .LBB6_15473
; %bb.15464:                            ;   in Loop: Header=BB6_15184 Depth=2
	v_mov_b32_e32 v26, 0
	v_cmp_ne_u32_e32 vcc, 0, v10
	s_and_saveexec_b64 s[92:93], vcc
	s_cbranch_execz .LBB6_15472
; %bb.15465:                            ;   in Loop: Header=BB6_15184 Depth=2
	v_bfe_u32 v26, v10, 23, 8
	v_and_b32_e32 v11, 0x7fffff, v10
	v_cmp_gt_u32_e64 s[22:23], s49, v26
	v_sub_u32_e32 v10, 0x79, v26
	v_cmp_eq_u32_e32 vcc, 0, v26
	v_cndmask_b32_e64 v10, 0, v10, s[22:23]
	v_mov_b32_e32 v15, 0x78
	v_or_b32_e32 v14, 0x800000, v11
	v_cndmask_b32_e32 v28, v10, v15, vcc
	v_cndmask_b32_e32 v10, v14, v11, vcc
	v_add_u32_e32 v14, 20, v28
	v_lshlrev_b64 v[14:15], v14, -1
	v_mov_b32_e32 v11, v53
	v_add_u32_e32 v29, 19, v28
	v_bfi_b32 v14, v14, 0, v10
	v_lshlrev_b64 v[29:30], v29, 1
	v_lshrrev_b64 v[10:11], v28, v[10:11]
	v_bfi_b32 v15, v15, 0, 0
	v_cmp_eq_u64_e64 s[22:23], v[14:15], v[29:30]
	v_mov_b32_e32 v15, v11
	v_mov_b32_e32 v14, v10
	s_and_saveexec_b64 s[94:95], s[22:23]
; %bb.15466:                            ;   in Loop: Header=BB6_15184 Depth=2
	v_bfe_u32 v11, v10, 20, 1
	v_add_co_u32_e64 v11, s[22:23], v10, v11
	v_add_co_u32_e64 v14, s[22:23], -1, v11
; %bb.15467:                            ;   in Loop: Header=BB6_15184 Depth=2
	s_or_b64 exec, exec, s[94:95]
	v_add_u32_e32 v11, 0xffffff81, v26
	v_mov_b32_e32 v15, 0xffffff82
	v_cndmask_b32_e32 v11, v11, v15, vcc
	v_lshrrev_b32_e32 v15, 23, v10
	v_add3_u32 v26, v28, v11, v15
	v_add_u32_e32 v15, 6, v26
	v_and_b32_e32 v11, 0xfffff, v14
	v_add_u32_e32 v10, v11, v10
	v_mov_b32_e32 v11, v53
	v_cmp_ne_u32_e32 vcc, 0, v15
                                        ; implicit-def: $vgpr14
	s_and_saveexec_b64 s[22:23], vcc
	s_xor_b64 s[22:23], exec, s[22:23]
; %bb.15468:                            ;   in Loop: Header=BB6_15184 Depth=2
	v_cmp_lt_u64_e32 vcc, s[58:59], v[10:11]
	v_add_u32_e32 v14, 7, v26
	v_cndmask_b32_e32 v14, v15, v14, vcc
	v_cndmask_b32_e64 v15, 0, 1, vcc
	v_lshrrev_b64 v[10:11], v15, v[10:11]
; %bb.15469:                            ;   in Loop: Header=BB6_15184 Depth=2
	s_andn2_saveexec_b64 s[22:23], s[22:23]
; %bb.15470:                            ;   in Loop: Header=BB6_15184 Depth=2
	v_bfe_u32 v14, v10, 23, 1
; %bb.15471:                            ;   in Loop: Header=BB6_15184 Depth=2
	s_or_b64 exec, exec, s[22:23]
	v_lshrrev_b64 v[10:11], 20, v[10:11]
	v_cmp_gt_i32_e32 vcc, 16, v14
	v_cndmask_b32_e32 v11, 0, v11, vcc
	v_cndmask_b32_e32 v10, 7, v10, vcc
	v_cmp_eq_u64_e64 s[22:23], 0, v[10:11]
	v_min_i32_e32 v11, 15, v14
	v_lshlrev_b32_e32 v11, 3, v11
	v_cmp_eq_u32_e32 vcc, 0, v14
	v_and_b32_e32 v11, 0xf8, v11
	v_and_or_b32 v10, v10, 7, v11
	s_and_b64 s[22:23], vcc, s[22:23]
	v_cndmask_b32_e64 v10, v10, 0, s[22:23]
	v_or_b32_e32 v26, v10, v27
.LBB6_15472:                            ;   in Loop: Header=BB6_15184 Depth=2
	s_or_b64 exec, exec, s[92:93]
                                        ; implicit-def: $vgpr27
.LBB6_15473:                            ;   in Loop: Header=BB6_15184 Depth=2
	s_andn2_saveexec_b64 s[22:23], s[90:91]
; %bb.15474:                            ;   in Loop: Header=BB6_15184 Depth=2
	v_or_b32_e32 v26, 0x7e, v27
; %bb.15475:                            ;   in Loop: Header=BB6_15184 Depth=2
	s_or_b64 exec, exec, s[22:23]
                                        ; implicit-def: $vgpr10
.LBB6_15476:                            ;   in Loop: Header=BB6_15184 Depth=2
	s_andn2_saveexec_b64 s[22:23], s[88:89]
; %bb.15477:                            ;   in Loop: Header=BB6_15184 Depth=2
	v_or_b32_sdwa v26, v10, s39 dst_sel:DWORD dst_unused:UNUSED_PAD src0_sel:BYTE_3 src1_sel:DWORD
; %bb.15478:                            ;   in Loop: Header=BB6_15184 Depth=2
	s_or_b64 exec, exec, s[22:23]
	v_lshrrev_b16_e32 v10, 8, v52
	v_cmp_ne_u16_e32 vcc, 0, v10
	v_mov_b32_e32 v11, 0
	s_and_saveexec_b64 s[22:23], vcc
	s_cbranch_execz .LBB6_15484
; %bb.15479:                            ;   in Loop: Header=BB6_15184 Depth=2
	v_cmp_ne_u16_e32 vcc, s48, v10
	v_bfrev_b32_e32 v11, 1
	s_and_saveexec_b64 s[88:89], vcc
	s_cbranch_execz .LBB6_15483
; %bb.15480:                            ;   in Loop: Header=BB6_15184 Depth=2
	v_and_b32_e32 v14, 0x7f, v10
	v_cmp_ne_u32_e32 vcc, s39, v14
	v_mov_b32_e32 v11, 0x7f800001
	s_and_saveexec_b64 s[90:91], vcc
	s_cbranch_execz .LBB6_15482
; %bb.15481:                            ;   in Loop: Header=BB6_15184 Depth=2
	v_and_b32_e32 v15, 7, v10
	v_ffbh_u32_e32 v11, v15
	v_lshrrev_b32_e32 v27, 3, v14
	v_cmp_gt_u32_e32 vcc, 8, v14
	v_min_u32_e32 v14, 32, v11
	v_subrev_u32_e32 v11, 28, v14
	v_lshlrev_b64 v[10:11], v11, v[10:11]
	v_sub_u32_e32 v11, 29, v14
	v_and_b32_e32 v10, 7, v10
	v_cndmask_b32_e32 v11, v27, v11, vcc
	v_cndmask_b32_e32 v10, v15, v10, vcc
	v_lshlrev_b32_e32 v14, 16, v52
	v_bfrev_b32_e32 v15, 60
	v_lshlrev_b32_e32 v10, 20, v10
	v_and_b32_e32 v14, 0x80000000, v14
	v_lshl_add_u32 v11, v11, 23, v15
	v_or3_b32 v11, v14, v11, v10
.LBB6_15482:                            ;   in Loop: Header=BB6_15184 Depth=2
	s_or_b64 exec, exec, s[90:91]
.LBB6_15483:                            ;   in Loop: Header=BB6_15184 Depth=2
	s_or_b64 exec, exec, s[88:89]
.LBB6_15484:                            ;   in Loop: Header=BB6_15184 Depth=2
	s_or_b64 exec, exec, s[22:23]
	v_mul_f32_e32 v10, v7, v11
	v_and_b32_e32 v52, 0x7f800000, v10
	v_cmp_ne_u64_e32 vcc, s[46:47], v[52:53]
                                        ; implicit-def: $vgpr27
	s_and_saveexec_b64 s[22:23], vcc
	s_xor_b64 s[88:89], exec, s[22:23]
	s_cbranch_execz .LBB6_15498
; %bb.15485:                            ;   in Loop: Header=BB6_15184 Depth=2
	v_and_b32_e32 v52, 0x7fffffff, v10
	v_cmp_gt_u64_e32 vcc, s[56:57], v[52:53]
	v_and_b32_sdwa v28, v10, s48 dst_sel:DWORD dst_unused:UNUSED_PAD src0_sel:BYTE_3 src1_sel:DWORD
                                        ; implicit-def: $vgpr27
	s_and_saveexec_b64 s[22:23], vcc
	s_xor_b64 s[90:91], exec, s[22:23]
	s_cbranch_execz .LBB6_15495
; %bb.15486:                            ;   in Loop: Header=BB6_15184 Depth=2
	v_mov_b32_e32 v27, 0
	v_cmp_ne_u32_e32 vcc, 0, v10
	s_and_saveexec_b64 s[92:93], vcc
	s_cbranch_execz .LBB6_15494
; %bb.15487:                            ;   in Loop: Header=BB6_15184 Depth=2
	v_bfe_u32 v27, v10, 23, 8
	v_and_b32_e32 v11, 0x7fffff, v10
	v_cmp_gt_u32_e64 s[22:23], s49, v27
	v_sub_u32_e32 v10, 0x79, v27
	v_cmp_eq_u32_e32 vcc, 0, v27
	v_cndmask_b32_e64 v10, 0, v10, s[22:23]
	v_mov_b32_e32 v15, 0x78
	v_cndmask_b32_e32 v29, v10, v15, vcc
	v_or_b32_e32 v14, 0x800000, v11
	v_add_u32_e32 v10, 20, v29
	v_cndmask_b32_e32 v52, v14, v11, vcc
	v_lshlrev_b64 v[10:11], v10, -1
	v_add_u32_e32 v14, 19, v29
	v_lshlrev_b64 v[14:15], v14, 1
	v_bfi_b32 v11, v11, 0, 0
	v_bfi_b32 v10, v10, 0, v52
	v_cmp_eq_u64_e64 s[22:23], v[10:11], v[14:15]
	v_lshrrev_b64 v[10:11], v29, v[52:53]
	v_mov_b32_e32 v15, v11
	v_mov_b32_e32 v14, v10
	s_and_saveexec_b64 s[94:95], s[22:23]
; %bb.15488:                            ;   in Loop: Header=BB6_15184 Depth=2
	v_bfe_u32 v11, v10, 20, 1
	v_add_co_u32_e64 v11, s[22:23], v10, v11
	v_add_co_u32_e64 v14, s[22:23], -1, v11
; %bb.15489:                            ;   in Loop: Header=BB6_15184 Depth=2
	s_or_b64 exec, exec, s[94:95]
	v_add_u32_e32 v11, 0xffffff81, v27
	v_mov_b32_e32 v15, 0xffffff82
	v_cndmask_b32_e32 v11, v11, v15, vcc
	v_lshrrev_b32_e32 v15, 23, v10
	v_add3_u32 v27, v29, v11, v15
	v_add_u32_e32 v15, 6, v27
	v_and_b32_e32 v11, 0xfffff, v14
	v_add_u32_e32 v52, v11, v10
	v_cmp_ne_u32_e32 vcc, 0, v15
                                        ; implicit-def: $vgpr10_vgpr11
                                        ; implicit-def: $vgpr14
	s_and_saveexec_b64 s[22:23], vcc
	s_xor_b64 s[22:23], exec, s[22:23]
; %bb.15490:                            ;   in Loop: Header=BB6_15184 Depth=2
	v_cmp_lt_u64_e32 vcc, s[58:59], v[52:53]
	v_add_u32_e32 v10, 7, v27
	v_cndmask_b32_e32 v14, v15, v10, vcc
	v_cndmask_b32_e64 v10, 0, 1, vcc
	v_lshrrev_b64 v[10:11], v10, v[52:53]
; %bb.15491:                            ;   in Loop: Header=BB6_15184 Depth=2
	s_andn2_saveexec_b64 s[22:23], s[22:23]
; %bb.15492:                            ;   in Loop: Header=BB6_15184 Depth=2
	v_mov_b32_e32 v10, v52
	v_bfe_u32 v14, v52, 23, 1
	v_mov_b32_e32 v11, v53
; %bb.15493:                            ;   in Loop: Header=BB6_15184 Depth=2
	s_or_b64 exec, exec, s[22:23]
	v_lshrrev_b64 v[10:11], 20, v[10:11]
	v_cmp_gt_i32_e32 vcc, 16, v14
	v_cndmask_b32_e32 v11, 0, v11, vcc
	v_cndmask_b32_e32 v10, 7, v10, vcc
	v_cmp_eq_u64_e64 s[22:23], 0, v[10:11]
	v_min_i32_e32 v11, 15, v14
	v_lshlrev_b32_e32 v11, 3, v11
	v_cmp_eq_u32_e32 vcc, 0, v14
	v_and_b32_e32 v11, 0xf8, v11
	v_and_or_b32 v10, v10, 7, v11
	s_and_b64 s[22:23], vcc, s[22:23]
	v_cndmask_b32_e64 v10, v10, 0, s[22:23]
	v_or_b32_e32 v27, v10, v28
.LBB6_15494:                            ;   in Loop: Header=BB6_15184 Depth=2
	s_or_b64 exec, exec, s[92:93]
                                        ; implicit-def: $vgpr28
.LBB6_15495:                            ;   in Loop: Header=BB6_15184 Depth=2
	s_andn2_saveexec_b64 s[22:23], s[90:91]
; %bb.15496:                            ;   in Loop: Header=BB6_15184 Depth=2
	v_or_b32_e32 v27, 0x7e, v28
; %bb.15497:                            ;   in Loop: Header=BB6_15184 Depth=2
	s_or_b64 exec, exec, s[22:23]
                                        ; implicit-def: $vgpr10
.LBB6_15498:                            ;   in Loop: Header=BB6_15184 Depth=2
	s_andn2_saveexec_b64 s[22:23], s[88:89]
; %bb.15499:                            ;   in Loop: Header=BB6_15184 Depth=2
	v_or_b32_sdwa v27, v10, s39 dst_sel:DWORD dst_unused:UNUSED_PAD src0_sel:BYTE_3 src1_sel:DWORD
; %bb.15500:                            ;   in Loop: Header=BB6_15184 Depth=2
	s_or_b64 exec, exec, s[22:23]
	v_lshrrev_b32_e32 v10, 16, v13
	v_cmp_ne_u16_sdwa s[88:89], v10, v53 src0_sel:BYTE_0 src1_sel:DWORD
	v_mov_b32_e32 v11, 0
	s_and_saveexec_b64 s[22:23], s[88:89]
	s_cbranch_execz .LBB6_15506
; %bb.15501:                            ;   in Loop: Header=BB6_15184 Depth=2
	v_cmp_ne_u16_sdwa s[90:91], v10, s48 src0_sel:BYTE_0 src1_sel:DWORD
	v_bfrev_b32_e32 v11, 1
	s_and_saveexec_b64 s[88:89], s[90:91]
	s_cbranch_execz .LBB6_15505
; %bb.15502:                            ;   in Loop: Header=BB6_15184 Depth=2
	v_bfe_u32 v14, v13, 16, 7
	v_cmp_ne_u32_e32 vcc, s39, v14
	v_mov_b32_e32 v11, 0x7f800001
	s_and_saveexec_b64 s[90:91], vcc
	s_cbranch_execz .LBB6_15504
; %bb.15503:                            ;   in Loop: Header=BB6_15184 Depth=2
	v_and_b32_e32 v11, 7, v10
	v_lshrrev_b32_e32 v28, 3, v14
	v_cmp_gt_u32_e32 vcc, 8, v14
	v_ffbh_u32_e32 v14, v11
	v_min_u32_e32 v29, 32, v14
	v_subrev_u32_e32 v14, 28, v29
	v_lshlrev_b64 v[14:15], v14, v[10:11]
	v_sub_u32_e32 v15, 29, v29
	v_and_b32_e32 v14, 7, v14
	v_cndmask_b32_e32 v15, v28, v15, vcc
	v_cndmask_b32_e32 v11, v11, v14, vcc
	v_lshlrev_b32_e32 v10, 24, v10
	v_bfrev_b32_e32 v14, 60
	v_lshlrev_b32_e32 v11, 20, v11
	v_and_b32_e32 v10, 0x80000000, v10
	v_lshl_add_u32 v14, v15, 23, v14
	v_or3_b32 v11, v10, v14, v11
.LBB6_15504:                            ;   in Loop: Header=BB6_15184 Depth=2
	s_or_b64 exec, exec, s[90:91]
.LBB6_15505:                            ;   in Loop: Header=BB6_15184 Depth=2
	s_or_b64 exec, exec, s[88:89]
.LBB6_15506:                            ;   in Loop: Header=BB6_15184 Depth=2
	s_or_b64 exec, exec, s[22:23]
	v_mul_f32_e32 v10, v7, v11
	v_and_b32_e32 v52, 0x7f800000, v10
	v_cmp_ne_u64_e32 vcc, s[46:47], v[52:53]
                                        ; implicit-def: $vgpr14
	s_and_saveexec_b64 s[22:23], vcc
	s_xor_b64 s[88:89], exec, s[22:23]
	s_cbranch_execz .LBB6_15520
; %bb.15507:                            ;   in Loop: Header=BB6_15184 Depth=2
	v_and_b32_e32 v52, 0x7fffffff, v10
	v_cmp_gt_u64_e32 vcc, s[56:57], v[52:53]
	v_and_b32_sdwa v28, v10, s48 dst_sel:DWORD dst_unused:UNUSED_PAD src0_sel:BYTE_3 src1_sel:DWORD
                                        ; implicit-def: $vgpr14
	s_and_saveexec_b64 s[22:23], vcc
	s_xor_b64 s[90:91], exec, s[22:23]
	s_cbranch_execz .LBB6_15517
; %bb.15508:                            ;   in Loop: Header=BB6_15184 Depth=2
	v_mov_b32_e32 v14, 0
	v_cmp_ne_u32_e32 vcc, 0, v10
	s_and_saveexec_b64 s[92:93], vcc
	s_cbranch_execz .LBB6_15516
; %bb.15509:                            ;   in Loop: Header=BB6_15184 Depth=2
	v_bfe_u32 v29, v10, 23, 8
	v_and_b32_e32 v11, 0x7fffff, v10
	v_cmp_gt_u32_e64 s[22:23], s49, v29
	v_sub_u32_e32 v10, 0x79, v29
	v_cmp_eq_u32_e32 vcc, 0, v29
	v_cndmask_b32_e64 v10, 0, v10, s[22:23]
	v_mov_b32_e32 v15, 0x78
	v_cndmask_b32_e32 v30, v10, v15, vcc
	v_or_b32_e32 v14, 0x800000, v11
	v_add_u32_e32 v10, 20, v30
	v_cndmask_b32_e32 v52, v14, v11, vcc
	v_lshlrev_b64 v[10:11], v10, -1
	v_add_u32_e32 v14, 19, v30
	v_lshlrev_b64 v[14:15], v14, 1
	v_bfi_b32 v11, v11, 0, 0
	v_bfi_b32 v10, v10, 0, v52
	v_cmp_eq_u64_e64 s[22:23], v[10:11], v[14:15]
	v_lshrrev_b64 v[10:11], v30, v[52:53]
	v_mov_b32_e32 v15, v11
	v_mov_b32_e32 v14, v10
	s_and_saveexec_b64 s[94:95], s[22:23]
; %bb.15510:                            ;   in Loop: Header=BB6_15184 Depth=2
	v_bfe_u32 v11, v10, 20, 1
	v_add_co_u32_e64 v11, s[22:23], v10, v11
	v_add_co_u32_e64 v14, s[22:23], -1, v11
; %bb.15511:                            ;   in Loop: Header=BB6_15184 Depth=2
	s_or_b64 exec, exec, s[94:95]
	v_add_u32_e32 v11, 0xffffff81, v29
	v_mov_b32_e32 v15, 0xffffff82
	v_cndmask_b32_e32 v11, v11, v15, vcc
	v_lshrrev_b32_e32 v15, 23, v10
	v_add3_u32 v29, v30, v11, v15
	v_add_u32_e32 v15, 6, v29
	v_and_b32_e32 v11, 0xfffff, v14
	v_add_u32_e32 v52, v11, v10
	v_cmp_ne_u32_e32 vcc, 0, v15
                                        ; implicit-def: $vgpr10_vgpr11
                                        ; implicit-def: $vgpr14
	s_and_saveexec_b64 s[22:23], vcc
	s_xor_b64 s[22:23], exec, s[22:23]
; %bb.15512:                            ;   in Loop: Header=BB6_15184 Depth=2
	v_cmp_lt_u64_e32 vcc, s[58:59], v[52:53]
	v_add_u32_e32 v10, 7, v29
	v_cndmask_b32_e32 v14, v15, v10, vcc
	v_cndmask_b32_e64 v10, 0, 1, vcc
	v_lshrrev_b64 v[10:11], v10, v[52:53]
; %bb.15513:                            ;   in Loop: Header=BB6_15184 Depth=2
	s_andn2_saveexec_b64 s[22:23], s[22:23]
; %bb.15514:                            ;   in Loop: Header=BB6_15184 Depth=2
	v_mov_b32_e32 v10, v52
	v_bfe_u32 v14, v52, 23, 1
	v_mov_b32_e32 v11, v53
; %bb.15515:                            ;   in Loop: Header=BB6_15184 Depth=2
	s_or_b64 exec, exec, s[22:23]
	v_lshrrev_b64 v[10:11], 20, v[10:11]
	v_cmp_gt_i32_e32 vcc, 16, v14
	v_cndmask_b32_e32 v11, 0, v11, vcc
	v_cndmask_b32_e32 v10, 7, v10, vcc
	v_cmp_eq_u64_e64 s[22:23], 0, v[10:11]
	v_min_i32_e32 v11, 15, v14
	v_lshlrev_b32_e32 v11, 3, v11
	v_cmp_eq_u32_e32 vcc, 0, v14
	v_and_b32_e32 v11, 0xf8, v11
	v_and_or_b32 v10, v10, 7, v11
	s_and_b64 s[22:23], vcc, s[22:23]
	v_cndmask_b32_e64 v10, v10, 0, s[22:23]
	v_or_b32_e32 v14, v10, v28
.LBB6_15516:                            ;   in Loop: Header=BB6_15184 Depth=2
	s_or_b64 exec, exec, s[92:93]
                                        ; implicit-def: $vgpr28
.LBB6_15517:                            ;   in Loop: Header=BB6_15184 Depth=2
	s_andn2_saveexec_b64 s[22:23], s[90:91]
; %bb.15518:                            ;   in Loop: Header=BB6_15184 Depth=2
	v_or_b32_e32 v14, 0x7e, v28
; %bb.15519:                            ;   in Loop: Header=BB6_15184 Depth=2
	s_or_b64 exec, exec, s[22:23]
                                        ; implicit-def: $vgpr10
.LBB6_15520:                            ;   in Loop: Header=BB6_15184 Depth=2
	s_andn2_saveexec_b64 s[22:23], s[88:89]
; %bb.15521:                            ;   in Loop: Header=BB6_15184 Depth=2
	v_or_b32_sdwa v14, v10, s39 dst_sel:DWORD dst_unused:UNUSED_PAD src0_sel:BYTE_3 src1_sel:DWORD
; %bb.15522:                            ;   in Loop: Header=BB6_15184 Depth=2
	s_or_b64 exec, exec, s[22:23]
	v_cmp_lt_u64_e32 vcc, s[60:61], v[12:13]
	v_mov_b32_e32 v11, 0
	s_and_saveexec_b64 s[22:23], vcc
	s_cbranch_execz .LBB6_15528
; %bb.15523:                            ;   in Loop: Header=BB6_15184 Depth=2
	v_lshrrev_b32_e32 v10, 24, v13
	v_cmp_ne_u32_e32 vcc, s48, v10
	v_bfrev_b32_e32 v11, 1
	s_and_saveexec_b64 s[88:89], vcc
	s_cbranch_execz .LBB6_15527
; %bb.15524:                            ;   in Loop: Header=BB6_15184 Depth=2
	v_bfe_u32 v12, v13, 24, 7
	v_cmp_ne_u32_e32 vcc, s39, v12
	v_mov_b32_e32 v11, 0x7f800001
	s_and_saveexec_b64 s[90:91], vcc
	s_cbranch_execz .LBB6_15526
; %bb.15525:                            ;   in Loop: Header=BB6_15184 Depth=2
	v_and_b32_e32 v13, 7, v10
	v_ffbh_u32_e32 v11, v13
	v_min_u32_e32 v28, 32, v11
	v_subrev_u32_e32 v11, 28, v28
	v_lshrrev_b32_e32 v15, 3, v12
	v_cmp_gt_u32_e32 vcc, 8, v12
	v_lshlrev_b64 v[11:12], v11, v[10:11]
	v_sub_u32_e32 v12, 29, v28
	v_and_b32_e32 v11, 7, v11
	v_cndmask_b32_e32 v12, v15, v12, vcc
	v_cndmask_b32_e32 v11, v13, v11, vcc
	v_lshlrev_b32_e32 v10, 24, v10
	v_bfrev_b32_e32 v13, 60
	v_lshlrev_b32_e32 v11, 20, v11
	v_and_b32_e32 v10, 0x80000000, v10
	v_lshl_add_u32 v12, v12, 23, v13
	v_or3_b32 v11, v10, v12, v11
.LBB6_15526:                            ;   in Loop: Header=BB6_15184 Depth=2
	s_or_b64 exec, exec, s[90:91]
.LBB6_15527:                            ;   in Loop: Header=BB6_15184 Depth=2
	s_or_b64 exec, exec, s[88:89]
.LBB6_15528:                            ;   in Loop: Header=BB6_15184 Depth=2
	s_or_b64 exec, exec, s[22:23]
	v_mul_f32_e32 v11, v7, v11
	v_and_b32_e32 v52, 0x7f800000, v11
	v_cmp_ne_u64_e32 vcc, s[46:47], v[52:53]
                                        ; implicit-def: $vgpr10
	s_and_saveexec_b64 s[22:23], vcc
	s_xor_b64 s[88:89], exec, s[22:23]
	s_cbranch_execz .LBB6_15542
; %bb.15529:                            ;   in Loop: Header=BB6_15184 Depth=2
	v_and_b32_e32 v52, 0x7fffffff, v11
	v_cmp_gt_u64_e32 vcc, s[56:57], v[52:53]
	v_and_b32_sdwa v7, v11, s48 dst_sel:DWORD dst_unused:UNUSED_PAD src0_sel:BYTE_3 src1_sel:DWORD
                                        ; implicit-def: $vgpr10
	s_and_saveexec_b64 s[22:23], vcc
	s_xor_b64 s[90:91], exec, s[22:23]
	s_cbranch_execz .LBB6_15539
; %bb.15530:                            ;   in Loop: Header=BB6_15184 Depth=2
	v_mov_b32_e32 v10, 0
	v_cmp_ne_u32_e32 vcc, 0, v11
	s_and_saveexec_b64 s[92:93], vcc
	s_cbranch_execz .LBB6_15538
; %bb.15531:                            ;   in Loop: Header=BB6_15184 Depth=2
	v_bfe_u32 v13, v11, 23, 8
	v_and_b32_e32 v10, 0x7fffff, v11
	v_cmp_gt_u32_e64 s[22:23], s49, v13
	v_sub_u32_e32 v11, 0x79, v13
	v_cmp_eq_u32_e32 vcc, 0, v13
	v_cndmask_b32_e64 v11, 0, v11, s[22:23]
	v_mov_b32_e32 v15, 0x78
	v_or_b32_e32 v12, 0x800000, v10
	v_cndmask_b32_e32 v15, v11, v15, vcc
	v_cndmask_b32_e32 v52, v12, v10, vcc
	v_add_u32_e32 v10, 20, v15
	v_lshlrev_b64 v[10:11], v10, -1
	v_add_u32_e32 v12, 19, v15
	v_lshlrev_b64 v[28:29], v12, 1
	v_bfi_b32 v11, v11, 0, 0
	v_bfi_b32 v10, v10, 0, v52
	v_cmp_eq_u64_e64 s[22:23], v[10:11], v[28:29]
	v_lshrrev_b64 v[10:11], v15, v[52:53]
	v_mov_b32_e32 v12, v11
	v_mov_b32_e32 v11, v10
	s_and_saveexec_b64 s[94:95], s[22:23]
; %bb.15532:                            ;   in Loop: Header=BB6_15184 Depth=2
	v_bfe_u32 v11, v10, 20, 1
	v_add_co_u32_e64 v11, s[22:23], v10, v11
	v_add_co_u32_e64 v11, s[22:23], -1, v11
; %bb.15533:                            ;   in Loop: Header=BB6_15184 Depth=2
	s_or_b64 exec, exec, s[94:95]
	v_add_u32_e32 v12, 0xffffff81, v13
	v_mov_b32_e32 v13, 0xffffff82
	v_cndmask_b32_e32 v12, v12, v13, vcc
	v_lshrrev_b32_e32 v13, 23, v10
	v_add3_u32 v15, v15, v12, v13
	v_add_u32_e32 v13, 6, v15
	v_and_b32_e32 v11, 0xfffff, v11
	v_add_u32_e32 v52, v11, v10
	v_cmp_ne_u32_e32 vcc, 0, v13
                                        ; implicit-def: $vgpr10_vgpr11
                                        ; implicit-def: $vgpr12
	s_and_saveexec_b64 s[22:23], vcc
	s_xor_b64 s[22:23], exec, s[22:23]
; %bb.15534:                            ;   in Loop: Header=BB6_15184 Depth=2
	v_cmp_lt_u64_e32 vcc, s[58:59], v[52:53]
	v_add_u32_e32 v10, 7, v15
	v_cndmask_b32_e32 v12, v13, v10, vcc
	v_cndmask_b32_e64 v10, 0, 1, vcc
	v_lshrrev_b64 v[10:11], v10, v[52:53]
; %bb.15535:                            ;   in Loop: Header=BB6_15184 Depth=2
	s_andn2_saveexec_b64 s[22:23], s[22:23]
; %bb.15536:                            ;   in Loop: Header=BB6_15184 Depth=2
	v_mov_b32_e32 v10, v52
	v_bfe_u32 v12, v52, 23, 1
	v_mov_b32_e32 v11, v53
; %bb.15537:                            ;   in Loop: Header=BB6_15184 Depth=2
	s_or_b64 exec, exec, s[22:23]
	v_lshrrev_b64 v[10:11], 20, v[10:11]
	v_cmp_gt_i32_e32 vcc, 16, v12
	v_cndmask_b32_e32 v11, 0, v11, vcc
	v_cndmask_b32_e32 v10, 7, v10, vcc
	v_cmp_eq_u64_e64 s[22:23], 0, v[10:11]
	v_min_i32_e32 v11, 15, v12
	v_lshlrev_b32_e32 v11, 3, v11
	v_cmp_eq_u32_e32 vcc, 0, v12
	v_and_b32_e32 v11, 0xf8, v11
	v_and_or_b32 v10, v10, 7, v11
	s_and_b64 s[22:23], vcc, s[22:23]
	v_cndmask_b32_e64 v10, v10, 0, s[22:23]
	v_or_b32_e32 v10, v10, v7
.LBB6_15538:                            ;   in Loop: Header=BB6_15184 Depth=2
	s_or_b64 exec, exec, s[92:93]
                                        ; implicit-def: $vgpr7
.LBB6_15539:                            ;   in Loop: Header=BB6_15184 Depth=2
	s_andn2_saveexec_b64 s[22:23], s[90:91]
; %bb.15540:                            ;   in Loop: Header=BB6_15184 Depth=2
	v_or_b32_e32 v10, 0x7e, v7
; %bb.15541:                            ;   in Loop: Header=BB6_15184 Depth=2
	s_or_b64 exec, exec, s[22:23]
                                        ; implicit-def: $vgpr11
.LBB6_15542:                            ;   in Loop: Header=BB6_15184 Depth=2
	s_andn2_saveexec_b64 s[22:23], s[88:89]
	s_cbranch_execz .LBB6_15183
; %bb.15543:                            ;   in Loop: Header=BB6_15184 Depth=2
	v_or_b32_sdwa v10, v11, s39 dst_sel:DWORD dst_unused:UNUSED_PAD src0_sel:BYTE_3 src1_sel:DWORD
	s_branch .LBB6_15183
.LBB6_15544:                            ;   in Loop: Header=BB6_12279 Depth=1
	s_or_b64 exec, exec, s[78:79]
.LBB6_15545:                            ;   in Loop: Header=BB6_12279 Depth=1
	s_or_b64 exec, exec, s[76:77]
	buffer_load_dword v5, off, s[0:3], s33 offset:584 ; 4-byte Folded Reload
	v_cmp_lt_i32_e32 vcc, 0, v3
	s_waitcnt vmcnt(0)
	v_and_b32_e32 v4, 15, v5
	v_and_b32_e32 v0, 0x3f0, v5
	v_cndmask_b32_e64 v1, v1, v4, s[20:21]
	v_cndmask_b32_e32 v4, 0, v47, vcc
	v_cndmask_b32_e64 v0, 0, v0, s[20:21]
	v_sub_u32_e32 v3, v4, v3
	v_cmp_ne_u32_e32 vcc, 0, v1
	v_and_or_b32 v0, v5, s51, v0
	v_lshl_add_u32 v2, v3, 6, v2
	s_and_b64 s[20:21], vcc, exec
.LBB6_15546:                            ;   in Loop: Header=BB6_12279 Depth=1
	s_or_b64 exec, exec, s[74:75]
	s_and_saveexec_b64 s[22:23], s[20:21]
	s_cbranch_execz .LBB6_16423
.LBB6_15547:                            ;   in Loop: Header=BB6_12279 Depth=1
	s_waitcnt vmcnt(1)
	v_ashrrev_i32_e32 v3, 31, v2
	v_lshrrev_b32_e32 v3, 26, v3
	v_add_u32_e32 v5, v2, v3
	v_ashrrev_i32_e32 v3, 6, v5
	v_lshrrev_b32_e32 v4, 11, v1
	v_sub_u32_e32 v4, v4, v3
	v_cmp_lt_i32_e32 vcc, 0, v4
	s_and_saveexec_b64 s[74:75], vcc
	s_cbranch_execz .LBB6_16388
; %bb.15548:                            ;   in Loop: Header=BB6_12279 Depth=1
	v_and_b32_e32 v5, 0xffffffc0, v5
	v_sub_u32_e32 v5, v2, v5
	v_lshlrev_b32_e32 v6, 11, v3
	v_add3_u32 v5, v0, v5, v6
	v_ashrrev_i32_e32 v6, 31, v5
	s_mov_b64 s[76:77], 0
	s_branch .LBB6_15550
.LBB6_15549:                            ;   in Loop: Header=BB6_15550 Depth=2
	s_or_b64 exec, exec, s[20:21]
	v_add_co_u32_e32 v50, vcc, v5, v58
	v_addc_co_u32_e32 v51, vcc, v6, v59, vcc
	flat_store_byte v[50:51], v7 glc slc
	flat_store_byte v[50:51], v8 offset:64 glc slc
	flat_store_byte v[50:51], v9 offset:128 glc slc
	;; [unrolled: 1-line block ×31, first 2 shown]
	buffer_load_dword v7, off, s[0:3], s33 offset:516 ; 4-byte Folded Reload
	v_sub_u32_e32 v4, v4, v47
	s_waitcnt vmcnt(0)
	v_add_co_u32_e32 v42, vcc, v42, v7
	v_addc_co_u32_e32 v43, vcc, 0, v43, vcc
	v_cmp_gt_i32_e32 vcc, 1, v4
	s_or_b64 s[76:77], vcc, s[76:77]
	v_add_co_u32_e32 v58, vcc, v58, v7
	v_addc_co_u32_e32 v59, vcc, 0, v59, vcc
	s_andn2_b64 exec, exec, s[76:77]
	s_cbranch_execz .LBB6_16387
.LBB6_15550:                            ;   Parent Loop BB6_12279 Depth=1
                                        ; =>  This Inner Loop Header: Depth=2
	s_trap 2
	ds_read_b64 v[10:11], v0
	s_waitcnt lgkmcnt(0)
	v_cmp_eq_u32_sdwa s[78:79], v10, v53 src0_sel:BYTE_0 src1_sel:DWORD
	v_readfirstlane_b32 s20, v10
	s_and_b64 vcc, exec, s[78:79]
	v_readfirstlane_b32 s21, v11
	s_cbranch_vccnz .LBB6_15554
; %bb.15551:                            ;   in Loop: Header=BB6_15550 Depth=2
	v_cmp_eq_u32_sdwa s[78:79], v10, s48 src0_sel:BYTE_0 src1_sel:DWORD
	s_and_b64 vcc, exec, s[78:79]
	s_brev_b32 s94, 1
	s_cbranch_vccnz .LBB6_15555
; %bb.15552:                            ;   in Loop: Header=BB6_15550 Depth=2
	s_and_b32 s78, s20, 0x7f
	s_cmpk_eq_i32 s78, 0x7f
	s_mov_b32 s94, 0x7f800001
	s_cbranch_scc1 .LBB6_15555
; %bb.15553:                            ;   in Loop: Header=BB6_15550 Depth=2
	s_and_b32 s79, s20, 7
	s_flbit_i32_b32 s79, s79
	s_min_u32 s79, s79, 32
	s_lshr_b32 s88, s78, 3
	s_sub_i32 s89, s79, 28
	s_sub_i32 s79, 29, s79
	s_cmp_lt_u32 s78, 8
	s_cselect_b32 s78, s89, 0
	s_cselect_b32 s88, s79, s88
	s_lshl_b64 s[78:79], s[20:21], s78
	s_lshl_b32 s21, s78, 20
	s_lshl_b32 s20, s20, 24
	;; [unrolled: 1-line block ×3, first 2 shown]
	s_and_b32 s20, s20, 0x80000000
	s_add_i32 s78, s78, 0x3c000000
	s_and_b32 s21, s21, 0x700000
	s_or_b32 s20, s20, s78
	s_or_b32 s94, s20, s21
	s_branch .LBB6_15555
.LBB6_15554:                            ;   in Loop: Header=BB6_15550 Depth=2
	s_mov_b32 s94, 0
.LBB6_15555:                            ;   in Loop: Header=BB6_15550 Depth=2
	v_add_co_u32_e32 v10, vcc, v5, v42
	v_addc_co_u32_e32 v11, vcc, v6, v43, vcc
	flat_load_ubyte v7, v[10:11] glc slc
	v_mov_b32_e32 v8, 0
	s_waitcnt vmcnt(0) lgkmcnt(0)
	v_cmp_ne_u16_e32 vcc, 0, v7
	s_and_saveexec_b64 s[20:21], vcc
	s_cbranch_execz .LBB6_15561
; %bb.15556:                            ;   in Loop: Header=BB6_15550 Depth=2
	v_cmp_ne_u16_e32 vcc, s48, v7
	v_bfrev_b32_e32 v8, 1
	s_and_saveexec_b64 s[78:79], vcc
	s_cbranch_execz .LBB6_15560
; %bb.15557:                            ;   in Loop: Header=BB6_15550 Depth=2
	v_and_b32_e32 v12, 0xffff, v7
	v_and_b32_e32 v9, 0x7f, v12
	v_cmp_ne_u32_e32 vcc, s39, v9
	v_mov_b32_e32 v8, 0x7f800001
	s_and_saveexec_b64 s[88:89], vcc
	s_cbranch_execz .LBB6_15559
; %bb.15558:                            ;   in Loop: Header=BB6_15550 Depth=2
	v_and_b32_e32 v13, 7, v12
	v_ffbh_u32_e32 v8, v13
	v_min_u32_e32 v15, 32, v8
	v_subrev_u32_e32 v8, 28, v15
	v_lshrrev_b32_e32 v14, 3, v9
	v_cmp_gt_u32_e32 vcc, 8, v9
	v_lshlrev_b64 v[8:9], v8, v[12:13]
	v_sub_u32_e32 v9, 29, v15
	v_and_b32_e32 v8, 7, v8
	v_cndmask_b32_e32 v9, v14, v9, vcc
	v_cndmask_b32_e32 v8, v13, v8, vcc
	v_lshlrev_b32_e32 v7, 24, v7
	v_bfrev_b32_e32 v12, 60
	v_lshlrev_b32_e32 v8, 20, v8
	v_and_b32_e32 v7, 0x80000000, v7
	v_lshl_add_u32 v9, v9, 23, v12
	v_or3_b32 v8, v7, v9, v8
.LBB6_15559:                            ;   in Loop: Header=BB6_15550 Depth=2
	s_or_b64 exec, exec, s[88:89]
.LBB6_15560:                            ;   in Loop: Header=BB6_15550 Depth=2
	s_or_b64 exec, exec, s[78:79]
.LBB6_15561:                            ;   in Loop: Header=BB6_15550 Depth=2
	s_or_b64 exec, exec, s[20:21]
	v_mul_f32_e32 v9, s94, v8
	v_and_b32_e32 v52, 0x7f800000, v9
	v_cmp_ne_u64_e32 vcc, s[46:47], v[52:53]
                                        ; implicit-def: $vgpr7
	s_and_saveexec_b64 s[20:21], vcc
	s_xor_b64 s[78:79], exec, s[20:21]
	s_cbranch_execz .LBB6_15579
; %bb.15562:                            ;   in Loop: Header=BB6_15550 Depth=2
	v_and_b32_e32 v52, 0x7fffffff, v9
	v_cmp_gt_u64_e32 vcc, s[56:57], v[52:53]
	v_and_b32_sdwa v8, v9, s48 dst_sel:DWORD dst_unused:UNUSED_PAD src0_sel:BYTE_3 src1_sel:DWORD
                                        ; implicit-def: $vgpr7
	s_and_saveexec_b64 s[20:21], vcc
	s_xor_b64 s[88:89], exec, s[20:21]
	s_cbranch_execz .LBB6_15576
; %bb.15563:                            ;   in Loop: Header=BB6_15550 Depth=2
	v_cmp_ne_u32_e32 vcc, 0, v9
	v_mov_b32_e32 v7, 0
	s_and_saveexec_b64 s[90:91], vcc
	s_cbranch_execz .LBB6_15575
; %bb.15564:                            ;   in Loop: Header=BB6_15550 Depth=2
	v_bfe_u32 v7, v9, 23, 8
	v_and_b32_e32 v12, 0x7fffff, v9
	v_cmp_gt_u32_e64 s[20:21], s49, v7
	v_sub_u32_e32 v9, 0x79, v7
	v_cmp_eq_u32_e32 vcc, 0, v7
	v_cndmask_b32_e64 v9, 0, v9, s[20:21]
	v_mov_b32_e32 v14, 0x78
	v_or_b32_e32 v13, 0x800000, v12
	v_cndmask_b32_e32 v9, v9, v14, vcc
	v_cndmask_b32_e32 v52, v13, v12, vcc
	v_add_u32_e32 v12, 20, v9
	v_lshlrev_b64 v[12:13], v12, -1
	v_add_u32_e32 v14, 19, v9
	v_lshlrev_b64 v[14:15], v14, 1
	v_bfi_b32 v13, v13, 0, 0
	v_bfi_b32 v12, v12, 0, v52
	v_cmp_eq_u64_e64 s[20:21], v[12:13], v[14:15]
	v_lshrrev_b64 v[12:13], v9, v[52:53]
	v_mov_b32_e32 v14, v13
	v_mov_b32_e32 v13, v12
	s_and_saveexec_b64 s[92:93], s[20:21]
; %bb.15565:                            ;   in Loop: Header=BB6_15550 Depth=2
	v_bfe_u32 v13, v12, 20, 1
	v_add_co_u32_e64 v13, s[20:21], v12, v13
	v_add_co_u32_e64 v13, s[20:21], -1, v13
; %bb.15566:                            ;   in Loop: Header=BB6_15550 Depth=2
	s_or_b64 exec, exec, s[92:93]
	v_add_u32_e32 v7, 0xffffff81, v7
	v_mov_b32_e32 v14, 0xffffff82
	v_cndmask_b32_e32 v7, v7, v14, vcc
	v_lshrrev_b32_e32 v14, 23, v12
	v_add3_u32 v14, v9, v7, v14
	v_add_u32_e32 v7, 6, v14
	v_and_b32_e32 v9, 0xfffff, v13
	v_add_u32_e32 v52, v9, v12
	v_cmp_ne_u32_e32 vcc, 0, v7
                                        ; implicit-def: $vgpr12_vgpr13
                                        ; implicit-def: $vgpr9
	s_and_saveexec_b64 s[20:21], vcc
	s_xor_b64 s[20:21], exec, s[20:21]
; %bb.15567:                            ;   in Loop: Header=BB6_15550 Depth=2
	v_cmp_lt_u64_e32 vcc, s[58:59], v[52:53]
	v_add_u32_e32 v9, 7, v14
	v_cndmask_b32_e32 v9, v7, v9, vcc
	v_cndmask_b32_e64 v7, 0, 1, vcc
	v_lshrrev_b64 v[12:13], v7, v[52:53]
; %bb.15568:                            ;   in Loop: Header=BB6_15550 Depth=2
	s_andn2_saveexec_b64 s[20:21], s[20:21]
; %bb.15569:                            ;   in Loop: Header=BB6_15550 Depth=2
	v_mov_b32_e32 v12, v52
	v_bfe_u32 v9, v52, 23, 1
	v_mov_b32_e32 v13, v53
; %bb.15570:                            ;   in Loop: Header=BB6_15550 Depth=2
	s_or_b64 exec, exec, s[20:21]
	v_lshrrev_b64 v[12:13], 20, v[12:13]
	v_cmp_gt_i32_e32 vcc, 16, v9
	v_cndmask_b32_e32 v13, 0, v13, vcc
	v_cndmask_b32_e32 v12, 7, v12, vcc
	v_cmp_ne_u64_e32 vcc, 0, v[12:13]
	v_cmp_ne_u32_e64 s[20:21], 0, v9
	s_or_b64 s[20:21], s[20:21], vcc
                                        ; implicit-def: $vgpr7
	s_and_saveexec_b64 s[92:93], s[20:21]
	s_xor_b64 s[20:21], exec, s[92:93]
; %bb.15571:                            ;   in Loop: Header=BB6_15550 Depth=2
	v_min_i32_e32 v7, 15, v9
	v_lshl_or_b32 v7, v7, 3, v8
	v_and_or_b32 v7, v12, 7, v7
                                        ; implicit-def: $vgpr8
; %bb.15572:                            ;   in Loop: Header=BB6_15550 Depth=2
	s_andn2_saveexec_b64 s[20:21], s[20:21]
; %bb.15573:                            ;   in Loop: Header=BB6_15550 Depth=2
	v_mov_b32_e32 v7, v8
; %bb.15574:                            ;   in Loop: Header=BB6_15550 Depth=2
	s_or_b64 exec, exec, s[20:21]
.LBB6_15575:                            ;   in Loop: Header=BB6_15550 Depth=2
	s_or_b64 exec, exec, s[90:91]
                                        ; implicit-def: $vgpr8
.LBB6_15576:                            ;   in Loop: Header=BB6_15550 Depth=2
	s_andn2_saveexec_b64 s[20:21], s[88:89]
; %bb.15577:                            ;   in Loop: Header=BB6_15550 Depth=2
	v_or_b32_e32 v7, 0x7e, v8
; %bb.15578:                            ;   in Loop: Header=BB6_15550 Depth=2
	s_or_b64 exec, exec, s[20:21]
                                        ; implicit-def: $vgpr9
.LBB6_15579:                            ;   in Loop: Header=BB6_15550 Depth=2
	s_andn2_saveexec_b64 s[20:21], s[78:79]
; %bb.15580:                            ;   in Loop: Header=BB6_15550 Depth=2
	v_or_b32_sdwa v7, v9, s39 dst_sel:DWORD dst_unused:UNUSED_PAD src0_sel:BYTE_3 src1_sel:DWORD
; %bb.15581:                            ;   in Loop: Header=BB6_15550 Depth=2
	s_or_b64 exec, exec, s[20:21]
	flat_load_ubyte v8, v[10:11] offset:64 glc slc
	v_mov_b32_e32 v9, 0
	s_waitcnt vmcnt(0) lgkmcnt(0)
	v_cmp_ne_u16_e32 vcc, 0, v8
	s_and_saveexec_b64 s[20:21], vcc
	s_cbranch_execz .LBB6_15587
; %bb.15582:                            ;   in Loop: Header=BB6_15550 Depth=2
	v_cmp_ne_u16_e32 vcc, s48, v8
	v_bfrev_b32_e32 v9, 1
	s_and_saveexec_b64 s[78:79], vcc
	s_cbranch_execz .LBB6_15586
; %bb.15583:                            ;   in Loop: Header=BB6_15550 Depth=2
	v_and_b32_e32 v12, 0xffff, v8
	v_and_b32_e32 v13, 0x7f, v12
	v_cmp_ne_u32_e32 vcc, s39, v13
	v_mov_b32_e32 v9, 0x7f800001
	s_and_saveexec_b64 s[88:89], vcc
	s_cbranch_execz .LBB6_15585
; %bb.15584:                            ;   in Loop: Header=BB6_15550 Depth=2
	v_and_b32_e32 v9, 7, v12
	v_lshrrev_b32_e32 v14, 3, v13
	v_cmp_gt_u32_e32 vcc, 8, v13
	v_ffbh_u32_e32 v13, v9
	v_min_u32_e32 v15, 32, v13
	v_subrev_u32_e32 v13, 28, v15
	v_lshlrev_b64 v[12:13], v13, v[12:13]
	v_sub_u32_e32 v13, 29, v15
	v_and_b32_e32 v12, 7, v12
	v_cndmask_b32_e32 v13, v14, v13, vcc
	v_cndmask_b32_e32 v9, v9, v12, vcc
	v_lshlrev_b32_e32 v8, 24, v8
	v_bfrev_b32_e32 v12, 60
	v_lshlrev_b32_e32 v9, 20, v9
	v_and_b32_e32 v8, 0x80000000, v8
	v_lshl_add_u32 v12, v13, 23, v12
	v_or3_b32 v9, v8, v12, v9
.LBB6_15585:                            ;   in Loop: Header=BB6_15550 Depth=2
	s_or_b64 exec, exec, s[88:89]
.LBB6_15586:                            ;   in Loop: Header=BB6_15550 Depth=2
	s_or_b64 exec, exec, s[78:79]
.LBB6_15587:                            ;   in Loop: Header=BB6_15550 Depth=2
	s_or_b64 exec, exec, s[20:21]
	v_mul_f32_e32 v12, s94, v9
	v_and_b32_e32 v52, 0x7f800000, v12
	v_cmp_ne_u64_e32 vcc, s[46:47], v[52:53]
                                        ; implicit-def: $vgpr8
	s_and_saveexec_b64 s[20:21], vcc
	s_xor_b64 s[78:79], exec, s[20:21]
	s_cbranch_execz .LBB6_15605
; %bb.15588:                            ;   in Loop: Header=BB6_15550 Depth=2
	v_and_b32_e32 v52, 0x7fffffff, v12
	v_cmp_gt_u64_e32 vcc, s[56:57], v[52:53]
	v_and_b32_sdwa v9, v12, s48 dst_sel:DWORD dst_unused:UNUSED_PAD src0_sel:BYTE_3 src1_sel:DWORD
                                        ; implicit-def: $vgpr8
	s_and_saveexec_b64 s[20:21], vcc
	s_xor_b64 s[88:89], exec, s[20:21]
	s_cbranch_execz .LBB6_15602
; %bb.15589:                            ;   in Loop: Header=BB6_15550 Depth=2
	v_cmp_ne_u32_e32 vcc, 0, v12
	v_mov_b32_e32 v8, 0
	s_and_saveexec_b64 s[90:91], vcc
	s_cbranch_execz .LBB6_15601
; %bb.15590:                            ;   in Loop: Header=BB6_15550 Depth=2
	v_bfe_u32 v8, v12, 23, 8
	v_and_b32_e32 v13, 0x7fffff, v12
	v_cmp_gt_u32_e64 s[20:21], s49, v8
	v_sub_u32_e32 v12, 0x79, v8
	v_cmp_eq_u32_e32 vcc, 0, v8
	v_cndmask_b32_e64 v12, 0, v12, s[20:21]
	v_mov_b32_e32 v15, 0x78
	v_cndmask_b32_e32 v15, v12, v15, vcc
	v_or_b32_e32 v14, 0x800000, v13
	v_add_u32_e32 v12, 20, v15
	v_cndmask_b32_e32 v52, v14, v13, vcc
	v_lshlrev_b64 v[12:13], v12, -1
	v_add_u32_e32 v14, 19, v15
	v_lshlrev_b64 v[16:17], v14, 1
	v_bfi_b32 v13, v13, 0, 0
	v_bfi_b32 v12, v12, 0, v52
	v_cmp_eq_u64_e64 s[20:21], v[12:13], v[16:17]
	v_lshrrev_b64 v[12:13], v15, v[52:53]
	v_mov_b32_e32 v14, v13
	v_mov_b32_e32 v13, v12
	s_and_saveexec_b64 s[92:93], s[20:21]
; %bb.15591:                            ;   in Loop: Header=BB6_15550 Depth=2
	v_bfe_u32 v13, v12, 20, 1
	v_add_co_u32_e64 v13, s[20:21], v12, v13
	v_add_co_u32_e64 v13, s[20:21], -1, v13
; %bb.15592:                            ;   in Loop: Header=BB6_15550 Depth=2
	s_or_b64 exec, exec, s[92:93]
	v_add_u32_e32 v8, 0xffffff81, v8
	v_mov_b32_e32 v14, 0xffffff82
	v_cndmask_b32_e32 v8, v8, v14, vcc
	v_lshrrev_b32_e32 v14, 23, v12
	v_add3_u32 v15, v15, v8, v14
	v_add_u32_e32 v8, 6, v15
	v_and_b32_e32 v13, 0xfffff, v13
	v_add_u32_e32 v52, v13, v12
	v_cmp_ne_u32_e32 vcc, 0, v8
                                        ; implicit-def: $vgpr12_vgpr13
                                        ; implicit-def: $vgpr14
	s_and_saveexec_b64 s[20:21], vcc
	s_xor_b64 s[20:21], exec, s[20:21]
; %bb.15593:                            ;   in Loop: Header=BB6_15550 Depth=2
	v_cmp_lt_u64_e32 vcc, s[58:59], v[52:53]
	v_add_u32_e32 v12, 7, v15
	v_cndmask_b32_e32 v14, v8, v12, vcc
	v_cndmask_b32_e64 v8, 0, 1, vcc
	v_lshrrev_b64 v[12:13], v8, v[52:53]
; %bb.15594:                            ;   in Loop: Header=BB6_15550 Depth=2
	s_andn2_saveexec_b64 s[20:21], s[20:21]
; %bb.15595:                            ;   in Loop: Header=BB6_15550 Depth=2
	v_mov_b32_e32 v12, v52
	v_bfe_u32 v14, v52, 23, 1
	v_mov_b32_e32 v13, v53
; %bb.15596:                            ;   in Loop: Header=BB6_15550 Depth=2
	s_or_b64 exec, exec, s[20:21]
	v_lshrrev_b64 v[12:13], 20, v[12:13]
	v_cmp_gt_i32_e32 vcc, 16, v14
	v_cndmask_b32_e32 v13, 0, v13, vcc
	v_cndmask_b32_e32 v12, 7, v12, vcc
	v_cmp_ne_u64_e32 vcc, 0, v[12:13]
	v_cmp_ne_u32_e64 s[20:21], 0, v14
	s_or_b64 s[20:21], s[20:21], vcc
                                        ; implicit-def: $vgpr8
	s_and_saveexec_b64 s[92:93], s[20:21]
	s_xor_b64 s[20:21], exec, s[92:93]
; %bb.15597:                            ;   in Loop: Header=BB6_15550 Depth=2
	v_min_i32_e32 v8, 15, v14
	v_lshl_or_b32 v8, v8, 3, v9
	v_and_or_b32 v8, v12, 7, v8
                                        ; implicit-def: $vgpr9
; %bb.15598:                            ;   in Loop: Header=BB6_15550 Depth=2
	s_andn2_saveexec_b64 s[20:21], s[20:21]
; %bb.15599:                            ;   in Loop: Header=BB6_15550 Depth=2
	v_mov_b32_e32 v8, v9
; %bb.15600:                            ;   in Loop: Header=BB6_15550 Depth=2
	s_or_b64 exec, exec, s[20:21]
.LBB6_15601:                            ;   in Loop: Header=BB6_15550 Depth=2
	s_or_b64 exec, exec, s[90:91]
                                        ; implicit-def: $vgpr9
.LBB6_15602:                            ;   in Loop: Header=BB6_15550 Depth=2
	s_andn2_saveexec_b64 s[20:21], s[88:89]
; %bb.15603:                            ;   in Loop: Header=BB6_15550 Depth=2
	v_or_b32_e32 v8, 0x7e, v9
; %bb.15604:                            ;   in Loop: Header=BB6_15550 Depth=2
	s_or_b64 exec, exec, s[20:21]
                                        ; implicit-def: $vgpr12
.LBB6_15605:                            ;   in Loop: Header=BB6_15550 Depth=2
	s_andn2_saveexec_b64 s[20:21], s[78:79]
; %bb.15606:                            ;   in Loop: Header=BB6_15550 Depth=2
	v_or_b32_sdwa v8, v12, s39 dst_sel:DWORD dst_unused:UNUSED_PAD src0_sel:BYTE_3 src1_sel:DWORD
; %bb.15607:                            ;   in Loop: Header=BB6_15550 Depth=2
	s_or_b64 exec, exec, s[20:21]
	flat_load_ubyte v9, v[10:11] offset:128 glc slc
	v_mov_b32_e32 v13, 0
	s_waitcnt vmcnt(0) lgkmcnt(0)
	v_cmp_ne_u16_e32 vcc, 0, v9
	s_and_saveexec_b64 s[20:21], vcc
	s_cbranch_execz .LBB6_15613
; %bb.15608:                            ;   in Loop: Header=BB6_15550 Depth=2
	v_cmp_ne_u16_e32 vcc, s48, v9
	v_bfrev_b32_e32 v13, 1
	s_and_saveexec_b64 s[78:79], vcc
	s_cbranch_execz .LBB6_15612
; %bb.15609:                            ;   in Loop: Header=BB6_15550 Depth=2
	v_and_b32_e32 v12, 0xffff, v9
	v_and_b32_e32 v14, 0x7f, v12
	v_cmp_ne_u32_e32 vcc, s39, v14
	v_mov_b32_e32 v13, 0x7f800001
	s_and_saveexec_b64 s[88:89], vcc
	s_cbranch_execz .LBB6_15611
; %bb.15610:                            ;   in Loop: Header=BB6_15550 Depth=2
	v_and_b32_e32 v15, 7, v12
	v_ffbh_u32_e32 v13, v15
	v_lshrrev_b32_e32 v16, 3, v14
	v_cmp_gt_u32_e32 vcc, 8, v14
	v_min_u32_e32 v14, 32, v13
	v_subrev_u32_e32 v13, 28, v14
	v_lshlrev_b64 v[12:13], v13, v[12:13]
	v_sub_u32_e32 v13, 29, v14
	v_and_b32_e32 v12, 7, v12
	v_cndmask_b32_e32 v13, v16, v13, vcc
	v_cndmask_b32_e32 v12, v15, v12, vcc
	v_lshlrev_b32_e32 v9, 24, v9
	v_bfrev_b32_e32 v14, 60
	v_lshlrev_b32_e32 v12, 20, v12
	v_and_b32_e32 v9, 0x80000000, v9
	v_lshl_add_u32 v13, v13, 23, v14
	v_or3_b32 v13, v9, v13, v12
.LBB6_15611:                            ;   in Loop: Header=BB6_15550 Depth=2
	s_or_b64 exec, exec, s[88:89]
.LBB6_15612:                            ;   in Loop: Header=BB6_15550 Depth=2
	s_or_b64 exec, exec, s[78:79]
.LBB6_15613:                            ;   in Loop: Header=BB6_15550 Depth=2
	s_or_b64 exec, exec, s[20:21]
	v_mul_f32_e32 v12, s94, v13
	v_and_b32_e32 v52, 0x7f800000, v12
	v_cmp_ne_u64_e32 vcc, s[46:47], v[52:53]
                                        ; implicit-def: $vgpr9
	s_and_saveexec_b64 s[20:21], vcc
	s_xor_b64 s[78:79], exec, s[20:21]
	s_cbranch_execz .LBB6_15631
; %bb.15614:                            ;   in Loop: Header=BB6_15550 Depth=2
	v_and_b32_e32 v52, 0x7fffffff, v12
	v_cmp_gt_u64_e32 vcc, s[56:57], v[52:53]
	v_and_b32_sdwa v15, v12, s48 dst_sel:DWORD dst_unused:UNUSED_PAD src0_sel:BYTE_3 src1_sel:DWORD
                                        ; implicit-def: $vgpr9
	s_and_saveexec_b64 s[20:21], vcc
	s_xor_b64 s[88:89], exec, s[20:21]
	s_cbranch_execz .LBB6_15628
; %bb.15615:                            ;   in Loop: Header=BB6_15550 Depth=2
	v_cmp_ne_u32_e32 vcc, 0, v12
	v_mov_b32_e32 v9, 0
	s_and_saveexec_b64 s[90:91], vcc
	s_cbranch_execz .LBB6_15627
; %bb.15616:                            ;   in Loop: Header=BB6_15550 Depth=2
	v_bfe_u32 v9, v12, 23, 8
	v_and_b32_e32 v13, 0x7fffff, v12
	v_cmp_gt_u32_e64 s[20:21], s49, v9
	v_sub_u32_e32 v12, 0x79, v9
	v_cmp_eq_u32_e32 vcc, 0, v9
	v_cndmask_b32_e64 v12, 0, v12, s[20:21]
	v_mov_b32_e32 v16, 0x78
	v_cndmask_b32_e32 v16, v12, v16, vcc
	v_or_b32_e32 v14, 0x800000, v13
	v_add_u32_e32 v12, 20, v16
	v_cndmask_b32_e32 v52, v14, v13, vcc
	v_lshlrev_b64 v[12:13], v12, -1
	v_add_u32_e32 v14, 19, v16
	v_lshlrev_b64 v[17:18], v14, 1
	v_bfi_b32 v13, v13, 0, 0
	v_bfi_b32 v12, v12, 0, v52
	v_cmp_eq_u64_e64 s[20:21], v[12:13], v[17:18]
	v_lshrrev_b64 v[12:13], v16, v[52:53]
	v_mov_b32_e32 v14, v13
	v_mov_b32_e32 v13, v12
	s_and_saveexec_b64 s[92:93], s[20:21]
; %bb.15617:                            ;   in Loop: Header=BB6_15550 Depth=2
	v_bfe_u32 v13, v12, 20, 1
	v_add_co_u32_e64 v13, s[20:21], v12, v13
	v_add_co_u32_e64 v13, s[20:21], -1, v13
; %bb.15618:                            ;   in Loop: Header=BB6_15550 Depth=2
	s_or_b64 exec, exec, s[92:93]
	v_add_u32_e32 v9, 0xffffff81, v9
	v_mov_b32_e32 v14, 0xffffff82
	v_cndmask_b32_e32 v9, v9, v14, vcc
	v_lshrrev_b32_e32 v14, 23, v12
	v_add3_u32 v16, v16, v9, v14
	v_add_u32_e32 v9, 6, v16
	v_and_b32_e32 v13, 0xfffff, v13
	v_add_u32_e32 v52, v13, v12
	v_cmp_ne_u32_e32 vcc, 0, v9
                                        ; implicit-def: $vgpr12_vgpr13
                                        ; implicit-def: $vgpr14
	s_and_saveexec_b64 s[20:21], vcc
	s_xor_b64 s[20:21], exec, s[20:21]
; %bb.15619:                            ;   in Loop: Header=BB6_15550 Depth=2
	v_cmp_lt_u64_e32 vcc, s[58:59], v[52:53]
	v_add_u32_e32 v12, 7, v16
	v_cndmask_b32_e32 v14, v9, v12, vcc
	v_cndmask_b32_e64 v9, 0, 1, vcc
	v_lshrrev_b64 v[12:13], v9, v[52:53]
; %bb.15620:                            ;   in Loop: Header=BB6_15550 Depth=2
	s_andn2_saveexec_b64 s[20:21], s[20:21]
; %bb.15621:                            ;   in Loop: Header=BB6_15550 Depth=2
	v_mov_b32_e32 v12, v52
	v_mov_b32_e32 v13, v53
	v_bfe_u32 v14, v52, 23, 1
; %bb.15622:                            ;   in Loop: Header=BB6_15550 Depth=2
	s_or_b64 exec, exec, s[20:21]
	v_lshrrev_b64 v[12:13], 20, v[12:13]
	v_cmp_gt_i32_e32 vcc, 16, v14
	v_cndmask_b32_e32 v13, 0, v13, vcc
	v_cndmask_b32_e32 v12, 7, v12, vcc
	v_cmp_ne_u64_e32 vcc, 0, v[12:13]
	v_cmp_ne_u32_e64 s[20:21], 0, v14
	s_or_b64 s[20:21], s[20:21], vcc
                                        ; implicit-def: $vgpr9
	s_and_saveexec_b64 s[92:93], s[20:21]
	s_xor_b64 s[20:21], exec, s[92:93]
; %bb.15623:                            ;   in Loop: Header=BB6_15550 Depth=2
	v_min_i32_e32 v9, 15, v14
	v_lshl_or_b32 v9, v9, 3, v15
	v_and_or_b32 v9, v12, 7, v9
                                        ; implicit-def: $vgpr15
; %bb.15624:                            ;   in Loop: Header=BB6_15550 Depth=2
	s_andn2_saveexec_b64 s[20:21], s[20:21]
; %bb.15625:                            ;   in Loop: Header=BB6_15550 Depth=2
	v_mov_b32_e32 v9, v15
; %bb.15626:                            ;   in Loop: Header=BB6_15550 Depth=2
	s_or_b64 exec, exec, s[20:21]
.LBB6_15627:                            ;   in Loop: Header=BB6_15550 Depth=2
	s_or_b64 exec, exec, s[90:91]
                                        ; implicit-def: $vgpr15
.LBB6_15628:                            ;   in Loop: Header=BB6_15550 Depth=2
	s_andn2_saveexec_b64 s[20:21], s[88:89]
; %bb.15629:                            ;   in Loop: Header=BB6_15550 Depth=2
	v_or_b32_e32 v9, 0x7e, v15
; %bb.15630:                            ;   in Loop: Header=BB6_15550 Depth=2
	s_or_b64 exec, exec, s[20:21]
                                        ; implicit-def: $vgpr12
.LBB6_15631:                            ;   in Loop: Header=BB6_15550 Depth=2
	s_andn2_saveexec_b64 s[20:21], s[78:79]
; %bb.15632:                            ;   in Loop: Header=BB6_15550 Depth=2
	v_or_b32_sdwa v9, v12, s39 dst_sel:DWORD dst_unused:UNUSED_PAD src0_sel:BYTE_3 src1_sel:DWORD
; %bb.15633:                            ;   in Loop: Header=BB6_15550 Depth=2
	s_or_b64 exec, exec, s[20:21]
	flat_load_ubyte v13, v[10:11] offset:192 glc slc
	v_mov_b32_e32 v14, 0
	s_waitcnt vmcnt(0) lgkmcnt(0)
	v_cmp_ne_u16_e32 vcc, 0, v13
	s_and_saveexec_b64 s[20:21], vcc
	s_cbranch_execz .LBB6_15639
; %bb.15634:                            ;   in Loop: Header=BB6_15550 Depth=2
	v_cmp_ne_u16_e32 vcc, s48, v13
	v_bfrev_b32_e32 v14, 1
	s_and_saveexec_b64 s[78:79], vcc
	s_cbranch_execz .LBB6_15638
; %bb.15635:                            ;   in Loop: Header=BB6_15550 Depth=2
	v_and_b32_e32 v12, 0xffff, v13
	v_and_b32_e32 v15, 0x7f, v12
	v_cmp_ne_u32_e32 vcc, s39, v15
	v_mov_b32_e32 v14, 0x7f800001
	s_and_saveexec_b64 s[88:89], vcc
	s_cbranch_execz .LBB6_15637
; %bb.15636:                            ;   in Loop: Header=BB6_15550 Depth=2
	v_and_b32_e32 v16, 7, v12
	v_ffbh_u32_e32 v14, v16
	v_min_u32_e32 v18, 32, v14
	v_subrev_u32_e32 v14, 28, v18
	v_lshrrev_b32_e32 v17, 3, v15
	v_cmp_gt_u32_e32 vcc, 8, v15
	v_lshlrev_b64 v[14:15], v14, v[12:13]
	v_sub_u32_e32 v12, 29, v18
	v_and_b32_e32 v14, 7, v14
	v_cndmask_b32_e32 v12, v17, v12, vcc
	v_cndmask_b32_e32 v14, v16, v14, vcc
	v_lshlrev_b32_e32 v13, 24, v13
	v_bfrev_b32_e32 v15, 60
	v_lshlrev_b32_e32 v14, 20, v14
	v_and_b32_e32 v13, 0x80000000, v13
	v_lshl_add_u32 v12, v12, 23, v15
	v_or3_b32 v14, v13, v12, v14
.LBB6_15637:                            ;   in Loop: Header=BB6_15550 Depth=2
	s_or_b64 exec, exec, s[88:89]
.LBB6_15638:                            ;   in Loop: Header=BB6_15550 Depth=2
	s_or_b64 exec, exec, s[78:79]
.LBB6_15639:                            ;   in Loop: Header=BB6_15550 Depth=2
	s_or_b64 exec, exec, s[20:21]
	v_mul_f32_e32 v12, s94, v14
	v_and_b32_e32 v52, 0x7f800000, v12
	v_cmp_ne_u64_e32 vcc, s[46:47], v[52:53]
                                        ; implicit-def: $vgpr15
	s_and_saveexec_b64 s[20:21], vcc
	s_xor_b64 s[78:79], exec, s[20:21]
	s_cbranch_execz .LBB6_15657
; %bb.15640:                            ;   in Loop: Header=BB6_15550 Depth=2
	v_and_b32_e32 v52, 0x7fffffff, v12
	v_cmp_gt_u64_e32 vcc, s[56:57], v[52:53]
	v_and_b32_sdwa v16, v12, s48 dst_sel:DWORD dst_unused:UNUSED_PAD src0_sel:BYTE_3 src1_sel:DWORD
                                        ; implicit-def: $vgpr15
	s_and_saveexec_b64 s[20:21], vcc
	s_xor_b64 s[88:89], exec, s[20:21]
	s_cbranch_execz .LBB6_15654
; %bb.15641:                            ;   in Loop: Header=BB6_15550 Depth=2
	v_cmp_ne_u32_e32 vcc, 0, v12
	v_mov_b32_e32 v15, 0
	s_and_saveexec_b64 s[90:91], vcc
	s_cbranch_execz .LBB6_15653
; %bb.15642:                            ;   in Loop: Header=BB6_15550 Depth=2
	v_bfe_u32 v15, v12, 23, 8
	v_and_b32_e32 v13, 0x7fffff, v12
	v_cmp_gt_u32_e64 s[20:21], s49, v15
	v_sub_u32_e32 v12, 0x79, v15
	v_cmp_eq_u32_e32 vcc, 0, v15
	v_cndmask_b32_e64 v12, 0, v12, s[20:21]
	v_mov_b32_e32 v17, 0x78
	v_cndmask_b32_e32 v17, v12, v17, vcc
	v_or_b32_e32 v14, 0x800000, v13
	v_add_u32_e32 v12, 20, v17
	v_cndmask_b32_e32 v52, v14, v13, vcc
	v_lshlrev_b64 v[12:13], v12, -1
	v_add_u32_e32 v14, 19, v17
	v_lshlrev_b64 v[18:19], v14, 1
	v_bfi_b32 v13, v13, 0, 0
	v_bfi_b32 v12, v12, 0, v52
	v_cmp_eq_u64_e64 s[20:21], v[12:13], v[18:19]
	v_lshrrev_b64 v[12:13], v17, v[52:53]
	v_mov_b32_e32 v14, v13
	v_mov_b32_e32 v13, v12
	s_and_saveexec_b64 s[92:93], s[20:21]
; %bb.15643:                            ;   in Loop: Header=BB6_15550 Depth=2
	v_bfe_u32 v13, v12, 20, 1
	v_add_co_u32_e64 v13, s[20:21], v12, v13
	v_add_co_u32_e64 v13, s[20:21], -1, v13
; %bb.15644:                            ;   in Loop: Header=BB6_15550 Depth=2
	s_or_b64 exec, exec, s[92:93]
	v_add_u32_e32 v14, 0xffffff81, v15
	v_mov_b32_e32 v15, 0xffffff82
	v_cndmask_b32_e32 v14, v14, v15, vcc
	v_lshrrev_b32_e32 v15, 23, v12
	v_add3_u32 v17, v17, v14, v15
	v_add_u32_e32 v15, 6, v17
	v_and_b32_e32 v13, 0xfffff, v13
	v_add_u32_e32 v52, v13, v12
	v_cmp_ne_u32_e32 vcc, 0, v15
                                        ; implicit-def: $vgpr12_vgpr13
                                        ; implicit-def: $vgpr14
	s_and_saveexec_b64 s[20:21], vcc
	s_xor_b64 s[20:21], exec, s[20:21]
; %bb.15645:                            ;   in Loop: Header=BB6_15550 Depth=2
	v_cmp_lt_u64_e32 vcc, s[58:59], v[52:53]
	v_add_u32_e32 v12, 7, v17
	v_cndmask_b32_e32 v14, v15, v12, vcc
	v_cndmask_b32_e64 v12, 0, 1, vcc
	v_lshrrev_b64 v[12:13], v12, v[52:53]
; %bb.15646:                            ;   in Loop: Header=BB6_15550 Depth=2
	s_andn2_saveexec_b64 s[20:21], s[20:21]
; %bb.15647:                            ;   in Loop: Header=BB6_15550 Depth=2
	v_mov_b32_e32 v12, v52
	v_mov_b32_e32 v13, v53
	v_bfe_u32 v14, v52, 23, 1
; %bb.15648:                            ;   in Loop: Header=BB6_15550 Depth=2
	s_or_b64 exec, exec, s[20:21]
	v_lshrrev_b64 v[12:13], 20, v[12:13]
	v_cmp_gt_i32_e32 vcc, 16, v14
	v_cndmask_b32_e32 v13, 0, v13, vcc
	v_cndmask_b32_e32 v12, 7, v12, vcc
	v_cmp_ne_u64_e32 vcc, 0, v[12:13]
	v_cmp_ne_u32_e64 s[20:21], 0, v14
	s_or_b64 s[20:21], s[20:21], vcc
                                        ; implicit-def: $vgpr15
	s_and_saveexec_b64 s[92:93], s[20:21]
	s_xor_b64 s[20:21], exec, s[92:93]
; %bb.15649:                            ;   in Loop: Header=BB6_15550 Depth=2
	v_min_i32_e32 v13, 15, v14
	v_lshl_or_b32 v13, v13, 3, v16
	v_and_or_b32 v15, v12, 7, v13
                                        ; implicit-def: $vgpr16
; %bb.15650:                            ;   in Loop: Header=BB6_15550 Depth=2
	s_andn2_saveexec_b64 s[20:21], s[20:21]
; %bb.15651:                            ;   in Loop: Header=BB6_15550 Depth=2
	v_mov_b32_e32 v15, v16
; %bb.15652:                            ;   in Loop: Header=BB6_15550 Depth=2
	s_or_b64 exec, exec, s[20:21]
.LBB6_15653:                            ;   in Loop: Header=BB6_15550 Depth=2
	s_or_b64 exec, exec, s[90:91]
                                        ; implicit-def: $vgpr16
.LBB6_15654:                            ;   in Loop: Header=BB6_15550 Depth=2
	s_andn2_saveexec_b64 s[20:21], s[88:89]
; %bb.15655:                            ;   in Loop: Header=BB6_15550 Depth=2
	v_or_b32_e32 v15, 0x7e, v16
; %bb.15656:                            ;   in Loop: Header=BB6_15550 Depth=2
	s_or_b64 exec, exec, s[20:21]
                                        ; implicit-def: $vgpr12
.LBB6_15657:                            ;   in Loop: Header=BB6_15550 Depth=2
	s_andn2_saveexec_b64 s[20:21], s[78:79]
; %bb.15658:                            ;   in Loop: Header=BB6_15550 Depth=2
	v_or_b32_sdwa v15, v12, s39 dst_sel:DWORD dst_unused:UNUSED_PAD src0_sel:BYTE_3 src1_sel:DWORD
; %bb.15659:                            ;   in Loop: Header=BB6_15550 Depth=2
	s_or_b64 exec, exec, s[20:21]
	flat_load_ubyte v13, v[10:11] offset:256 glc slc
	v_mov_b32_e32 v14, 0
	s_waitcnt vmcnt(0) lgkmcnt(0)
	v_cmp_ne_u16_e32 vcc, 0, v13
	s_and_saveexec_b64 s[20:21], vcc
	s_cbranch_execz .LBB6_15665
; %bb.15660:                            ;   in Loop: Header=BB6_15550 Depth=2
	v_cmp_ne_u16_e32 vcc, s48, v13
	v_bfrev_b32_e32 v14, 1
	s_and_saveexec_b64 s[78:79], vcc
	s_cbranch_execz .LBB6_15664
; %bb.15661:                            ;   in Loop: Header=BB6_15550 Depth=2
	v_and_b32_e32 v12, 0xffff, v13
	v_and_b32_e32 v16, 0x7f, v12
	v_cmp_ne_u32_e32 vcc, s39, v16
	v_mov_b32_e32 v14, 0x7f800001
	s_and_saveexec_b64 s[88:89], vcc
	s_cbranch_execz .LBB6_15663
; %bb.15662:                            ;   in Loop: Header=BB6_15550 Depth=2
	v_and_b32_e32 v14, 7, v12
	v_lshrrev_b32_e32 v18, 3, v16
	v_cmp_gt_u32_e32 vcc, 8, v16
	v_ffbh_u32_e32 v16, v14
	v_min_u32_e32 v19, 32, v16
	v_subrev_u32_e32 v16, 28, v19
	v_lshlrev_b64 v[16:17], v16, v[12:13]
	v_sub_u32_e32 v12, 29, v19
	v_and_b32_e32 v16, 7, v16
	v_cndmask_b32_e32 v12, v18, v12, vcc
	v_cndmask_b32_e32 v14, v14, v16, vcc
	v_lshlrev_b32_e32 v13, 24, v13
	v_bfrev_b32_e32 v16, 60
	v_lshlrev_b32_e32 v14, 20, v14
	v_and_b32_e32 v13, 0x80000000, v13
	v_lshl_add_u32 v12, v12, 23, v16
	v_or3_b32 v14, v13, v12, v14
.LBB6_15663:                            ;   in Loop: Header=BB6_15550 Depth=2
	s_or_b64 exec, exec, s[88:89]
.LBB6_15664:                            ;   in Loop: Header=BB6_15550 Depth=2
	s_or_b64 exec, exec, s[78:79]
.LBB6_15665:                            ;   in Loop: Header=BB6_15550 Depth=2
	s_or_b64 exec, exec, s[20:21]
	v_mul_f32_e32 v12, s94, v14
	v_and_b32_e32 v52, 0x7f800000, v12
	v_cmp_ne_u64_e32 vcc, s[46:47], v[52:53]
                                        ; implicit-def: $vgpr16
	s_and_saveexec_b64 s[20:21], vcc
	s_xor_b64 s[78:79], exec, s[20:21]
	s_cbranch_execz .LBB6_15683
; %bb.15666:                            ;   in Loop: Header=BB6_15550 Depth=2
	v_and_b32_e32 v52, 0x7fffffff, v12
	v_cmp_gt_u64_e32 vcc, s[56:57], v[52:53]
	v_and_b32_sdwa v17, v12, s48 dst_sel:DWORD dst_unused:UNUSED_PAD src0_sel:BYTE_3 src1_sel:DWORD
                                        ; implicit-def: $vgpr16
	s_and_saveexec_b64 s[20:21], vcc
	s_xor_b64 s[88:89], exec, s[20:21]
	s_cbranch_execz .LBB6_15680
; %bb.15667:                            ;   in Loop: Header=BB6_15550 Depth=2
	v_cmp_ne_u32_e32 vcc, 0, v12
	v_mov_b32_e32 v16, 0
	s_and_saveexec_b64 s[90:91], vcc
	s_cbranch_execz .LBB6_15679
; %bb.15668:                            ;   in Loop: Header=BB6_15550 Depth=2
	v_bfe_u32 v16, v12, 23, 8
	v_and_b32_e32 v13, 0x7fffff, v12
	v_cmp_gt_u32_e64 s[20:21], s49, v16
	v_sub_u32_e32 v12, 0x79, v16
	v_cmp_eq_u32_e32 vcc, 0, v16
	v_cndmask_b32_e64 v12, 0, v12, s[20:21]
	v_mov_b32_e32 v18, 0x78
	v_cndmask_b32_e32 v18, v12, v18, vcc
	v_or_b32_e32 v14, 0x800000, v13
	v_add_u32_e32 v12, 20, v18
	v_cndmask_b32_e32 v52, v14, v13, vcc
	v_lshlrev_b64 v[12:13], v12, -1
	v_add_u32_e32 v14, 19, v18
	v_lshlrev_b64 v[19:20], v14, 1
	v_bfi_b32 v13, v13, 0, 0
	v_bfi_b32 v12, v12, 0, v52
	v_cmp_eq_u64_e64 s[20:21], v[12:13], v[19:20]
	v_lshrrev_b64 v[12:13], v18, v[52:53]
	v_mov_b32_e32 v14, v13
	v_mov_b32_e32 v13, v12
	s_and_saveexec_b64 s[92:93], s[20:21]
; %bb.15669:                            ;   in Loop: Header=BB6_15550 Depth=2
	v_bfe_u32 v13, v12, 20, 1
	v_add_co_u32_e64 v13, s[20:21], v12, v13
	v_add_co_u32_e64 v13, s[20:21], -1, v13
; %bb.15670:                            ;   in Loop: Header=BB6_15550 Depth=2
	s_or_b64 exec, exec, s[92:93]
	v_add_u32_e32 v14, 0xffffff81, v16
	v_mov_b32_e32 v16, 0xffffff82
	v_cndmask_b32_e32 v14, v14, v16, vcc
	v_lshrrev_b32_e32 v16, 23, v12
	v_add3_u32 v18, v18, v14, v16
	v_add_u32_e32 v16, 6, v18
	v_and_b32_e32 v13, 0xfffff, v13
	v_add_u32_e32 v52, v13, v12
	v_cmp_ne_u32_e32 vcc, 0, v16
                                        ; implicit-def: $vgpr12_vgpr13
                                        ; implicit-def: $vgpr14
	s_and_saveexec_b64 s[20:21], vcc
	s_xor_b64 s[20:21], exec, s[20:21]
; %bb.15671:                            ;   in Loop: Header=BB6_15550 Depth=2
	v_cmp_lt_u64_e32 vcc, s[58:59], v[52:53]
	v_add_u32_e32 v12, 7, v18
	v_cndmask_b32_e32 v14, v16, v12, vcc
	v_cndmask_b32_e64 v12, 0, 1, vcc
	v_lshrrev_b64 v[12:13], v12, v[52:53]
; %bb.15672:                            ;   in Loop: Header=BB6_15550 Depth=2
	s_andn2_saveexec_b64 s[20:21], s[20:21]
; %bb.15673:                            ;   in Loop: Header=BB6_15550 Depth=2
	v_mov_b32_e32 v12, v52
	v_mov_b32_e32 v13, v53
	v_bfe_u32 v14, v52, 23, 1
; %bb.15674:                            ;   in Loop: Header=BB6_15550 Depth=2
	s_or_b64 exec, exec, s[20:21]
	v_lshrrev_b64 v[12:13], 20, v[12:13]
	v_cmp_gt_i32_e32 vcc, 16, v14
	v_cndmask_b32_e32 v13, 0, v13, vcc
	v_cndmask_b32_e32 v12, 7, v12, vcc
	v_cmp_ne_u64_e32 vcc, 0, v[12:13]
	v_cmp_ne_u32_e64 s[20:21], 0, v14
	s_or_b64 s[20:21], s[20:21], vcc
                                        ; implicit-def: $vgpr16
	s_and_saveexec_b64 s[92:93], s[20:21]
	s_xor_b64 s[20:21], exec, s[92:93]
; %bb.15675:                            ;   in Loop: Header=BB6_15550 Depth=2
	v_min_i32_e32 v13, 15, v14
	v_lshl_or_b32 v13, v13, 3, v17
	v_and_or_b32 v16, v12, 7, v13
                                        ; implicit-def: $vgpr17
; %bb.15676:                            ;   in Loop: Header=BB6_15550 Depth=2
	s_andn2_saveexec_b64 s[20:21], s[20:21]
; %bb.15677:                            ;   in Loop: Header=BB6_15550 Depth=2
	v_mov_b32_e32 v16, v17
; %bb.15678:                            ;   in Loop: Header=BB6_15550 Depth=2
	s_or_b64 exec, exec, s[20:21]
.LBB6_15679:                            ;   in Loop: Header=BB6_15550 Depth=2
	s_or_b64 exec, exec, s[90:91]
                                        ; implicit-def: $vgpr17
.LBB6_15680:                            ;   in Loop: Header=BB6_15550 Depth=2
	s_andn2_saveexec_b64 s[20:21], s[88:89]
; %bb.15681:                            ;   in Loop: Header=BB6_15550 Depth=2
	v_or_b32_e32 v16, 0x7e, v17
; %bb.15682:                            ;   in Loop: Header=BB6_15550 Depth=2
	s_or_b64 exec, exec, s[20:21]
                                        ; implicit-def: $vgpr12
.LBB6_15683:                            ;   in Loop: Header=BB6_15550 Depth=2
	s_andn2_saveexec_b64 s[20:21], s[78:79]
; %bb.15684:                            ;   in Loop: Header=BB6_15550 Depth=2
	v_or_b32_sdwa v16, v12, s39 dst_sel:DWORD dst_unused:UNUSED_PAD src0_sel:BYTE_3 src1_sel:DWORD
; %bb.15685:                            ;   in Loop: Header=BB6_15550 Depth=2
	s_or_b64 exec, exec, s[20:21]
	flat_load_ubyte v13, v[10:11] offset:320 glc slc
	v_mov_b32_e32 v14, 0
	s_waitcnt vmcnt(0) lgkmcnt(0)
	v_cmp_ne_u16_e32 vcc, 0, v13
	s_and_saveexec_b64 s[20:21], vcc
	s_cbranch_execz .LBB6_15691
; %bb.15686:                            ;   in Loop: Header=BB6_15550 Depth=2
	v_cmp_ne_u16_e32 vcc, s48, v13
	v_bfrev_b32_e32 v14, 1
	s_and_saveexec_b64 s[78:79], vcc
	s_cbranch_execz .LBB6_15690
; %bb.15687:                            ;   in Loop: Header=BB6_15550 Depth=2
	v_and_b32_e32 v12, 0xffff, v13
	v_and_b32_e32 v17, 0x7f, v12
	v_cmp_ne_u32_e32 vcc, s39, v17
	v_mov_b32_e32 v14, 0x7f800001
	s_and_saveexec_b64 s[88:89], vcc
	s_cbranch_execz .LBB6_15689
; %bb.15688:                            ;   in Loop: Header=BB6_15550 Depth=2
	v_and_b32_e32 v14, 7, v12
	v_lshrrev_b32_e32 v19, 3, v17
	v_cmp_gt_u32_e32 vcc, 8, v17
	v_ffbh_u32_e32 v17, v14
	v_min_u32_e32 v20, 32, v17
	v_subrev_u32_e32 v17, 28, v20
	v_lshlrev_b64 v[17:18], v17, v[12:13]
	v_sub_u32_e32 v12, 29, v20
	v_and_b32_e32 v17, 7, v17
	v_cndmask_b32_e32 v12, v19, v12, vcc
	v_cndmask_b32_e32 v14, v14, v17, vcc
	v_lshlrev_b32_e32 v13, 24, v13
	v_bfrev_b32_e32 v17, 60
	v_lshlrev_b32_e32 v14, 20, v14
	v_and_b32_e32 v13, 0x80000000, v13
	v_lshl_add_u32 v12, v12, 23, v17
	v_or3_b32 v14, v13, v12, v14
.LBB6_15689:                            ;   in Loop: Header=BB6_15550 Depth=2
	s_or_b64 exec, exec, s[88:89]
.LBB6_15690:                            ;   in Loop: Header=BB6_15550 Depth=2
	s_or_b64 exec, exec, s[78:79]
.LBB6_15691:                            ;   in Loop: Header=BB6_15550 Depth=2
	s_or_b64 exec, exec, s[20:21]
	v_mul_f32_e32 v12, s94, v14
	v_and_b32_e32 v52, 0x7f800000, v12
	v_cmp_ne_u64_e32 vcc, s[46:47], v[52:53]
                                        ; implicit-def: $vgpr17
	s_and_saveexec_b64 s[20:21], vcc
	s_xor_b64 s[78:79], exec, s[20:21]
	s_cbranch_execz .LBB6_15709
; %bb.15692:                            ;   in Loop: Header=BB6_15550 Depth=2
	v_and_b32_e32 v52, 0x7fffffff, v12
	v_cmp_gt_u64_e32 vcc, s[56:57], v[52:53]
	v_and_b32_sdwa v18, v12, s48 dst_sel:DWORD dst_unused:UNUSED_PAD src0_sel:BYTE_3 src1_sel:DWORD
                                        ; implicit-def: $vgpr17
	s_and_saveexec_b64 s[20:21], vcc
	s_xor_b64 s[88:89], exec, s[20:21]
	s_cbranch_execz .LBB6_15706
; %bb.15693:                            ;   in Loop: Header=BB6_15550 Depth=2
	v_cmp_ne_u32_e32 vcc, 0, v12
	v_mov_b32_e32 v17, 0
	s_and_saveexec_b64 s[90:91], vcc
	s_cbranch_execz .LBB6_15705
; %bb.15694:                            ;   in Loop: Header=BB6_15550 Depth=2
	v_bfe_u32 v17, v12, 23, 8
	v_and_b32_e32 v13, 0x7fffff, v12
	v_cmp_gt_u32_e64 s[20:21], s49, v17
	v_sub_u32_e32 v12, 0x79, v17
	v_cmp_eq_u32_e32 vcc, 0, v17
	v_cndmask_b32_e64 v12, 0, v12, s[20:21]
	v_mov_b32_e32 v19, 0x78
	v_cndmask_b32_e32 v19, v12, v19, vcc
	v_or_b32_e32 v14, 0x800000, v13
	v_add_u32_e32 v12, 20, v19
	v_cndmask_b32_e32 v52, v14, v13, vcc
	v_lshlrev_b64 v[12:13], v12, -1
	v_add_u32_e32 v14, 19, v19
	v_lshlrev_b64 v[20:21], v14, 1
	v_bfi_b32 v13, v13, 0, 0
	v_bfi_b32 v12, v12, 0, v52
	v_cmp_eq_u64_e64 s[20:21], v[12:13], v[20:21]
	v_lshrrev_b64 v[12:13], v19, v[52:53]
	v_mov_b32_e32 v14, v13
	v_mov_b32_e32 v13, v12
	s_and_saveexec_b64 s[92:93], s[20:21]
; %bb.15695:                            ;   in Loop: Header=BB6_15550 Depth=2
	v_bfe_u32 v13, v12, 20, 1
	v_add_co_u32_e64 v13, s[20:21], v12, v13
	v_add_co_u32_e64 v13, s[20:21], -1, v13
; %bb.15696:                            ;   in Loop: Header=BB6_15550 Depth=2
	s_or_b64 exec, exec, s[92:93]
	v_add_u32_e32 v14, 0xffffff81, v17
	v_mov_b32_e32 v17, 0xffffff82
	v_cndmask_b32_e32 v14, v14, v17, vcc
	v_lshrrev_b32_e32 v17, 23, v12
	v_add3_u32 v19, v19, v14, v17
	v_add_u32_e32 v17, 6, v19
	v_and_b32_e32 v13, 0xfffff, v13
	v_add_u32_e32 v52, v13, v12
	v_cmp_ne_u32_e32 vcc, 0, v17
                                        ; implicit-def: $vgpr12_vgpr13
                                        ; implicit-def: $vgpr14
	s_and_saveexec_b64 s[20:21], vcc
	s_xor_b64 s[20:21], exec, s[20:21]
; %bb.15697:                            ;   in Loop: Header=BB6_15550 Depth=2
	v_cmp_lt_u64_e32 vcc, s[58:59], v[52:53]
	v_add_u32_e32 v12, 7, v19
	v_cndmask_b32_e32 v14, v17, v12, vcc
	v_cndmask_b32_e64 v12, 0, 1, vcc
	v_lshrrev_b64 v[12:13], v12, v[52:53]
; %bb.15698:                            ;   in Loop: Header=BB6_15550 Depth=2
	s_andn2_saveexec_b64 s[20:21], s[20:21]
; %bb.15699:                            ;   in Loop: Header=BB6_15550 Depth=2
	v_mov_b32_e32 v12, v52
	v_mov_b32_e32 v13, v53
	v_bfe_u32 v14, v52, 23, 1
; %bb.15700:                            ;   in Loop: Header=BB6_15550 Depth=2
	s_or_b64 exec, exec, s[20:21]
	v_lshrrev_b64 v[12:13], 20, v[12:13]
	v_cmp_gt_i32_e32 vcc, 16, v14
	v_cndmask_b32_e32 v13, 0, v13, vcc
	v_cndmask_b32_e32 v12, 7, v12, vcc
	v_cmp_ne_u64_e32 vcc, 0, v[12:13]
	v_cmp_ne_u32_e64 s[20:21], 0, v14
	s_or_b64 s[20:21], s[20:21], vcc
                                        ; implicit-def: $vgpr17
	s_and_saveexec_b64 s[92:93], s[20:21]
	s_xor_b64 s[20:21], exec, s[92:93]
; %bb.15701:                            ;   in Loop: Header=BB6_15550 Depth=2
	v_min_i32_e32 v13, 15, v14
	v_lshl_or_b32 v13, v13, 3, v18
	v_and_or_b32 v17, v12, 7, v13
                                        ; implicit-def: $vgpr18
; %bb.15702:                            ;   in Loop: Header=BB6_15550 Depth=2
	s_andn2_saveexec_b64 s[20:21], s[20:21]
; %bb.15703:                            ;   in Loop: Header=BB6_15550 Depth=2
	v_mov_b32_e32 v17, v18
; %bb.15704:                            ;   in Loop: Header=BB6_15550 Depth=2
	s_or_b64 exec, exec, s[20:21]
.LBB6_15705:                            ;   in Loop: Header=BB6_15550 Depth=2
	s_or_b64 exec, exec, s[90:91]
                                        ; implicit-def: $vgpr18
.LBB6_15706:                            ;   in Loop: Header=BB6_15550 Depth=2
	s_andn2_saveexec_b64 s[20:21], s[88:89]
; %bb.15707:                            ;   in Loop: Header=BB6_15550 Depth=2
	v_or_b32_e32 v17, 0x7e, v18
; %bb.15708:                            ;   in Loop: Header=BB6_15550 Depth=2
	s_or_b64 exec, exec, s[20:21]
                                        ; implicit-def: $vgpr12
.LBB6_15709:                            ;   in Loop: Header=BB6_15550 Depth=2
	s_andn2_saveexec_b64 s[20:21], s[78:79]
; %bb.15710:                            ;   in Loop: Header=BB6_15550 Depth=2
	v_or_b32_sdwa v17, v12, s39 dst_sel:DWORD dst_unused:UNUSED_PAD src0_sel:BYTE_3 src1_sel:DWORD
; %bb.15711:                            ;   in Loop: Header=BB6_15550 Depth=2
	s_or_b64 exec, exec, s[20:21]
	flat_load_ubyte v13, v[10:11] offset:384 glc slc
	v_mov_b32_e32 v14, 0
	s_waitcnt vmcnt(0) lgkmcnt(0)
	v_cmp_ne_u16_e32 vcc, 0, v13
	s_and_saveexec_b64 s[20:21], vcc
	s_cbranch_execz .LBB6_15717
; %bb.15712:                            ;   in Loop: Header=BB6_15550 Depth=2
	v_cmp_ne_u16_e32 vcc, s48, v13
	v_bfrev_b32_e32 v14, 1
	s_and_saveexec_b64 s[78:79], vcc
	s_cbranch_execz .LBB6_15716
; %bb.15713:                            ;   in Loop: Header=BB6_15550 Depth=2
	v_and_b32_e32 v12, 0xffff, v13
	v_and_b32_e32 v18, 0x7f, v12
	v_cmp_ne_u32_e32 vcc, s39, v18
	v_mov_b32_e32 v14, 0x7f800001
	s_and_saveexec_b64 s[88:89], vcc
	s_cbranch_execz .LBB6_15715
; %bb.15714:                            ;   in Loop: Header=BB6_15550 Depth=2
	v_and_b32_e32 v14, 7, v12
	v_lshrrev_b32_e32 v20, 3, v18
	v_cmp_gt_u32_e32 vcc, 8, v18
	v_ffbh_u32_e32 v18, v14
	v_min_u32_e32 v21, 32, v18
	v_subrev_u32_e32 v18, 28, v21
	v_lshlrev_b64 v[18:19], v18, v[12:13]
	v_sub_u32_e32 v12, 29, v21
	v_and_b32_e32 v18, 7, v18
	v_cndmask_b32_e32 v12, v20, v12, vcc
	v_cndmask_b32_e32 v14, v14, v18, vcc
	v_lshlrev_b32_e32 v13, 24, v13
	v_bfrev_b32_e32 v18, 60
	v_lshlrev_b32_e32 v14, 20, v14
	v_and_b32_e32 v13, 0x80000000, v13
	v_lshl_add_u32 v12, v12, 23, v18
	v_or3_b32 v14, v13, v12, v14
.LBB6_15715:                            ;   in Loop: Header=BB6_15550 Depth=2
	s_or_b64 exec, exec, s[88:89]
.LBB6_15716:                            ;   in Loop: Header=BB6_15550 Depth=2
	s_or_b64 exec, exec, s[78:79]
.LBB6_15717:                            ;   in Loop: Header=BB6_15550 Depth=2
	s_or_b64 exec, exec, s[20:21]
	v_mul_f32_e32 v12, s94, v14
	v_and_b32_e32 v52, 0x7f800000, v12
	v_cmp_ne_u64_e32 vcc, s[46:47], v[52:53]
                                        ; implicit-def: $vgpr18
	s_and_saveexec_b64 s[20:21], vcc
	s_xor_b64 s[78:79], exec, s[20:21]
	s_cbranch_execz .LBB6_15735
; %bb.15718:                            ;   in Loop: Header=BB6_15550 Depth=2
	v_and_b32_e32 v52, 0x7fffffff, v12
	v_cmp_gt_u64_e32 vcc, s[56:57], v[52:53]
	v_and_b32_sdwa v19, v12, s48 dst_sel:DWORD dst_unused:UNUSED_PAD src0_sel:BYTE_3 src1_sel:DWORD
                                        ; implicit-def: $vgpr18
	s_and_saveexec_b64 s[20:21], vcc
	s_xor_b64 s[88:89], exec, s[20:21]
	s_cbranch_execz .LBB6_15732
; %bb.15719:                            ;   in Loop: Header=BB6_15550 Depth=2
	v_cmp_ne_u32_e32 vcc, 0, v12
	v_mov_b32_e32 v18, 0
	s_and_saveexec_b64 s[90:91], vcc
	s_cbranch_execz .LBB6_15731
; %bb.15720:                            ;   in Loop: Header=BB6_15550 Depth=2
	v_bfe_u32 v18, v12, 23, 8
	v_and_b32_e32 v13, 0x7fffff, v12
	v_cmp_gt_u32_e64 s[20:21], s49, v18
	v_sub_u32_e32 v12, 0x79, v18
	v_cmp_eq_u32_e32 vcc, 0, v18
	v_cndmask_b32_e64 v12, 0, v12, s[20:21]
	v_mov_b32_e32 v20, 0x78
	v_cndmask_b32_e32 v20, v12, v20, vcc
	v_or_b32_e32 v14, 0x800000, v13
	v_add_u32_e32 v12, 20, v20
	v_cndmask_b32_e32 v52, v14, v13, vcc
	v_lshlrev_b64 v[12:13], v12, -1
	v_add_u32_e32 v14, 19, v20
	v_lshlrev_b64 v[21:22], v14, 1
	v_bfi_b32 v13, v13, 0, 0
	v_bfi_b32 v12, v12, 0, v52
	v_cmp_eq_u64_e64 s[20:21], v[12:13], v[21:22]
	v_lshrrev_b64 v[12:13], v20, v[52:53]
	v_mov_b32_e32 v14, v13
	v_mov_b32_e32 v13, v12
	s_and_saveexec_b64 s[92:93], s[20:21]
; %bb.15721:                            ;   in Loop: Header=BB6_15550 Depth=2
	v_bfe_u32 v13, v12, 20, 1
	v_add_co_u32_e64 v13, s[20:21], v12, v13
	v_add_co_u32_e64 v13, s[20:21], -1, v13
; %bb.15722:                            ;   in Loop: Header=BB6_15550 Depth=2
	s_or_b64 exec, exec, s[92:93]
	v_add_u32_e32 v14, 0xffffff81, v18
	v_mov_b32_e32 v18, 0xffffff82
	v_cndmask_b32_e32 v14, v14, v18, vcc
	v_lshrrev_b32_e32 v18, 23, v12
	v_add3_u32 v20, v20, v14, v18
	v_add_u32_e32 v18, 6, v20
	v_and_b32_e32 v13, 0xfffff, v13
	v_add_u32_e32 v52, v13, v12
	v_cmp_ne_u32_e32 vcc, 0, v18
                                        ; implicit-def: $vgpr12_vgpr13
                                        ; implicit-def: $vgpr14
	s_and_saveexec_b64 s[20:21], vcc
	s_xor_b64 s[20:21], exec, s[20:21]
; %bb.15723:                            ;   in Loop: Header=BB6_15550 Depth=2
	v_cmp_lt_u64_e32 vcc, s[58:59], v[52:53]
	v_add_u32_e32 v12, 7, v20
	v_cndmask_b32_e32 v14, v18, v12, vcc
	v_cndmask_b32_e64 v12, 0, 1, vcc
	v_lshrrev_b64 v[12:13], v12, v[52:53]
; %bb.15724:                            ;   in Loop: Header=BB6_15550 Depth=2
	s_andn2_saveexec_b64 s[20:21], s[20:21]
; %bb.15725:                            ;   in Loop: Header=BB6_15550 Depth=2
	v_mov_b32_e32 v12, v52
	v_mov_b32_e32 v13, v53
	v_bfe_u32 v14, v52, 23, 1
; %bb.15726:                            ;   in Loop: Header=BB6_15550 Depth=2
	s_or_b64 exec, exec, s[20:21]
	v_lshrrev_b64 v[12:13], 20, v[12:13]
	v_cmp_gt_i32_e32 vcc, 16, v14
	v_cndmask_b32_e32 v13, 0, v13, vcc
	v_cndmask_b32_e32 v12, 7, v12, vcc
	v_cmp_ne_u64_e32 vcc, 0, v[12:13]
	v_cmp_ne_u32_e64 s[20:21], 0, v14
	s_or_b64 s[20:21], s[20:21], vcc
                                        ; implicit-def: $vgpr18
	s_and_saveexec_b64 s[92:93], s[20:21]
	s_xor_b64 s[20:21], exec, s[92:93]
; %bb.15727:                            ;   in Loop: Header=BB6_15550 Depth=2
	v_min_i32_e32 v13, 15, v14
	v_lshl_or_b32 v13, v13, 3, v19
	v_and_or_b32 v18, v12, 7, v13
                                        ; implicit-def: $vgpr19
; %bb.15728:                            ;   in Loop: Header=BB6_15550 Depth=2
	s_andn2_saveexec_b64 s[20:21], s[20:21]
; %bb.15729:                            ;   in Loop: Header=BB6_15550 Depth=2
	v_mov_b32_e32 v18, v19
; %bb.15730:                            ;   in Loop: Header=BB6_15550 Depth=2
	s_or_b64 exec, exec, s[20:21]
.LBB6_15731:                            ;   in Loop: Header=BB6_15550 Depth=2
	s_or_b64 exec, exec, s[90:91]
                                        ; implicit-def: $vgpr19
.LBB6_15732:                            ;   in Loop: Header=BB6_15550 Depth=2
	s_andn2_saveexec_b64 s[20:21], s[88:89]
; %bb.15733:                            ;   in Loop: Header=BB6_15550 Depth=2
	v_or_b32_e32 v18, 0x7e, v19
; %bb.15734:                            ;   in Loop: Header=BB6_15550 Depth=2
	s_or_b64 exec, exec, s[20:21]
                                        ; implicit-def: $vgpr12
.LBB6_15735:                            ;   in Loop: Header=BB6_15550 Depth=2
	s_andn2_saveexec_b64 s[20:21], s[78:79]
; %bb.15736:                            ;   in Loop: Header=BB6_15550 Depth=2
	v_or_b32_sdwa v18, v12, s39 dst_sel:DWORD dst_unused:UNUSED_PAD src0_sel:BYTE_3 src1_sel:DWORD
; %bb.15737:                            ;   in Loop: Header=BB6_15550 Depth=2
	s_or_b64 exec, exec, s[20:21]
	flat_load_ubyte v13, v[10:11] offset:448 glc slc
	v_mov_b32_e32 v14, 0
	s_waitcnt vmcnt(0) lgkmcnt(0)
	v_cmp_ne_u16_e32 vcc, 0, v13
	s_and_saveexec_b64 s[20:21], vcc
	s_cbranch_execz .LBB6_15743
; %bb.15738:                            ;   in Loop: Header=BB6_15550 Depth=2
	v_cmp_ne_u16_e32 vcc, s48, v13
	v_bfrev_b32_e32 v14, 1
	s_and_saveexec_b64 s[78:79], vcc
	s_cbranch_execz .LBB6_15742
; %bb.15739:                            ;   in Loop: Header=BB6_15550 Depth=2
	v_and_b32_e32 v12, 0xffff, v13
	v_and_b32_e32 v19, 0x7f, v12
	v_cmp_ne_u32_e32 vcc, s39, v19
	v_mov_b32_e32 v14, 0x7f800001
	s_and_saveexec_b64 s[88:89], vcc
	s_cbranch_execz .LBB6_15741
; %bb.15740:                            ;   in Loop: Header=BB6_15550 Depth=2
	v_and_b32_e32 v14, 7, v12
	v_lshrrev_b32_e32 v21, 3, v19
	v_cmp_gt_u32_e32 vcc, 8, v19
	v_ffbh_u32_e32 v19, v14
	v_min_u32_e32 v22, 32, v19
	v_subrev_u32_e32 v19, 28, v22
	v_lshlrev_b64 v[19:20], v19, v[12:13]
	v_sub_u32_e32 v12, 29, v22
	v_and_b32_e32 v19, 7, v19
	v_cndmask_b32_e32 v12, v21, v12, vcc
	v_cndmask_b32_e32 v14, v14, v19, vcc
	v_lshlrev_b32_e32 v13, 24, v13
	v_bfrev_b32_e32 v19, 60
	v_lshlrev_b32_e32 v14, 20, v14
	v_and_b32_e32 v13, 0x80000000, v13
	v_lshl_add_u32 v12, v12, 23, v19
	v_or3_b32 v14, v13, v12, v14
.LBB6_15741:                            ;   in Loop: Header=BB6_15550 Depth=2
	s_or_b64 exec, exec, s[88:89]
.LBB6_15742:                            ;   in Loop: Header=BB6_15550 Depth=2
	s_or_b64 exec, exec, s[78:79]
.LBB6_15743:                            ;   in Loop: Header=BB6_15550 Depth=2
	s_or_b64 exec, exec, s[20:21]
	v_mul_f32_e32 v12, s94, v14
	v_and_b32_e32 v52, 0x7f800000, v12
	v_cmp_ne_u64_e32 vcc, s[46:47], v[52:53]
                                        ; implicit-def: $vgpr19
	s_and_saveexec_b64 s[20:21], vcc
	s_xor_b64 s[78:79], exec, s[20:21]
	s_cbranch_execz .LBB6_15761
; %bb.15744:                            ;   in Loop: Header=BB6_15550 Depth=2
	v_and_b32_e32 v52, 0x7fffffff, v12
	v_cmp_gt_u64_e32 vcc, s[56:57], v[52:53]
	v_and_b32_sdwa v20, v12, s48 dst_sel:DWORD dst_unused:UNUSED_PAD src0_sel:BYTE_3 src1_sel:DWORD
                                        ; implicit-def: $vgpr19
	s_and_saveexec_b64 s[20:21], vcc
	s_xor_b64 s[88:89], exec, s[20:21]
	s_cbranch_execz .LBB6_15758
; %bb.15745:                            ;   in Loop: Header=BB6_15550 Depth=2
	v_cmp_ne_u32_e32 vcc, 0, v12
	v_mov_b32_e32 v19, 0
	s_and_saveexec_b64 s[90:91], vcc
	s_cbranch_execz .LBB6_15757
; %bb.15746:                            ;   in Loop: Header=BB6_15550 Depth=2
	v_bfe_u32 v19, v12, 23, 8
	v_and_b32_e32 v13, 0x7fffff, v12
	v_cmp_gt_u32_e64 s[20:21], s49, v19
	v_sub_u32_e32 v12, 0x79, v19
	v_cmp_eq_u32_e32 vcc, 0, v19
	v_cndmask_b32_e64 v12, 0, v12, s[20:21]
	v_mov_b32_e32 v21, 0x78
	v_cndmask_b32_e32 v21, v12, v21, vcc
	v_or_b32_e32 v14, 0x800000, v13
	v_add_u32_e32 v12, 20, v21
	v_cndmask_b32_e32 v52, v14, v13, vcc
	v_lshlrev_b64 v[12:13], v12, -1
	v_add_u32_e32 v14, 19, v21
	v_lshlrev_b64 v[22:23], v14, 1
	v_bfi_b32 v13, v13, 0, 0
	v_bfi_b32 v12, v12, 0, v52
	v_cmp_eq_u64_e64 s[20:21], v[12:13], v[22:23]
	v_lshrrev_b64 v[12:13], v21, v[52:53]
	v_mov_b32_e32 v14, v13
	v_mov_b32_e32 v13, v12
	s_and_saveexec_b64 s[92:93], s[20:21]
; %bb.15747:                            ;   in Loop: Header=BB6_15550 Depth=2
	v_bfe_u32 v13, v12, 20, 1
	v_add_co_u32_e64 v13, s[20:21], v12, v13
	v_add_co_u32_e64 v13, s[20:21], -1, v13
; %bb.15748:                            ;   in Loop: Header=BB6_15550 Depth=2
	s_or_b64 exec, exec, s[92:93]
	v_add_u32_e32 v14, 0xffffff81, v19
	v_mov_b32_e32 v19, 0xffffff82
	v_cndmask_b32_e32 v14, v14, v19, vcc
	v_lshrrev_b32_e32 v19, 23, v12
	v_add3_u32 v21, v21, v14, v19
	v_add_u32_e32 v19, 6, v21
	v_and_b32_e32 v13, 0xfffff, v13
	v_add_u32_e32 v52, v13, v12
	v_cmp_ne_u32_e32 vcc, 0, v19
                                        ; implicit-def: $vgpr12_vgpr13
                                        ; implicit-def: $vgpr14
	s_and_saveexec_b64 s[20:21], vcc
	s_xor_b64 s[20:21], exec, s[20:21]
; %bb.15749:                            ;   in Loop: Header=BB6_15550 Depth=2
	v_cmp_lt_u64_e32 vcc, s[58:59], v[52:53]
	v_add_u32_e32 v12, 7, v21
	v_cndmask_b32_e32 v14, v19, v12, vcc
	v_cndmask_b32_e64 v12, 0, 1, vcc
	v_lshrrev_b64 v[12:13], v12, v[52:53]
; %bb.15750:                            ;   in Loop: Header=BB6_15550 Depth=2
	s_andn2_saveexec_b64 s[20:21], s[20:21]
; %bb.15751:                            ;   in Loop: Header=BB6_15550 Depth=2
	v_mov_b32_e32 v12, v52
	v_mov_b32_e32 v13, v53
	v_bfe_u32 v14, v52, 23, 1
; %bb.15752:                            ;   in Loop: Header=BB6_15550 Depth=2
	s_or_b64 exec, exec, s[20:21]
	v_lshrrev_b64 v[12:13], 20, v[12:13]
	v_cmp_gt_i32_e32 vcc, 16, v14
	v_cndmask_b32_e32 v13, 0, v13, vcc
	v_cndmask_b32_e32 v12, 7, v12, vcc
	v_cmp_ne_u64_e32 vcc, 0, v[12:13]
	v_cmp_ne_u32_e64 s[20:21], 0, v14
	s_or_b64 s[20:21], s[20:21], vcc
                                        ; implicit-def: $vgpr19
	s_and_saveexec_b64 s[92:93], s[20:21]
	s_xor_b64 s[20:21], exec, s[92:93]
; %bb.15753:                            ;   in Loop: Header=BB6_15550 Depth=2
	v_min_i32_e32 v13, 15, v14
	v_lshl_or_b32 v13, v13, 3, v20
	v_and_or_b32 v19, v12, 7, v13
                                        ; implicit-def: $vgpr20
; %bb.15754:                            ;   in Loop: Header=BB6_15550 Depth=2
	s_andn2_saveexec_b64 s[20:21], s[20:21]
; %bb.15755:                            ;   in Loop: Header=BB6_15550 Depth=2
	v_mov_b32_e32 v19, v20
; %bb.15756:                            ;   in Loop: Header=BB6_15550 Depth=2
	s_or_b64 exec, exec, s[20:21]
.LBB6_15757:                            ;   in Loop: Header=BB6_15550 Depth=2
	s_or_b64 exec, exec, s[90:91]
                                        ; implicit-def: $vgpr20
.LBB6_15758:                            ;   in Loop: Header=BB6_15550 Depth=2
	s_andn2_saveexec_b64 s[20:21], s[88:89]
; %bb.15759:                            ;   in Loop: Header=BB6_15550 Depth=2
	v_or_b32_e32 v19, 0x7e, v20
; %bb.15760:                            ;   in Loop: Header=BB6_15550 Depth=2
	s_or_b64 exec, exec, s[20:21]
                                        ; implicit-def: $vgpr12
.LBB6_15761:                            ;   in Loop: Header=BB6_15550 Depth=2
	s_andn2_saveexec_b64 s[20:21], s[78:79]
; %bb.15762:                            ;   in Loop: Header=BB6_15550 Depth=2
	v_or_b32_sdwa v19, v12, s39 dst_sel:DWORD dst_unused:UNUSED_PAD src0_sel:BYTE_3 src1_sel:DWORD
; %bb.15763:                            ;   in Loop: Header=BB6_15550 Depth=2
	s_or_b64 exec, exec, s[20:21]
	flat_load_ubyte v13, v[10:11] offset:512 glc slc
	v_mov_b32_e32 v14, 0
	s_waitcnt vmcnt(0) lgkmcnt(0)
	v_cmp_ne_u16_e32 vcc, 0, v13
	s_and_saveexec_b64 s[20:21], vcc
	s_cbranch_execz .LBB6_15769
; %bb.15764:                            ;   in Loop: Header=BB6_15550 Depth=2
	v_cmp_ne_u16_e32 vcc, s48, v13
	v_bfrev_b32_e32 v14, 1
	s_and_saveexec_b64 s[78:79], vcc
	s_cbranch_execz .LBB6_15768
; %bb.15765:                            ;   in Loop: Header=BB6_15550 Depth=2
	v_and_b32_e32 v12, 0xffff, v13
	v_and_b32_e32 v20, 0x7f, v12
	v_cmp_ne_u32_e32 vcc, s39, v20
	v_mov_b32_e32 v14, 0x7f800001
	s_and_saveexec_b64 s[88:89], vcc
	s_cbranch_execz .LBB6_15767
; %bb.15766:                            ;   in Loop: Header=BB6_15550 Depth=2
	v_and_b32_e32 v14, 7, v12
	v_lshrrev_b32_e32 v22, 3, v20
	v_cmp_gt_u32_e32 vcc, 8, v20
	v_ffbh_u32_e32 v20, v14
	v_min_u32_e32 v23, 32, v20
	v_subrev_u32_e32 v20, 28, v23
	v_lshlrev_b64 v[20:21], v20, v[12:13]
	v_sub_u32_e32 v12, 29, v23
	v_and_b32_e32 v20, 7, v20
	v_cndmask_b32_e32 v12, v22, v12, vcc
	v_cndmask_b32_e32 v14, v14, v20, vcc
	v_lshlrev_b32_e32 v13, 24, v13
	v_bfrev_b32_e32 v20, 60
	v_lshlrev_b32_e32 v14, 20, v14
	v_and_b32_e32 v13, 0x80000000, v13
	v_lshl_add_u32 v12, v12, 23, v20
	v_or3_b32 v14, v13, v12, v14
.LBB6_15767:                            ;   in Loop: Header=BB6_15550 Depth=2
	s_or_b64 exec, exec, s[88:89]
.LBB6_15768:                            ;   in Loop: Header=BB6_15550 Depth=2
	s_or_b64 exec, exec, s[78:79]
.LBB6_15769:                            ;   in Loop: Header=BB6_15550 Depth=2
	s_or_b64 exec, exec, s[20:21]
	v_mul_f32_e32 v12, s94, v14
	v_and_b32_e32 v52, 0x7f800000, v12
	v_cmp_ne_u64_e32 vcc, s[46:47], v[52:53]
                                        ; implicit-def: $vgpr20
	s_and_saveexec_b64 s[20:21], vcc
	s_xor_b64 s[78:79], exec, s[20:21]
	s_cbranch_execz .LBB6_15787
; %bb.15770:                            ;   in Loop: Header=BB6_15550 Depth=2
	v_and_b32_e32 v52, 0x7fffffff, v12
	v_cmp_gt_u64_e32 vcc, s[56:57], v[52:53]
	v_and_b32_sdwa v21, v12, s48 dst_sel:DWORD dst_unused:UNUSED_PAD src0_sel:BYTE_3 src1_sel:DWORD
                                        ; implicit-def: $vgpr20
	s_and_saveexec_b64 s[20:21], vcc
	s_xor_b64 s[88:89], exec, s[20:21]
	s_cbranch_execz .LBB6_15784
; %bb.15771:                            ;   in Loop: Header=BB6_15550 Depth=2
	v_cmp_ne_u32_e32 vcc, 0, v12
	v_mov_b32_e32 v20, 0
	s_and_saveexec_b64 s[90:91], vcc
	s_cbranch_execz .LBB6_15783
; %bb.15772:                            ;   in Loop: Header=BB6_15550 Depth=2
	v_bfe_u32 v20, v12, 23, 8
	v_and_b32_e32 v13, 0x7fffff, v12
	v_cmp_gt_u32_e64 s[20:21], s49, v20
	v_sub_u32_e32 v12, 0x79, v20
	v_cmp_eq_u32_e32 vcc, 0, v20
	v_cndmask_b32_e64 v12, 0, v12, s[20:21]
	v_mov_b32_e32 v22, 0x78
	v_cndmask_b32_e32 v22, v12, v22, vcc
	v_or_b32_e32 v14, 0x800000, v13
	v_add_u32_e32 v12, 20, v22
	v_cndmask_b32_e32 v52, v14, v13, vcc
	v_lshlrev_b64 v[12:13], v12, -1
	v_add_u32_e32 v14, 19, v22
	v_lshlrev_b64 v[23:24], v14, 1
	v_bfi_b32 v13, v13, 0, 0
	v_bfi_b32 v12, v12, 0, v52
	v_cmp_eq_u64_e64 s[20:21], v[12:13], v[23:24]
	v_lshrrev_b64 v[12:13], v22, v[52:53]
	v_mov_b32_e32 v14, v13
	v_mov_b32_e32 v13, v12
	s_and_saveexec_b64 s[92:93], s[20:21]
; %bb.15773:                            ;   in Loop: Header=BB6_15550 Depth=2
	v_bfe_u32 v13, v12, 20, 1
	v_add_co_u32_e64 v13, s[20:21], v12, v13
	v_add_co_u32_e64 v13, s[20:21], -1, v13
; %bb.15774:                            ;   in Loop: Header=BB6_15550 Depth=2
	s_or_b64 exec, exec, s[92:93]
	v_add_u32_e32 v14, 0xffffff81, v20
	v_mov_b32_e32 v20, 0xffffff82
	v_cndmask_b32_e32 v14, v14, v20, vcc
	v_lshrrev_b32_e32 v20, 23, v12
	v_add3_u32 v22, v22, v14, v20
	v_add_u32_e32 v20, 6, v22
	v_and_b32_e32 v13, 0xfffff, v13
	v_add_u32_e32 v52, v13, v12
	v_cmp_ne_u32_e32 vcc, 0, v20
                                        ; implicit-def: $vgpr12_vgpr13
                                        ; implicit-def: $vgpr14
	s_and_saveexec_b64 s[20:21], vcc
	s_xor_b64 s[20:21], exec, s[20:21]
; %bb.15775:                            ;   in Loop: Header=BB6_15550 Depth=2
	v_cmp_lt_u64_e32 vcc, s[58:59], v[52:53]
	v_add_u32_e32 v12, 7, v22
	v_cndmask_b32_e32 v14, v20, v12, vcc
	v_cndmask_b32_e64 v12, 0, 1, vcc
	v_lshrrev_b64 v[12:13], v12, v[52:53]
; %bb.15776:                            ;   in Loop: Header=BB6_15550 Depth=2
	s_andn2_saveexec_b64 s[20:21], s[20:21]
; %bb.15777:                            ;   in Loop: Header=BB6_15550 Depth=2
	v_mov_b32_e32 v12, v52
	v_mov_b32_e32 v13, v53
	v_bfe_u32 v14, v52, 23, 1
; %bb.15778:                            ;   in Loop: Header=BB6_15550 Depth=2
	s_or_b64 exec, exec, s[20:21]
	v_lshrrev_b64 v[12:13], 20, v[12:13]
	v_cmp_gt_i32_e32 vcc, 16, v14
	v_cndmask_b32_e32 v13, 0, v13, vcc
	v_cndmask_b32_e32 v12, 7, v12, vcc
	v_cmp_ne_u64_e32 vcc, 0, v[12:13]
	v_cmp_ne_u32_e64 s[20:21], 0, v14
	s_or_b64 s[20:21], s[20:21], vcc
                                        ; implicit-def: $vgpr20
	s_and_saveexec_b64 s[92:93], s[20:21]
	s_xor_b64 s[20:21], exec, s[92:93]
; %bb.15779:                            ;   in Loop: Header=BB6_15550 Depth=2
	v_min_i32_e32 v13, 15, v14
	v_lshl_or_b32 v13, v13, 3, v21
	v_and_or_b32 v20, v12, 7, v13
                                        ; implicit-def: $vgpr21
; %bb.15780:                            ;   in Loop: Header=BB6_15550 Depth=2
	s_andn2_saveexec_b64 s[20:21], s[20:21]
; %bb.15781:                            ;   in Loop: Header=BB6_15550 Depth=2
	v_mov_b32_e32 v20, v21
; %bb.15782:                            ;   in Loop: Header=BB6_15550 Depth=2
	s_or_b64 exec, exec, s[20:21]
.LBB6_15783:                            ;   in Loop: Header=BB6_15550 Depth=2
	s_or_b64 exec, exec, s[90:91]
                                        ; implicit-def: $vgpr21
.LBB6_15784:                            ;   in Loop: Header=BB6_15550 Depth=2
	s_andn2_saveexec_b64 s[20:21], s[88:89]
; %bb.15785:                            ;   in Loop: Header=BB6_15550 Depth=2
	v_or_b32_e32 v20, 0x7e, v21
; %bb.15786:                            ;   in Loop: Header=BB6_15550 Depth=2
	s_or_b64 exec, exec, s[20:21]
                                        ; implicit-def: $vgpr12
.LBB6_15787:                            ;   in Loop: Header=BB6_15550 Depth=2
	s_andn2_saveexec_b64 s[20:21], s[78:79]
; %bb.15788:                            ;   in Loop: Header=BB6_15550 Depth=2
	v_or_b32_sdwa v20, v12, s39 dst_sel:DWORD dst_unused:UNUSED_PAD src0_sel:BYTE_3 src1_sel:DWORD
; %bb.15789:                            ;   in Loop: Header=BB6_15550 Depth=2
	s_or_b64 exec, exec, s[20:21]
	flat_load_ubyte v13, v[10:11] offset:576 glc slc
	v_mov_b32_e32 v14, 0
	s_waitcnt vmcnt(0) lgkmcnt(0)
	v_cmp_ne_u16_e32 vcc, 0, v13
	s_and_saveexec_b64 s[20:21], vcc
	s_cbranch_execz .LBB6_15795
; %bb.15790:                            ;   in Loop: Header=BB6_15550 Depth=2
	v_cmp_ne_u16_e32 vcc, s48, v13
	v_bfrev_b32_e32 v14, 1
	s_and_saveexec_b64 s[78:79], vcc
	s_cbranch_execz .LBB6_15794
; %bb.15791:                            ;   in Loop: Header=BB6_15550 Depth=2
	v_and_b32_e32 v12, 0xffff, v13
	v_and_b32_e32 v21, 0x7f, v12
	v_cmp_ne_u32_e32 vcc, s39, v21
	v_mov_b32_e32 v14, 0x7f800001
	s_and_saveexec_b64 s[88:89], vcc
	s_cbranch_execz .LBB6_15793
; %bb.15792:                            ;   in Loop: Header=BB6_15550 Depth=2
	v_and_b32_e32 v14, 7, v12
	v_lshrrev_b32_e32 v23, 3, v21
	v_cmp_gt_u32_e32 vcc, 8, v21
	v_ffbh_u32_e32 v21, v14
	v_min_u32_e32 v24, 32, v21
	v_subrev_u32_e32 v21, 28, v24
	v_lshlrev_b64 v[21:22], v21, v[12:13]
	v_sub_u32_e32 v12, 29, v24
	v_and_b32_e32 v21, 7, v21
	v_cndmask_b32_e32 v12, v23, v12, vcc
	v_cndmask_b32_e32 v14, v14, v21, vcc
	v_lshlrev_b32_e32 v13, 24, v13
	v_bfrev_b32_e32 v21, 60
	v_lshlrev_b32_e32 v14, 20, v14
	v_and_b32_e32 v13, 0x80000000, v13
	v_lshl_add_u32 v12, v12, 23, v21
	v_or3_b32 v14, v13, v12, v14
.LBB6_15793:                            ;   in Loop: Header=BB6_15550 Depth=2
	s_or_b64 exec, exec, s[88:89]
.LBB6_15794:                            ;   in Loop: Header=BB6_15550 Depth=2
	s_or_b64 exec, exec, s[78:79]
.LBB6_15795:                            ;   in Loop: Header=BB6_15550 Depth=2
	s_or_b64 exec, exec, s[20:21]
	v_mul_f32_e32 v12, s94, v14
	v_and_b32_e32 v52, 0x7f800000, v12
	v_cmp_ne_u64_e32 vcc, s[46:47], v[52:53]
                                        ; implicit-def: $vgpr21
	s_and_saveexec_b64 s[20:21], vcc
	s_xor_b64 s[78:79], exec, s[20:21]
	s_cbranch_execz .LBB6_15813
; %bb.15796:                            ;   in Loop: Header=BB6_15550 Depth=2
	v_and_b32_e32 v52, 0x7fffffff, v12
	v_cmp_gt_u64_e32 vcc, s[56:57], v[52:53]
	v_and_b32_sdwa v22, v12, s48 dst_sel:DWORD dst_unused:UNUSED_PAD src0_sel:BYTE_3 src1_sel:DWORD
                                        ; implicit-def: $vgpr21
	s_and_saveexec_b64 s[20:21], vcc
	s_xor_b64 s[88:89], exec, s[20:21]
	s_cbranch_execz .LBB6_15810
; %bb.15797:                            ;   in Loop: Header=BB6_15550 Depth=2
	v_cmp_ne_u32_e32 vcc, 0, v12
	v_mov_b32_e32 v21, 0
	s_and_saveexec_b64 s[90:91], vcc
	s_cbranch_execz .LBB6_15809
; %bb.15798:                            ;   in Loop: Header=BB6_15550 Depth=2
	v_bfe_u32 v21, v12, 23, 8
	v_and_b32_e32 v13, 0x7fffff, v12
	v_cmp_gt_u32_e64 s[20:21], s49, v21
	v_sub_u32_e32 v12, 0x79, v21
	v_cmp_eq_u32_e32 vcc, 0, v21
	v_cndmask_b32_e64 v12, 0, v12, s[20:21]
	v_mov_b32_e32 v23, 0x78
	v_cndmask_b32_e32 v23, v12, v23, vcc
	v_or_b32_e32 v14, 0x800000, v13
	v_add_u32_e32 v12, 20, v23
	v_cndmask_b32_e32 v52, v14, v13, vcc
	v_lshlrev_b64 v[12:13], v12, -1
	v_add_u32_e32 v14, 19, v23
	v_lshlrev_b64 v[24:25], v14, 1
	v_bfi_b32 v13, v13, 0, 0
	v_bfi_b32 v12, v12, 0, v52
	v_cmp_eq_u64_e64 s[20:21], v[12:13], v[24:25]
	v_lshrrev_b64 v[12:13], v23, v[52:53]
	v_mov_b32_e32 v14, v13
	v_mov_b32_e32 v13, v12
	s_and_saveexec_b64 s[92:93], s[20:21]
; %bb.15799:                            ;   in Loop: Header=BB6_15550 Depth=2
	v_bfe_u32 v13, v12, 20, 1
	v_add_co_u32_e64 v13, s[20:21], v12, v13
	v_add_co_u32_e64 v13, s[20:21], -1, v13
; %bb.15800:                            ;   in Loop: Header=BB6_15550 Depth=2
	s_or_b64 exec, exec, s[92:93]
	v_add_u32_e32 v14, 0xffffff81, v21
	v_mov_b32_e32 v21, 0xffffff82
	v_cndmask_b32_e32 v14, v14, v21, vcc
	v_lshrrev_b32_e32 v21, 23, v12
	v_add3_u32 v23, v23, v14, v21
	v_add_u32_e32 v21, 6, v23
	v_and_b32_e32 v13, 0xfffff, v13
	v_add_u32_e32 v52, v13, v12
	v_cmp_ne_u32_e32 vcc, 0, v21
                                        ; implicit-def: $vgpr12_vgpr13
                                        ; implicit-def: $vgpr14
	s_and_saveexec_b64 s[20:21], vcc
	s_xor_b64 s[20:21], exec, s[20:21]
; %bb.15801:                            ;   in Loop: Header=BB6_15550 Depth=2
	v_cmp_lt_u64_e32 vcc, s[58:59], v[52:53]
	v_add_u32_e32 v12, 7, v23
	v_cndmask_b32_e32 v14, v21, v12, vcc
	v_cndmask_b32_e64 v12, 0, 1, vcc
	v_lshrrev_b64 v[12:13], v12, v[52:53]
; %bb.15802:                            ;   in Loop: Header=BB6_15550 Depth=2
	s_andn2_saveexec_b64 s[20:21], s[20:21]
; %bb.15803:                            ;   in Loop: Header=BB6_15550 Depth=2
	v_mov_b32_e32 v12, v52
	v_mov_b32_e32 v13, v53
	v_bfe_u32 v14, v52, 23, 1
; %bb.15804:                            ;   in Loop: Header=BB6_15550 Depth=2
	s_or_b64 exec, exec, s[20:21]
	v_lshrrev_b64 v[12:13], 20, v[12:13]
	v_cmp_gt_i32_e32 vcc, 16, v14
	v_cndmask_b32_e32 v13, 0, v13, vcc
	v_cndmask_b32_e32 v12, 7, v12, vcc
	v_cmp_ne_u64_e32 vcc, 0, v[12:13]
	v_cmp_ne_u32_e64 s[20:21], 0, v14
	s_or_b64 s[20:21], s[20:21], vcc
                                        ; implicit-def: $vgpr21
	s_and_saveexec_b64 s[92:93], s[20:21]
	s_xor_b64 s[20:21], exec, s[92:93]
; %bb.15805:                            ;   in Loop: Header=BB6_15550 Depth=2
	v_min_i32_e32 v13, 15, v14
	v_lshl_or_b32 v13, v13, 3, v22
	v_and_or_b32 v21, v12, 7, v13
                                        ; implicit-def: $vgpr22
; %bb.15806:                            ;   in Loop: Header=BB6_15550 Depth=2
	s_andn2_saveexec_b64 s[20:21], s[20:21]
; %bb.15807:                            ;   in Loop: Header=BB6_15550 Depth=2
	v_mov_b32_e32 v21, v22
; %bb.15808:                            ;   in Loop: Header=BB6_15550 Depth=2
	s_or_b64 exec, exec, s[20:21]
.LBB6_15809:                            ;   in Loop: Header=BB6_15550 Depth=2
	s_or_b64 exec, exec, s[90:91]
                                        ; implicit-def: $vgpr22
.LBB6_15810:                            ;   in Loop: Header=BB6_15550 Depth=2
	s_andn2_saveexec_b64 s[20:21], s[88:89]
; %bb.15811:                            ;   in Loop: Header=BB6_15550 Depth=2
	v_or_b32_e32 v21, 0x7e, v22
; %bb.15812:                            ;   in Loop: Header=BB6_15550 Depth=2
	s_or_b64 exec, exec, s[20:21]
                                        ; implicit-def: $vgpr12
.LBB6_15813:                            ;   in Loop: Header=BB6_15550 Depth=2
	s_andn2_saveexec_b64 s[20:21], s[78:79]
; %bb.15814:                            ;   in Loop: Header=BB6_15550 Depth=2
	v_or_b32_sdwa v21, v12, s39 dst_sel:DWORD dst_unused:UNUSED_PAD src0_sel:BYTE_3 src1_sel:DWORD
; %bb.15815:                            ;   in Loop: Header=BB6_15550 Depth=2
	s_or_b64 exec, exec, s[20:21]
	flat_load_ubyte v13, v[10:11] offset:640 glc slc
	v_mov_b32_e32 v14, 0
	s_waitcnt vmcnt(0) lgkmcnt(0)
	v_cmp_ne_u16_e32 vcc, 0, v13
	s_and_saveexec_b64 s[20:21], vcc
	s_cbranch_execz .LBB6_15821
; %bb.15816:                            ;   in Loop: Header=BB6_15550 Depth=2
	v_cmp_ne_u16_e32 vcc, s48, v13
	v_bfrev_b32_e32 v14, 1
	s_and_saveexec_b64 s[78:79], vcc
	s_cbranch_execz .LBB6_15820
; %bb.15817:                            ;   in Loop: Header=BB6_15550 Depth=2
	v_and_b32_e32 v12, 0xffff, v13
	v_and_b32_e32 v22, 0x7f, v12
	v_cmp_ne_u32_e32 vcc, s39, v22
	v_mov_b32_e32 v14, 0x7f800001
	s_and_saveexec_b64 s[88:89], vcc
	s_cbranch_execz .LBB6_15819
; %bb.15818:                            ;   in Loop: Header=BB6_15550 Depth=2
	v_and_b32_e32 v14, 7, v12
	v_lshrrev_b32_e32 v24, 3, v22
	v_cmp_gt_u32_e32 vcc, 8, v22
	v_ffbh_u32_e32 v22, v14
	v_min_u32_e32 v25, 32, v22
	v_subrev_u32_e32 v22, 28, v25
	v_lshlrev_b64 v[22:23], v22, v[12:13]
	v_sub_u32_e32 v12, 29, v25
	v_and_b32_e32 v22, 7, v22
	v_cndmask_b32_e32 v12, v24, v12, vcc
	v_cndmask_b32_e32 v14, v14, v22, vcc
	v_lshlrev_b32_e32 v13, 24, v13
	v_bfrev_b32_e32 v22, 60
	v_lshlrev_b32_e32 v14, 20, v14
	v_and_b32_e32 v13, 0x80000000, v13
	v_lshl_add_u32 v12, v12, 23, v22
	v_or3_b32 v14, v13, v12, v14
.LBB6_15819:                            ;   in Loop: Header=BB6_15550 Depth=2
	s_or_b64 exec, exec, s[88:89]
.LBB6_15820:                            ;   in Loop: Header=BB6_15550 Depth=2
	s_or_b64 exec, exec, s[78:79]
.LBB6_15821:                            ;   in Loop: Header=BB6_15550 Depth=2
	s_or_b64 exec, exec, s[20:21]
	v_mul_f32_e32 v12, s94, v14
	v_and_b32_e32 v52, 0x7f800000, v12
	v_cmp_ne_u64_e32 vcc, s[46:47], v[52:53]
                                        ; implicit-def: $vgpr22
	s_and_saveexec_b64 s[20:21], vcc
	s_xor_b64 s[78:79], exec, s[20:21]
	s_cbranch_execz .LBB6_15839
; %bb.15822:                            ;   in Loop: Header=BB6_15550 Depth=2
	v_and_b32_e32 v52, 0x7fffffff, v12
	v_cmp_gt_u64_e32 vcc, s[56:57], v[52:53]
	v_and_b32_sdwa v23, v12, s48 dst_sel:DWORD dst_unused:UNUSED_PAD src0_sel:BYTE_3 src1_sel:DWORD
                                        ; implicit-def: $vgpr22
	s_and_saveexec_b64 s[20:21], vcc
	s_xor_b64 s[88:89], exec, s[20:21]
	s_cbranch_execz .LBB6_15836
; %bb.15823:                            ;   in Loop: Header=BB6_15550 Depth=2
	v_cmp_ne_u32_e32 vcc, 0, v12
	v_mov_b32_e32 v22, 0
	s_and_saveexec_b64 s[90:91], vcc
	s_cbranch_execz .LBB6_15835
; %bb.15824:                            ;   in Loop: Header=BB6_15550 Depth=2
	v_bfe_u32 v22, v12, 23, 8
	v_and_b32_e32 v13, 0x7fffff, v12
	v_cmp_gt_u32_e64 s[20:21], s49, v22
	v_sub_u32_e32 v12, 0x79, v22
	v_cmp_eq_u32_e32 vcc, 0, v22
	v_cndmask_b32_e64 v12, 0, v12, s[20:21]
	v_mov_b32_e32 v24, 0x78
	v_cndmask_b32_e32 v24, v12, v24, vcc
	v_or_b32_e32 v14, 0x800000, v13
	v_add_u32_e32 v12, 20, v24
	v_cndmask_b32_e32 v52, v14, v13, vcc
	v_lshlrev_b64 v[12:13], v12, -1
	v_add_u32_e32 v14, 19, v24
	v_lshlrev_b64 v[25:26], v14, 1
	v_bfi_b32 v13, v13, 0, 0
	v_bfi_b32 v12, v12, 0, v52
	v_cmp_eq_u64_e64 s[20:21], v[12:13], v[25:26]
	v_lshrrev_b64 v[12:13], v24, v[52:53]
	v_mov_b32_e32 v14, v13
	v_mov_b32_e32 v13, v12
	s_and_saveexec_b64 s[92:93], s[20:21]
; %bb.15825:                            ;   in Loop: Header=BB6_15550 Depth=2
	v_bfe_u32 v13, v12, 20, 1
	v_add_co_u32_e64 v13, s[20:21], v12, v13
	v_add_co_u32_e64 v13, s[20:21], -1, v13
; %bb.15826:                            ;   in Loop: Header=BB6_15550 Depth=2
	s_or_b64 exec, exec, s[92:93]
	v_add_u32_e32 v14, 0xffffff81, v22
	v_mov_b32_e32 v22, 0xffffff82
	v_cndmask_b32_e32 v14, v14, v22, vcc
	v_lshrrev_b32_e32 v22, 23, v12
	v_add3_u32 v24, v24, v14, v22
	v_add_u32_e32 v22, 6, v24
	v_and_b32_e32 v13, 0xfffff, v13
	v_add_u32_e32 v52, v13, v12
	v_cmp_ne_u32_e32 vcc, 0, v22
                                        ; implicit-def: $vgpr12_vgpr13
                                        ; implicit-def: $vgpr14
	s_and_saveexec_b64 s[20:21], vcc
	s_xor_b64 s[20:21], exec, s[20:21]
; %bb.15827:                            ;   in Loop: Header=BB6_15550 Depth=2
	v_cmp_lt_u64_e32 vcc, s[58:59], v[52:53]
	v_add_u32_e32 v12, 7, v24
	v_cndmask_b32_e32 v14, v22, v12, vcc
	v_cndmask_b32_e64 v12, 0, 1, vcc
	v_lshrrev_b64 v[12:13], v12, v[52:53]
; %bb.15828:                            ;   in Loop: Header=BB6_15550 Depth=2
	s_andn2_saveexec_b64 s[20:21], s[20:21]
; %bb.15829:                            ;   in Loop: Header=BB6_15550 Depth=2
	v_mov_b32_e32 v12, v52
	v_mov_b32_e32 v13, v53
	v_bfe_u32 v14, v52, 23, 1
; %bb.15830:                            ;   in Loop: Header=BB6_15550 Depth=2
	s_or_b64 exec, exec, s[20:21]
	v_lshrrev_b64 v[12:13], 20, v[12:13]
	v_cmp_gt_i32_e32 vcc, 16, v14
	v_cndmask_b32_e32 v13, 0, v13, vcc
	v_cndmask_b32_e32 v12, 7, v12, vcc
	v_cmp_ne_u64_e32 vcc, 0, v[12:13]
	v_cmp_ne_u32_e64 s[20:21], 0, v14
	s_or_b64 s[20:21], s[20:21], vcc
                                        ; implicit-def: $vgpr22
	s_and_saveexec_b64 s[92:93], s[20:21]
	s_xor_b64 s[20:21], exec, s[92:93]
; %bb.15831:                            ;   in Loop: Header=BB6_15550 Depth=2
	v_min_i32_e32 v13, 15, v14
	v_lshl_or_b32 v13, v13, 3, v23
	v_and_or_b32 v22, v12, 7, v13
                                        ; implicit-def: $vgpr23
; %bb.15832:                            ;   in Loop: Header=BB6_15550 Depth=2
	s_andn2_saveexec_b64 s[20:21], s[20:21]
; %bb.15833:                            ;   in Loop: Header=BB6_15550 Depth=2
	v_mov_b32_e32 v22, v23
; %bb.15834:                            ;   in Loop: Header=BB6_15550 Depth=2
	s_or_b64 exec, exec, s[20:21]
.LBB6_15835:                            ;   in Loop: Header=BB6_15550 Depth=2
	s_or_b64 exec, exec, s[90:91]
                                        ; implicit-def: $vgpr23
.LBB6_15836:                            ;   in Loop: Header=BB6_15550 Depth=2
	s_andn2_saveexec_b64 s[20:21], s[88:89]
; %bb.15837:                            ;   in Loop: Header=BB6_15550 Depth=2
	v_or_b32_e32 v22, 0x7e, v23
; %bb.15838:                            ;   in Loop: Header=BB6_15550 Depth=2
	s_or_b64 exec, exec, s[20:21]
                                        ; implicit-def: $vgpr12
.LBB6_15839:                            ;   in Loop: Header=BB6_15550 Depth=2
	s_andn2_saveexec_b64 s[20:21], s[78:79]
; %bb.15840:                            ;   in Loop: Header=BB6_15550 Depth=2
	v_or_b32_sdwa v22, v12, s39 dst_sel:DWORD dst_unused:UNUSED_PAD src0_sel:BYTE_3 src1_sel:DWORD
; %bb.15841:                            ;   in Loop: Header=BB6_15550 Depth=2
	s_or_b64 exec, exec, s[20:21]
	flat_load_ubyte v13, v[10:11] offset:704 glc slc
	v_mov_b32_e32 v14, 0
	s_waitcnt vmcnt(0) lgkmcnt(0)
	v_cmp_ne_u16_e32 vcc, 0, v13
	s_and_saveexec_b64 s[20:21], vcc
	s_cbranch_execz .LBB6_15847
; %bb.15842:                            ;   in Loop: Header=BB6_15550 Depth=2
	v_cmp_ne_u16_e32 vcc, s48, v13
	v_bfrev_b32_e32 v14, 1
	s_and_saveexec_b64 s[78:79], vcc
	s_cbranch_execz .LBB6_15846
; %bb.15843:                            ;   in Loop: Header=BB6_15550 Depth=2
	v_and_b32_e32 v12, 0xffff, v13
	v_and_b32_e32 v23, 0x7f, v12
	v_cmp_ne_u32_e32 vcc, s39, v23
	v_mov_b32_e32 v14, 0x7f800001
	s_and_saveexec_b64 s[88:89], vcc
	s_cbranch_execz .LBB6_15845
; %bb.15844:                            ;   in Loop: Header=BB6_15550 Depth=2
	v_and_b32_e32 v14, 7, v12
	v_lshrrev_b32_e32 v25, 3, v23
	v_cmp_gt_u32_e32 vcc, 8, v23
	v_ffbh_u32_e32 v23, v14
	v_min_u32_e32 v26, 32, v23
	v_subrev_u32_e32 v23, 28, v26
	v_lshlrev_b64 v[23:24], v23, v[12:13]
	v_sub_u32_e32 v12, 29, v26
	v_and_b32_e32 v23, 7, v23
	v_cndmask_b32_e32 v12, v25, v12, vcc
	v_cndmask_b32_e32 v14, v14, v23, vcc
	v_lshlrev_b32_e32 v13, 24, v13
	v_bfrev_b32_e32 v23, 60
	v_lshlrev_b32_e32 v14, 20, v14
	v_and_b32_e32 v13, 0x80000000, v13
	v_lshl_add_u32 v12, v12, 23, v23
	v_or3_b32 v14, v13, v12, v14
.LBB6_15845:                            ;   in Loop: Header=BB6_15550 Depth=2
	s_or_b64 exec, exec, s[88:89]
.LBB6_15846:                            ;   in Loop: Header=BB6_15550 Depth=2
	s_or_b64 exec, exec, s[78:79]
.LBB6_15847:                            ;   in Loop: Header=BB6_15550 Depth=2
	s_or_b64 exec, exec, s[20:21]
	v_mul_f32_e32 v12, s94, v14
	v_and_b32_e32 v52, 0x7f800000, v12
	v_cmp_ne_u64_e32 vcc, s[46:47], v[52:53]
                                        ; implicit-def: $vgpr23
	s_and_saveexec_b64 s[20:21], vcc
	s_xor_b64 s[78:79], exec, s[20:21]
	s_cbranch_execz .LBB6_15865
; %bb.15848:                            ;   in Loop: Header=BB6_15550 Depth=2
	v_and_b32_e32 v52, 0x7fffffff, v12
	v_cmp_gt_u64_e32 vcc, s[56:57], v[52:53]
	v_and_b32_sdwa v24, v12, s48 dst_sel:DWORD dst_unused:UNUSED_PAD src0_sel:BYTE_3 src1_sel:DWORD
                                        ; implicit-def: $vgpr23
	s_and_saveexec_b64 s[20:21], vcc
	s_xor_b64 s[88:89], exec, s[20:21]
	s_cbranch_execz .LBB6_15862
; %bb.15849:                            ;   in Loop: Header=BB6_15550 Depth=2
	v_cmp_ne_u32_e32 vcc, 0, v12
	v_mov_b32_e32 v23, 0
	s_and_saveexec_b64 s[90:91], vcc
	s_cbranch_execz .LBB6_15861
; %bb.15850:                            ;   in Loop: Header=BB6_15550 Depth=2
	v_bfe_u32 v23, v12, 23, 8
	v_and_b32_e32 v13, 0x7fffff, v12
	v_cmp_gt_u32_e64 s[20:21], s49, v23
	v_sub_u32_e32 v12, 0x79, v23
	v_cmp_eq_u32_e32 vcc, 0, v23
	v_cndmask_b32_e64 v12, 0, v12, s[20:21]
	v_mov_b32_e32 v25, 0x78
	v_cndmask_b32_e32 v25, v12, v25, vcc
	v_or_b32_e32 v14, 0x800000, v13
	v_add_u32_e32 v12, 20, v25
	v_cndmask_b32_e32 v52, v14, v13, vcc
	v_lshlrev_b64 v[12:13], v12, -1
	v_add_u32_e32 v14, 19, v25
	v_lshlrev_b64 v[26:27], v14, 1
	v_bfi_b32 v13, v13, 0, 0
	v_bfi_b32 v12, v12, 0, v52
	v_cmp_eq_u64_e64 s[20:21], v[12:13], v[26:27]
	v_lshrrev_b64 v[12:13], v25, v[52:53]
	v_mov_b32_e32 v14, v13
	v_mov_b32_e32 v13, v12
	s_and_saveexec_b64 s[92:93], s[20:21]
; %bb.15851:                            ;   in Loop: Header=BB6_15550 Depth=2
	v_bfe_u32 v13, v12, 20, 1
	v_add_co_u32_e64 v13, s[20:21], v12, v13
	v_add_co_u32_e64 v13, s[20:21], -1, v13
; %bb.15852:                            ;   in Loop: Header=BB6_15550 Depth=2
	s_or_b64 exec, exec, s[92:93]
	v_add_u32_e32 v14, 0xffffff81, v23
	v_mov_b32_e32 v23, 0xffffff82
	v_cndmask_b32_e32 v14, v14, v23, vcc
	v_lshrrev_b32_e32 v23, 23, v12
	v_add3_u32 v25, v25, v14, v23
	v_add_u32_e32 v23, 6, v25
	v_and_b32_e32 v13, 0xfffff, v13
	v_add_u32_e32 v52, v13, v12
	v_cmp_ne_u32_e32 vcc, 0, v23
                                        ; implicit-def: $vgpr12_vgpr13
                                        ; implicit-def: $vgpr14
	s_and_saveexec_b64 s[20:21], vcc
	s_xor_b64 s[20:21], exec, s[20:21]
; %bb.15853:                            ;   in Loop: Header=BB6_15550 Depth=2
	v_cmp_lt_u64_e32 vcc, s[58:59], v[52:53]
	v_add_u32_e32 v12, 7, v25
	v_cndmask_b32_e32 v14, v23, v12, vcc
	v_cndmask_b32_e64 v12, 0, 1, vcc
	v_lshrrev_b64 v[12:13], v12, v[52:53]
; %bb.15854:                            ;   in Loop: Header=BB6_15550 Depth=2
	s_andn2_saveexec_b64 s[20:21], s[20:21]
; %bb.15855:                            ;   in Loop: Header=BB6_15550 Depth=2
	v_mov_b32_e32 v12, v52
	v_mov_b32_e32 v13, v53
	v_bfe_u32 v14, v52, 23, 1
; %bb.15856:                            ;   in Loop: Header=BB6_15550 Depth=2
	s_or_b64 exec, exec, s[20:21]
	v_lshrrev_b64 v[12:13], 20, v[12:13]
	v_cmp_gt_i32_e32 vcc, 16, v14
	v_cndmask_b32_e32 v13, 0, v13, vcc
	v_cndmask_b32_e32 v12, 7, v12, vcc
	v_cmp_ne_u64_e32 vcc, 0, v[12:13]
	v_cmp_ne_u32_e64 s[20:21], 0, v14
	s_or_b64 s[20:21], s[20:21], vcc
                                        ; implicit-def: $vgpr23
	s_and_saveexec_b64 s[92:93], s[20:21]
	s_xor_b64 s[20:21], exec, s[92:93]
; %bb.15857:                            ;   in Loop: Header=BB6_15550 Depth=2
	v_min_i32_e32 v13, 15, v14
	v_lshl_or_b32 v13, v13, 3, v24
	v_and_or_b32 v23, v12, 7, v13
                                        ; implicit-def: $vgpr24
; %bb.15858:                            ;   in Loop: Header=BB6_15550 Depth=2
	s_andn2_saveexec_b64 s[20:21], s[20:21]
; %bb.15859:                            ;   in Loop: Header=BB6_15550 Depth=2
	v_mov_b32_e32 v23, v24
; %bb.15860:                            ;   in Loop: Header=BB6_15550 Depth=2
	s_or_b64 exec, exec, s[20:21]
.LBB6_15861:                            ;   in Loop: Header=BB6_15550 Depth=2
	s_or_b64 exec, exec, s[90:91]
                                        ; implicit-def: $vgpr24
.LBB6_15862:                            ;   in Loop: Header=BB6_15550 Depth=2
	s_andn2_saveexec_b64 s[20:21], s[88:89]
; %bb.15863:                            ;   in Loop: Header=BB6_15550 Depth=2
	v_or_b32_e32 v23, 0x7e, v24
; %bb.15864:                            ;   in Loop: Header=BB6_15550 Depth=2
	s_or_b64 exec, exec, s[20:21]
                                        ; implicit-def: $vgpr12
.LBB6_15865:                            ;   in Loop: Header=BB6_15550 Depth=2
	s_andn2_saveexec_b64 s[20:21], s[78:79]
; %bb.15866:                            ;   in Loop: Header=BB6_15550 Depth=2
	v_or_b32_sdwa v23, v12, s39 dst_sel:DWORD dst_unused:UNUSED_PAD src0_sel:BYTE_3 src1_sel:DWORD
; %bb.15867:                            ;   in Loop: Header=BB6_15550 Depth=2
	s_or_b64 exec, exec, s[20:21]
	flat_load_ubyte v13, v[10:11] offset:768 glc slc
	v_mov_b32_e32 v14, 0
	s_waitcnt vmcnt(0) lgkmcnt(0)
	v_cmp_ne_u16_e32 vcc, 0, v13
	s_and_saveexec_b64 s[20:21], vcc
	s_cbranch_execz .LBB6_15873
; %bb.15868:                            ;   in Loop: Header=BB6_15550 Depth=2
	v_cmp_ne_u16_e32 vcc, s48, v13
	v_bfrev_b32_e32 v14, 1
	s_and_saveexec_b64 s[78:79], vcc
	s_cbranch_execz .LBB6_15872
; %bb.15869:                            ;   in Loop: Header=BB6_15550 Depth=2
	v_and_b32_e32 v12, 0xffff, v13
	v_and_b32_e32 v24, 0x7f, v12
	v_cmp_ne_u32_e32 vcc, s39, v24
	v_mov_b32_e32 v14, 0x7f800001
	s_and_saveexec_b64 s[88:89], vcc
	s_cbranch_execz .LBB6_15871
; %bb.15870:                            ;   in Loop: Header=BB6_15550 Depth=2
	v_and_b32_e32 v14, 7, v12
	v_lshrrev_b32_e32 v26, 3, v24
	v_cmp_gt_u32_e32 vcc, 8, v24
	v_ffbh_u32_e32 v24, v14
	v_min_u32_e32 v27, 32, v24
	v_subrev_u32_e32 v24, 28, v27
	v_lshlrev_b64 v[24:25], v24, v[12:13]
	v_sub_u32_e32 v12, 29, v27
	v_and_b32_e32 v24, 7, v24
	v_cndmask_b32_e32 v12, v26, v12, vcc
	v_cndmask_b32_e32 v14, v14, v24, vcc
	v_lshlrev_b32_e32 v13, 24, v13
	v_bfrev_b32_e32 v24, 60
	v_lshlrev_b32_e32 v14, 20, v14
	v_and_b32_e32 v13, 0x80000000, v13
	v_lshl_add_u32 v12, v12, 23, v24
	v_or3_b32 v14, v13, v12, v14
.LBB6_15871:                            ;   in Loop: Header=BB6_15550 Depth=2
	s_or_b64 exec, exec, s[88:89]
.LBB6_15872:                            ;   in Loop: Header=BB6_15550 Depth=2
	s_or_b64 exec, exec, s[78:79]
.LBB6_15873:                            ;   in Loop: Header=BB6_15550 Depth=2
	s_or_b64 exec, exec, s[20:21]
	v_mul_f32_e32 v12, s94, v14
	v_and_b32_e32 v52, 0x7f800000, v12
	v_cmp_ne_u64_e32 vcc, s[46:47], v[52:53]
                                        ; implicit-def: $vgpr24
	s_and_saveexec_b64 s[20:21], vcc
	s_xor_b64 s[78:79], exec, s[20:21]
	s_cbranch_execz .LBB6_15891
; %bb.15874:                            ;   in Loop: Header=BB6_15550 Depth=2
	v_and_b32_e32 v52, 0x7fffffff, v12
	v_cmp_gt_u64_e32 vcc, s[56:57], v[52:53]
	v_and_b32_sdwa v25, v12, s48 dst_sel:DWORD dst_unused:UNUSED_PAD src0_sel:BYTE_3 src1_sel:DWORD
                                        ; implicit-def: $vgpr24
	s_and_saveexec_b64 s[20:21], vcc
	s_xor_b64 s[88:89], exec, s[20:21]
	s_cbranch_execz .LBB6_15888
; %bb.15875:                            ;   in Loop: Header=BB6_15550 Depth=2
	v_cmp_ne_u32_e32 vcc, 0, v12
	v_mov_b32_e32 v24, 0
	s_and_saveexec_b64 s[90:91], vcc
	s_cbranch_execz .LBB6_15887
; %bb.15876:                            ;   in Loop: Header=BB6_15550 Depth=2
	v_bfe_u32 v24, v12, 23, 8
	v_and_b32_e32 v13, 0x7fffff, v12
	v_cmp_gt_u32_e64 s[20:21], s49, v24
	v_sub_u32_e32 v12, 0x79, v24
	v_cmp_eq_u32_e32 vcc, 0, v24
	v_cndmask_b32_e64 v12, 0, v12, s[20:21]
	v_mov_b32_e32 v26, 0x78
	v_cndmask_b32_e32 v26, v12, v26, vcc
	v_or_b32_e32 v14, 0x800000, v13
	v_add_u32_e32 v12, 20, v26
	v_cndmask_b32_e32 v52, v14, v13, vcc
	v_lshlrev_b64 v[12:13], v12, -1
	v_add_u32_e32 v14, 19, v26
	v_lshlrev_b64 v[27:28], v14, 1
	v_bfi_b32 v13, v13, 0, 0
	v_bfi_b32 v12, v12, 0, v52
	v_cmp_eq_u64_e64 s[20:21], v[12:13], v[27:28]
	v_lshrrev_b64 v[12:13], v26, v[52:53]
	v_mov_b32_e32 v14, v13
	v_mov_b32_e32 v13, v12
	s_and_saveexec_b64 s[92:93], s[20:21]
; %bb.15877:                            ;   in Loop: Header=BB6_15550 Depth=2
	v_bfe_u32 v13, v12, 20, 1
	v_add_co_u32_e64 v13, s[20:21], v12, v13
	v_add_co_u32_e64 v13, s[20:21], -1, v13
; %bb.15878:                            ;   in Loop: Header=BB6_15550 Depth=2
	s_or_b64 exec, exec, s[92:93]
	v_add_u32_e32 v14, 0xffffff81, v24
	v_mov_b32_e32 v24, 0xffffff82
	v_cndmask_b32_e32 v14, v14, v24, vcc
	v_lshrrev_b32_e32 v24, 23, v12
	v_add3_u32 v26, v26, v14, v24
	v_add_u32_e32 v24, 6, v26
	v_and_b32_e32 v13, 0xfffff, v13
	v_add_u32_e32 v52, v13, v12
	v_cmp_ne_u32_e32 vcc, 0, v24
                                        ; implicit-def: $vgpr12_vgpr13
                                        ; implicit-def: $vgpr14
	s_and_saveexec_b64 s[20:21], vcc
	s_xor_b64 s[20:21], exec, s[20:21]
; %bb.15879:                            ;   in Loop: Header=BB6_15550 Depth=2
	v_cmp_lt_u64_e32 vcc, s[58:59], v[52:53]
	v_add_u32_e32 v12, 7, v26
	v_cndmask_b32_e32 v14, v24, v12, vcc
	v_cndmask_b32_e64 v12, 0, 1, vcc
	v_lshrrev_b64 v[12:13], v12, v[52:53]
; %bb.15880:                            ;   in Loop: Header=BB6_15550 Depth=2
	s_andn2_saveexec_b64 s[20:21], s[20:21]
; %bb.15881:                            ;   in Loop: Header=BB6_15550 Depth=2
	v_mov_b32_e32 v12, v52
	v_mov_b32_e32 v13, v53
	v_bfe_u32 v14, v52, 23, 1
; %bb.15882:                            ;   in Loop: Header=BB6_15550 Depth=2
	s_or_b64 exec, exec, s[20:21]
	v_lshrrev_b64 v[12:13], 20, v[12:13]
	v_cmp_gt_i32_e32 vcc, 16, v14
	v_cndmask_b32_e32 v13, 0, v13, vcc
	v_cndmask_b32_e32 v12, 7, v12, vcc
	v_cmp_ne_u64_e32 vcc, 0, v[12:13]
	v_cmp_ne_u32_e64 s[20:21], 0, v14
	s_or_b64 s[20:21], s[20:21], vcc
                                        ; implicit-def: $vgpr24
	s_and_saveexec_b64 s[92:93], s[20:21]
	s_xor_b64 s[20:21], exec, s[92:93]
; %bb.15883:                            ;   in Loop: Header=BB6_15550 Depth=2
	v_min_i32_e32 v13, 15, v14
	v_lshl_or_b32 v13, v13, 3, v25
	v_and_or_b32 v24, v12, 7, v13
                                        ; implicit-def: $vgpr25
; %bb.15884:                            ;   in Loop: Header=BB6_15550 Depth=2
	s_andn2_saveexec_b64 s[20:21], s[20:21]
; %bb.15885:                            ;   in Loop: Header=BB6_15550 Depth=2
	v_mov_b32_e32 v24, v25
; %bb.15886:                            ;   in Loop: Header=BB6_15550 Depth=2
	s_or_b64 exec, exec, s[20:21]
.LBB6_15887:                            ;   in Loop: Header=BB6_15550 Depth=2
	s_or_b64 exec, exec, s[90:91]
                                        ; implicit-def: $vgpr25
.LBB6_15888:                            ;   in Loop: Header=BB6_15550 Depth=2
	s_andn2_saveexec_b64 s[20:21], s[88:89]
; %bb.15889:                            ;   in Loop: Header=BB6_15550 Depth=2
	v_or_b32_e32 v24, 0x7e, v25
; %bb.15890:                            ;   in Loop: Header=BB6_15550 Depth=2
	s_or_b64 exec, exec, s[20:21]
                                        ; implicit-def: $vgpr12
.LBB6_15891:                            ;   in Loop: Header=BB6_15550 Depth=2
	s_andn2_saveexec_b64 s[20:21], s[78:79]
; %bb.15892:                            ;   in Loop: Header=BB6_15550 Depth=2
	v_or_b32_sdwa v24, v12, s39 dst_sel:DWORD dst_unused:UNUSED_PAD src0_sel:BYTE_3 src1_sel:DWORD
; %bb.15893:                            ;   in Loop: Header=BB6_15550 Depth=2
	s_or_b64 exec, exec, s[20:21]
	flat_load_ubyte v13, v[10:11] offset:832 glc slc
	v_mov_b32_e32 v14, 0
	s_waitcnt vmcnt(0) lgkmcnt(0)
	v_cmp_ne_u16_e32 vcc, 0, v13
	s_and_saveexec_b64 s[20:21], vcc
	s_cbranch_execz .LBB6_15899
; %bb.15894:                            ;   in Loop: Header=BB6_15550 Depth=2
	v_cmp_ne_u16_e32 vcc, s48, v13
	v_bfrev_b32_e32 v14, 1
	s_and_saveexec_b64 s[78:79], vcc
	s_cbranch_execz .LBB6_15898
; %bb.15895:                            ;   in Loop: Header=BB6_15550 Depth=2
	v_and_b32_e32 v12, 0xffff, v13
	v_and_b32_e32 v25, 0x7f, v12
	v_cmp_ne_u32_e32 vcc, s39, v25
	v_mov_b32_e32 v14, 0x7f800001
	s_and_saveexec_b64 s[88:89], vcc
	s_cbranch_execz .LBB6_15897
; %bb.15896:                            ;   in Loop: Header=BB6_15550 Depth=2
	v_and_b32_e32 v14, 7, v12
	v_lshrrev_b32_e32 v27, 3, v25
	v_cmp_gt_u32_e32 vcc, 8, v25
	v_ffbh_u32_e32 v25, v14
	v_min_u32_e32 v28, 32, v25
	v_subrev_u32_e32 v25, 28, v28
	v_lshlrev_b64 v[25:26], v25, v[12:13]
	v_sub_u32_e32 v12, 29, v28
	v_and_b32_e32 v25, 7, v25
	v_cndmask_b32_e32 v12, v27, v12, vcc
	v_cndmask_b32_e32 v14, v14, v25, vcc
	v_lshlrev_b32_e32 v13, 24, v13
	v_bfrev_b32_e32 v25, 60
	v_lshlrev_b32_e32 v14, 20, v14
	v_and_b32_e32 v13, 0x80000000, v13
	v_lshl_add_u32 v12, v12, 23, v25
	v_or3_b32 v14, v13, v12, v14
.LBB6_15897:                            ;   in Loop: Header=BB6_15550 Depth=2
	s_or_b64 exec, exec, s[88:89]
.LBB6_15898:                            ;   in Loop: Header=BB6_15550 Depth=2
	s_or_b64 exec, exec, s[78:79]
.LBB6_15899:                            ;   in Loop: Header=BB6_15550 Depth=2
	s_or_b64 exec, exec, s[20:21]
	v_mul_f32_e32 v12, s94, v14
	v_and_b32_e32 v52, 0x7f800000, v12
	v_cmp_ne_u64_e32 vcc, s[46:47], v[52:53]
                                        ; implicit-def: $vgpr25
	s_and_saveexec_b64 s[20:21], vcc
	s_xor_b64 s[78:79], exec, s[20:21]
	s_cbranch_execz .LBB6_15917
; %bb.15900:                            ;   in Loop: Header=BB6_15550 Depth=2
	v_and_b32_e32 v52, 0x7fffffff, v12
	v_cmp_gt_u64_e32 vcc, s[56:57], v[52:53]
	v_and_b32_sdwa v26, v12, s48 dst_sel:DWORD dst_unused:UNUSED_PAD src0_sel:BYTE_3 src1_sel:DWORD
                                        ; implicit-def: $vgpr25
	s_and_saveexec_b64 s[20:21], vcc
	s_xor_b64 s[88:89], exec, s[20:21]
	s_cbranch_execz .LBB6_15914
; %bb.15901:                            ;   in Loop: Header=BB6_15550 Depth=2
	v_cmp_ne_u32_e32 vcc, 0, v12
	v_mov_b32_e32 v25, 0
	s_and_saveexec_b64 s[90:91], vcc
	s_cbranch_execz .LBB6_15913
; %bb.15902:                            ;   in Loop: Header=BB6_15550 Depth=2
	v_bfe_u32 v25, v12, 23, 8
	v_and_b32_e32 v13, 0x7fffff, v12
	v_cmp_gt_u32_e64 s[20:21], s49, v25
	v_sub_u32_e32 v12, 0x79, v25
	v_cmp_eq_u32_e32 vcc, 0, v25
	v_cndmask_b32_e64 v12, 0, v12, s[20:21]
	v_mov_b32_e32 v27, 0x78
	v_cndmask_b32_e32 v27, v12, v27, vcc
	v_or_b32_e32 v14, 0x800000, v13
	v_add_u32_e32 v12, 20, v27
	v_cndmask_b32_e32 v52, v14, v13, vcc
	v_lshlrev_b64 v[12:13], v12, -1
	v_add_u32_e32 v14, 19, v27
	v_lshlrev_b64 v[28:29], v14, 1
	v_bfi_b32 v13, v13, 0, 0
	v_bfi_b32 v12, v12, 0, v52
	v_cmp_eq_u64_e64 s[20:21], v[12:13], v[28:29]
	v_lshrrev_b64 v[12:13], v27, v[52:53]
	v_mov_b32_e32 v14, v13
	v_mov_b32_e32 v13, v12
	s_and_saveexec_b64 s[92:93], s[20:21]
; %bb.15903:                            ;   in Loop: Header=BB6_15550 Depth=2
	v_bfe_u32 v13, v12, 20, 1
	v_add_co_u32_e64 v13, s[20:21], v12, v13
	v_add_co_u32_e64 v13, s[20:21], -1, v13
; %bb.15904:                            ;   in Loop: Header=BB6_15550 Depth=2
	s_or_b64 exec, exec, s[92:93]
	v_add_u32_e32 v14, 0xffffff81, v25
	v_mov_b32_e32 v25, 0xffffff82
	v_cndmask_b32_e32 v14, v14, v25, vcc
	v_lshrrev_b32_e32 v25, 23, v12
	v_add3_u32 v27, v27, v14, v25
	v_add_u32_e32 v25, 6, v27
	v_and_b32_e32 v13, 0xfffff, v13
	v_add_u32_e32 v52, v13, v12
	v_cmp_ne_u32_e32 vcc, 0, v25
                                        ; implicit-def: $vgpr12_vgpr13
                                        ; implicit-def: $vgpr14
	s_and_saveexec_b64 s[20:21], vcc
	s_xor_b64 s[20:21], exec, s[20:21]
; %bb.15905:                            ;   in Loop: Header=BB6_15550 Depth=2
	v_cmp_lt_u64_e32 vcc, s[58:59], v[52:53]
	v_add_u32_e32 v12, 7, v27
	v_cndmask_b32_e32 v14, v25, v12, vcc
	v_cndmask_b32_e64 v12, 0, 1, vcc
	v_lshrrev_b64 v[12:13], v12, v[52:53]
; %bb.15906:                            ;   in Loop: Header=BB6_15550 Depth=2
	s_andn2_saveexec_b64 s[20:21], s[20:21]
; %bb.15907:                            ;   in Loop: Header=BB6_15550 Depth=2
	v_mov_b32_e32 v12, v52
	v_mov_b32_e32 v13, v53
	v_bfe_u32 v14, v52, 23, 1
; %bb.15908:                            ;   in Loop: Header=BB6_15550 Depth=2
	s_or_b64 exec, exec, s[20:21]
	v_lshrrev_b64 v[12:13], 20, v[12:13]
	v_cmp_gt_i32_e32 vcc, 16, v14
	v_cndmask_b32_e32 v13, 0, v13, vcc
	v_cndmask_b32_e32 v12, 7, v12, vcc
	v_cmp_ne_u64_e32 vcc, 0, v[12:13]
	v_cmp_ne_u32_e64 s[20:21], 0, v14
	s_or_b64 s[20:21], s[20:21], vcc
                                        ; implicit-def: $vgpr25
	s_and_saveexec_b64 s[92:93], s[20:21]
	s_xor_b64 s[20:21], exec, s[92:93]
; %bb.15909:                            ;   in Loop: Header=BB6_15550 Depth=2
	v_min_i32_e32 v13, 15, v14
	v_lshl_or_b32 v13, v13, 3, v26
	v_and_or_b32 v25, v12, 7, v13
                                        ; implicit-def: $vgpr26
; %bb.15910:                            ;   in Loop: Header=BB6_15550 Depth=2
	s_andn2_saveexec_b64 s[20:21], s[20:21]
; %bb.15911:                            ;   in Loop: Header=BB6_15550 Depth=2
	v_mov_b32_e32 v25, v26
; %bb.15912:                            ;   in Loop: Header=BB6_15550 Depth=2
	s_or_b64 exec, exec, s[20:21]
.LBB6_15913:                            ;   in Loop: Header=BB6_15550 Depth=2
	s_or_b64 exec, exec, s[90:91]
                                        ; implicit-def: $vgpr26
.LBB6_15914:                            ;   in Loop: Header=BB6_15550 Depth=2
	s_andn2_saveexec_b64 s[20:21], s[88:89]
; %bb.15915:                            ;   in Loop: Header=BB6_15550 Depth=2
	v_or_b32_e32 v25, 0x7e, v26
; %bb.15916:                            ;   in Loop: Header=BB6_15550 Depth=2
	s_or_b64 exec, exec, s[20:21]
                                        ; implicit-def: $vgpr12
.LBB6_15917:                            ;   in Loop: Header=BB6_15550 Depth=2
	s_andn2_saveexec_b64 s[20:21], s[78:79]
; %bb.15918:                            ;   in Loop: Header=BB6_15550 Depth=2
	v_or_b32_sdwa v25, v12, s39 dst_sel:DWORD dst_unused:UNUSED_PAD src0_sel:BYTE_3 src1_sel:DWORD
; %bb.15919:                            ;   in Loop: Header=BB6_15550 Depth=2
	s_or_b64 exec, exec, s[20:21]
	flat_load_ubyte v13, v[10:11] offset:896 glc slc
	v_mov_b32_e32 v14, 0
	s_waitcnt vmcnt(0) lgkmcnt(0)
	v_cmp_ne_u16_e32 vcc, 0, v13
	s_and_saveexec_b64 s[20:21], vcc
	s_cbranch_execz .LBB6_15925
; %bb.15920:                            ;   in Loop: Header=BB6_15550 Depth=2
	v_cmp_ne_u16_e32 vcc, s48, v13
	v_bfrev_b32_e32 v14, 1
	s_and_saveexec_b64 s[78:79], vcc
	s_cbranch_execz .LBB6_15924
; %bb.15921:                            ;   in Loop: Header=BB6_15550 Depth=2
	v_and_b32_e32 v12, 0xffff, v13
	v_and_b32_e32 v26, 0x7f, v12
	v_cmp_ne_u32_e32 vcc, s39, v26
	v_mov_b32_e32 v14, 0x7f800001
	s_and_saveexec_b64 s[88:89], vcc
	s_cbranch_execz .LBB6_15923
; %bb.15922:                            ;   in Loop: Header=BB6_15550 Depth=2
	v_and_b32_e32 v14, 7, v12
	v_lshrrev_b32_e32 v28, 3, v26
	v_cmp_gt_u32_e32 vcc, 8, v26
	v_ffbh_u32_e32 v26, v14
	v_min_u32_e32 v29, 32, v26
	v_subrev_u32_e32 v26, 28, v29
	v_lshlrev_b64 v[26:27], v26, v[12:13]
	v_sub_u32_e32 v12, 29, v29
	v_and_b32_e32 v26, 7, v26
	v_cndmask_b32_e32 v12, v28, v12, vcc
	v_cndmask_b32_e32 v14, v14, v26, vcc
	v_lshlrev_b32_e32 v13, 24, v13
	v_bfrev_b32_e32 v26, 60
	v_lshlrev_b32_e32 v14, 20, v14
	v_and_b32_e32 v13, 0x80000000, v13
	v_lshl_add_u32 v12, v12, 23, v26
	v_or3_b32 v14, v13, v12, v14
.LBB6_15923:                            ;   in Loop: Header=BB6_15550 Depth=2
	s_or_b64 exec, exec, s[88:89]
.LBB6_15924:                            ;   in Loop: Header=BB6_15550 Depth=2
	s_or_b64 exec, exec, s[78:79]
.LBB6_15925:                            ;   in Loop: Header=BB6_15550 Depth=2
	s_or_b64 exec, exec, s[20:21]
	v_mul_f32_e32 v12, s94, v14
	v_and_b32_e32 v52, 0x7f800000, v12
	v_cmp_ne_u64_e32 vcc, s[46:47], v[52:53]
                                        ; implicit-def: $vgpr26
	s_and_saveexec_b64 s[20:21], vcc
	s_xor_b64 s[78:79], exec, s[20:21]
	s_cbranch_execz .LBB6_15943
; %bb.15926:                            ;   in Loop: Header=BB6_15550 Depth=2
	v_and_b32_e32 v52, 0x7fffffff, v12
	v_cmp_gt_u64_e32 vcc, s[56:57], v[52:53]
	v_and_b32_sdwa v27, v12, s48 dst_sel:DWORD dst_unused:UNUSED_PAD src0_sel:BYTE_3 src1_sel:DWORD
                                        ; implicit-def: $vgpr26
	s_and_saveexec_b64 s[20:21], vcc
	s_xor_b64 s[88:89], exec, s[20:21]
	s_cbranch_execz .LBB6_15940
; %bb.15927:                            ;   in Loop: Header=BB6_15550 Depth=2
	v_cmp_ne_u32_e32 vcc, 0, v12
	v_mov_b32_e32 v26, 0
	s_and_saveexec_b64 s[90:91], vcc
	s_cbranch_execz .LBB6_15939
; %bb.15928:                            ;   in Loop: Header=BB6_15550 Depth=2
	v_bfe_u32 v26, v12, 23, 8
	v_and_b32_e32 v13, 0x7fffff, v12
	v_cmp_gt_u32_e64 s[20:21], s49, v26
	v_sub_u32_e32 v12, 0x79, v26
	v_cmp_eq_u32_e32 vcc, 0, v26
	v_cndmask_b32_e64 v12, 0, v12, s[20:21]
	v_mov_b32_e32 v28, 0x78
	v_cndmask_b32_e32 v28, v12, v28, vcc
	v_or_b32_e32 v14, 0x800000, v13
	v_add_u32_e32 v12, 20, v28
	v_cndmask_b32_e32 v52, v14, v13, vcc
	v_lshlrev_b64 v[12:13], v12, -1
	v_add_u32_e32 v14, 19, v28
	v_lshlrev_b64 v[29:30], v14, 1
	v_bfi_b32 v13, v13, 0, 0
	v_bfi_b32 v12, v12, 0, v52
	v_cmp_eq_u64_e64 s[20:21], v[12:13], v[29:30]
	v_lshrrev_b64 v[12:13], v28, v[52:53]
	v_mov_b32_e32 v14, v13
	v_mov_b32_e32 v13, v12
	s_and_saveexec_b64 s[92:93], s[20:21]
; %bb.15929:                            ;   in Loop: Header=BB6_15550 Depth=2
	v_bfe_u32 v13, v12, 20, 1
	v_add_co_u32_e64 v13, s[20:21], v12, v13
	v_add_co_u32_e64 v13, s[20:21], -1, v13
; %bb.15930:                            ;   in Loop: Header=BB6_15550 Depth=2
	s_or_b64 exec, exec, s[92:93]
	v_add_u32_e32 v14, 0xffffff81, v26
	v_mov_b32_e32 v26, 0xffffff82
	v_cndmask_b32_e32 v14, v14, v26, vcc
	v_lshrrev_b32_e32 v26, 23, v12
	v_add3_u32 v28, v28, v14, v26
	v_add_u32_e32 v26, 6, v28
	v_and_b32_e32 v13, 0xfffff, v13
	v_add_u32_e32 v52, v13, v12
	v_cmp_ne_u32_e32 vcc, 0, v26
                                        ; implicit-def: $vgpr12_vgpr13
                                        ; implicit-def: $vgpr14
	s_and_saveexec_b64 s[20:21], vcc
	s_xor_b64 s[20:21], exec, s[20:21]
; %bb.15931:                            ;   in Loop: Header=BB6_15550 Depth=2
	v_cmp_lt_u64_e32 vcc, s[58:59], v[52:53]
	v_add_u32_e32 v12, 7, v28
	v_cndmask_b32_e32 v14, v26, v12, vcc
	v_cndmask_b32_e64 v12, 0, 1, vcc
	v_lshrrev_b64 v[12:13], v12, v[52:53]
; %bb.15932:                            ;   in Loop: Header=BB6_15550 Depth=2
	s_andn2_saveexec_b64 s[20:21], s[20:21]
; %bb.15933:                            ;   in Loop: Header=BB6_15550 Depth=2
	v_mov_b32_e32 v12, v52
	v_mov_b32_e32 v13, v53
	v_bfe_u32 v14, v52, 23, 1
; %bb.15934:                            ;   in Loop: Header=BB6_15550 Depth=2
	s_or_b64 exec, exec, s[20:21]
	v_lshrrev_b64 v[12:13], 20, v[12:13]
	v_cmp_gt_i32_e32 vcc, 16, v14
	v_cndmask_b32_e32 v13, 0, v13, vcc
	v_cndmask_b32_e32 v12, 7, v12, vcc
	v_cmp_ne_u64_e32 vcc, 0, v[12:13]
	v_cmp_ne_u32_e64 s[20:21], 0, v14
	s_or_b64 s[20:21], s[20:21], vcc
                                        ; implicit-def: $vgpr26
	s_and_saveexec_b64 s[92:93], s[20:21]
	s_xor_b64 s[20:21], exec, s[92:93]
; %bb.15935:                            ;   in Loop: Header=BB6_15550 Depth=2
	v_min_i32_e32 v13, 15, v14
	v_lshl_or_b32 v13, v13, 3, v27
	v_and_or_b32 v26, v12, 7, v13
                                        ; implicit-def: $vgpr27
; %bb.15936:                            ;   in Loop: Header=BB6_15550 Depth=2
	s_andn2_saveexec_b64 s[20:21], s[20:21]
; %bb.15937:                            ;   in Loop: Header=BB6_15550 Depth=2
	v_mov_b32_e32 v26, v27
; %bb.15938:                            ;   in Loop: Header=BB6_15550 Depth=2
	s_or_b64 exec, exec, s[20:21]
.LBB6_15939:                            ;   in Loop: Header=BB6_15550 Depth=2
	s_or_b64 exec, exec, s[90:91]
                                        ; implicit-def: $vgpr27
.LBB6_15940:                            ;   in Loop: Header=BB6_15550 Depth=2
	s_andn2_saveexec_b64 s[20:21], s[88:89]
; %bb.15941:                            ;   in Loop: Header=BB6_15550 Depth=2
	v_or_b32_e32 v26, 0x7e, v27
; %bb.15942:                            ;   in Loop: Header=BB6_15550 Depth=2
	s_or_b64 exec, exec, s[20:21]
                                        ; implicit-def: $vgpr12
.LBB6_15943:                            ;   in Loop: Header=BB6_15550 Depth=2
	s_andn2_saveexec_b64 s[20:21], s[78:79]
; %bb.15944:                            ;   in Loop: Header=BB6_15550 Depth=2
	v_or_b32_sdwa v26, v12, s39 dst_sel:DWORD dst_unused:UNUSED_PAD src0_sel:BYTE_3 src1_sel:DWORD
; %bb.15945:                            ;   in Loop: Header=BB6_15550 Depth=2
	s_or_b64 exec, exec, s[20:21]
	flat_load_ubyte v13, v[10:11] offset:960 glc slc
	v_mov_b32_e32 v14, 0
	s_waitcnt vmcnt(0) lgkmcnt(0)
	v_cmp_ne_u16_e32 vcc, 0, v13
	s_and_saveexec_b64 s[20:21], vcc
	s_cbranch_execz .LBB6_15951
; %bb.15946:                            ;   in Loop: Header=BB6_15550 Depth=2
	v_cmp_ne_u16_e32 vcc, s48, v13
	v_bfrev_b32_e32 v14, 1
	s_and_saveexec_b64 s[78:79], vcc
	s_cbranch_execz .LBB6_15950
; %bb.15947:                            ;   in Loop: Header=BB6_15550 Depth=2
	v_and_b32_e32 v12, 0xffff, v13
	v_and_b32_e32 v27, 0x7f, v12
	v_cmp_ne_u32_e32 vcc, s39, v27
	v_mov_b32_e32 v14, 0x7f800001
	s_and_saveexec_b64 s[88:89], vcc
	s_cbranch_execz .LBB6_15949
; %bb.15948:                            ;   in Loop: Header=BB6_15550 Depth=2
	v_and_b32_e32 v14, 7, v12
	v_lshrrev_b32_e32 v29, 3, v27
	v_cmp_gt_u32_e32 vcc, 8, v27
	v_ffbh_u32_e32 v27, v14
	v_min_u32_e32 v30, 32, v27
	v_subrev_u32_e32 v27, 28, v30
	v_lshlrev_b64 v[27:28], v27, v[12:13]
	v_sub_u32_e32 v12, 29, v30
	v_and_b32_e32 v27, 7, v27
	v_cndmask_b32_e32 v12, v29, v12, vcc
	v_cndmask_b32_e32 v14, v14, v27, vcc
	v_lshlrev_b32_e32 v13, 24, v13
	v_bfrev_b32_e32 v27, 60
	v_lshlrev_b32_e32 v14, 20, v14
	v_and_b32_e32 v13, 0x80000000, v13
	v_lshl_add_u32 v12, v12, 23, v27
	v_or3_b32 v14, v13, v12, v14
.LBB6_15949:                            ;   in Loop: Header=BB6_15550 Depth=2
	s_or_b64 exec, exec, s[88:89]
.LBB6_15950:                            ;   in Loop: Header=BB6_15550 Depth=2
	s_or_b64 exec, exec, s[78:79]
.LBB6_15951:                            ;   in Loop: Header=BB6_15550 Depth=2
	s_or_b64 exec, exec, s[20:21]
	v_mul_f32_e32 v12, s94, v14
	v_and_b32_e32 v52, 0x7f800000, v12
	v_cmp_ne_u64_e32 vcc, s[46:47], v[52:53]
                                        ; implicit-def: $vgpr27
	s_and_saveexec_b64 s[20:21], vcc
	s_xor_b64 s[78:79], exec, s[20:21]
	s_cbranch_execz .LBB6_15969
; %bb.15952:                            ;   in Loop: Header=BB6_15550 Depth=2
	v_and_b32_e32 v52, 0x7fffffff, v12
	v_cmp_gt_u64_e32 vcc, s[56:57], v[52:53]
	v_and_b32_sdwa v28, v12, s48 dst_sel:DWORD dst_unused:UNUSED_PAD src0_sel:BYTE_3 src1_sel:DWORD
                                        ; implicit-def: $vgpr27
	s_and_saveexec_b64 s[20:21], vcc
	s_xor_b64 s[88:89], exec, s[20:21]
	s_cbranch_execz .LBB6_15966
; %bb.15953:                            ;   in Loop: Header=BB6_15550 Depth=2
	v_cmp_ne_u32_e32 vcc, 0, v12
	v_mov_b32_e32 v27, 0
	s_and_saveexec_b64 s[90:91], vcc
	s_cbranch_execz .LBB6_15965
; %bb.15954:                            ;   in Loop: Header=BB6_15550 Depth=2
	v_bfe_u32 v27, v12, 23, 8
	v_and_b32_e32 v13, 0x7fffff, v12
	v_cmp_gt_u32_e64 s[20:21], s49, v27
	v_sub_u32_e32 v12, 0x79, v27
	v_cmp_eq_u32_e32 vcc, 0, v27
	v_cndmask_b32_e64 v12, 0, v12, s[20:21]
	v_mov_b32_e32 v29, 0x78
	v_cndmask_b32_e32 v29, v12, v29, vcc
	v_or_b32_e32 v14, 0x800000, v13
	v_add_u32_e32 v12, 20, v29
	v_cndmask_b32_e32 v52, v14, v13, vcc
	v_lshlrev_b64 v[12:13], v12, -1
	v_add_u32_e32 v14, 19, v29
	v_lshlrev_b64 v[30:31], v14, 1
	v_bfi_b32 v13, v13, 0, 0
	v_bfi_b32 v12, v12, 0, v52
	v_cmp_eq_u64_e64 s[20:21], v[12:13], v[30:31]
	v_lshrrev_b64 v[12:13], v29, v[52:53]
	v_mov_b32_e32 v14, v13
	v_mov_b32_e32 v13, v12
	s_and_saveexec_b64 s[92:93], s[20:21]
; %bb.15955:                            ;   in Loop: Header=BB6_15550 Depth=2
	v_bfe_u32 v13, v12, 20, 1
	v_add_co_u32_e64 v13, s[20:21], v12, v13
	v_add_co_u32_e64 v13, s[20:21], -1, v13
; %bb.15956:                            ;   in Loop: Header=BB6_15550 Depth=2
	s_or_b64 exec, exec, s[92:93]
	v_add_u32_e32 v14, 0xffffff81, v27
	v_mov_b32_e32 v27, 0xffffff82
	v_cndmask_b32_e32 v14, v14, v27, vcc
	v_lshrrev_b32_e32 v27, 23, v12
	v_add3_u32 v29, v29, v14, v27
	v_add_u32_e32 v27, 6, v29
	v_and_b32_e32 v13, 0xfffff, v13
	v_add_u32_e32 v52, v13, v12
	v_cmp_ne_u32_e32 vcc, 0, v27
                                        ; implicit-def: $vgpr12_vgpr13
                                        ; implicit-def: $vgpr14
	s_and_saveexec_b64 s[20:21], vcc
	s_xor_b64 s[20:21], exec, s[20:21]
; %bb.15957:                            ;   in Loop: Header=BB6_15550 Depth=2
	v_cmp_lt_u64_e32 vcc, s[58:59], v[52:53]
	v_add_u32_e32 v12, 7, v29
	v_cndmask_b32_e32 v14, v27, v12, vcc
	v_cndmask_b32_e64 v12, 0, 1, vcc
	v_lshrrev_b64 v[12:13], v12, v[52:53]
; %bb.15958:                            ;   in Loop: Header=BB6_15550 Depth=2
	s_andn2_saveexec_b64 s[20:21], s[20:21]
; %bb.15959:                            ;   in Loop: Header=BB6_15550 Depth=2
	v_mov_b32_e32 v12, v52
	v_mov_b32_e32 v13, v53
	v_bfe_u32 v14, v52, 23, 1
; %bb.15960:                            ;   in Loop: Header=BB6_15550 Depth=2
	s_or_b64 exec, exec, s[20:21]
	v_lshrrev_b64 v[12:13], 20, v[12:13]
	v_cmp_gt_i32_e32 vcc, 16, v14
	v_cndmask_b32_e32 v13, 0, v13, vcc
	v_cndmask_b32_e32 v12, 7, v12, vcc
	v_cmp_ne_u64_e32 vcc, 0, v[12:13]
	v_cmp_ne_u32_e64 s[20:21], 0, v14
	s_or_b64 s[20:21], s[20:21], vcc
                                        ; implicit-def: $vgpr27
	s_and_saveexec_b64 s[92:93], s[20:21]
	s_xor_b64 s[20:21], exec, s[92:93]
; %bb.15961:                            ;   in Loop: Header=BB6_15550 Depth=2
	v_min_i32_e32 v13, 15, v14
	v_lshl_or_b32 v13, v13, 3, v28
	v_and_or_b32 v27, v12, 7, v13
                                        ; implicit-def: $vgpr28
; %bb.15962:                            ;   in Loop: Header=BB6_15550 Depth=2
	s_andn2_saveexec_b64 s[20:21], s[20:21]
; %bb.15963:                            ;   in Loop: Header=BB6_15550 Depth=2
	v_mov_b32_e32 v27, v28
; %bb.15964:                            ;   in Loop: Header=BB6_15550 Depth=2
	s_or_b64 exec, exec, s[20:21]
.LBB6_15965:                            ;   in Loop: Header=BB6_15550 Depth=2
	s_or_b64 exec, exec, s[90:91]
                                        ; implicit-def: $vgpr28
.LBB6_15966:                            ;   in Loop: Header=BB6_15550 Depth=2
	s_andn2_saveexec_b64 s[20:21], s[88:89]
; %bb.15967:                            ;   in Loop: Header=BB6_15550 Depth=2
	v_or_b32_e32 v27, 0x7e, v28
; %bb.15968:                            ;   in Loop: Header=BB6_15550 Depth=2
	s_or_b64 exec, exec, s[20:21]
                                        ; implicit-def: $vgpr12
.LBB6_15969:                            ;   in Loop: Header=BB6_15550 Depth=2
	s_andn2_saveexec_b64 s[20:21], s[78:79]
; %bb.15970:                            ;   in Loop: Header=BB6_15550 Depth=2
	v_or_b32_sdwa v27, v12, s39 dst_sel:DWORD dst_unused:UNUSED_PAD src0_sel:BYTE_3 src1_sel:DWORD
; %bb.15971:                            ;   in Loop: Header=BB6_15550 Depth=2
	s_or_b64 exec, exec, s[20:21]
	flat_load_ubyte v13, v[10:11] offset:1024 glc slc
	v_mov_b32_e32 v14, 0
	s_waitcnt vmcnt(0) lgkmcnt(0)
	v_cmp_ne_u16_e32 vcc, 0, v13
	s_and_saveexec_b64 s[20:21], vcc
	s_cbranch_execz .LBB6_15977
; %bb.15972:                            ;   in Loop: Header=BB6_15550 Depth=2
	v_cmp_ne_u16_e32 vcc, s48, v13
	v_bfrev_b32_e32 v14, 1
	s_and_saveexec_b64 s[78:79], vcc
	s_cbranch_execz .LBB6_15976
; %bb.15973:                            ;   in Loop: Header=BB6_15550 Depth=2
	v_and_b32_e32 v12, 0xffff, v13
	v_and_b32_e32 v28, 0x7f, v12
	v_cmp_ne_u32_e32 vcc, s39, v28
	v_mov_b32_e32 v14, 0x7f800001
	s_and_saveexec_b64 s[88:89], vcc
	s_cbranch_execz .LBB6_15975
; %bb.15974:                            ;   in Loop: Header=BB6_15550 Depth=2
	v_and_b32_e32 v14, 7, v12
	v_lshrrev_b32_e32 v30, 3, v28
	v_cmp_gt_u32_e32 vcc, 8, v28
	v_ffbh_u32_e32 v28, v14
	v_min_u32_e32 v31, 32, v28
	v_subrev_u32_e32 v28, 28, v31
	v_lshlrev_b64 v[28:29], v28, v[12:13]
	v_sub_u32_e32 v12, 29, v31
	v_and_b32_e32 v28, 7, v28
	v_cndmask_b32_e32 v12, v30, v12, vcc
	v_cndmask_b32_e32 v14, v14, v28, vcc
	v_lshlrev_b32_e32 v13, 24, v13
	v_bfrev_b32_e32 v28, 60
	v_lshlrev_b32_e32 v14, 20, v14
	v_and_b32_e32 v13, 0x80000000, v13
	v_lshl_add_u32 v12, v12, 23, v28
	v_or3_b32 v14, v13, v12, v14
.LBB6_15975:                            ;   in Loop: Header=BB6_15550 Depth=2
	s_or_b64 exec, exec, s[88:89]
.LBB6_15976:                            ;   in Loop: Header=BB6_15550 Depth=2
	s_or_b64 exec, exec, s[78:79]
.LBB6_15977:                            ;   in Loop: Header=BB6_15550 Depth=2
	s_or_b64 exec, exec, s[20:21]
	v_mul_f32_e32 v12, s94, v14
	v_and_b32_e32 v52, 0x7f800000, v12
	v_cmp_ne_u64_e32 vcc, s[46:47], v[52:53]
                                        ; implicit-def: $vgpr28
	s_and_saveexec_b64 s[20:21], vcc
	s_xor_b64 s[78:79], exec, s[20:21]
	s_cbranch_execz .LBB6_15995
; %bb.15978:                            ;   in Loop: Header=BB6_15550 Depth=2
	v_and_b32_e32 v52, 0x7fffffff, v12
	v_cmp_gt_u64_e32 vcc, s[56:57], v[52:53]
	v_and_b32_sdwa v29, v12, s48 dst_sel:DWORD dst_unused:UNUSED_PAD src0_sel:BYTE_3 src1_sel:DWORD
                                        ; implicit-def: $vgpr28
	s_and_saveexec_b64 s[20:21], vcc
	s_xor_b64 s[88:89], exec, s[20:21]
	s_cbranch_execz .LBB6_15992
; %bb.15979:                            ;   in Loop: Header=BB6_15550 Depth=2
	v_cmp_ne_u32_e32 vcc, 0, v12
	v_mov_b32_e32 v28, 0
	s_and_saveexec_b64 s[90:91], vcc
	s_cbranch_execz .LBB6_15991
; %bb.15980:                            ;   in Loop: Header=BB6_15550 Depth=2
	v_bfe_u32 v28, v12, 23, 8
	v_and_b32_e32 v13, 0x7fffff, v12
	v_cmp_gt_u32_e64 s[20:21], s49, v28
	v_sub_u32_e32 v12, 0x79, v28
	v_cmp_eq_u32_e32 vcc, 0, v28
	v_cndmask_b32_e64 v12, 0, v12, s[20:21]
	v_mov_b32_e32 v30, 0x78
	v_cndmask_b32_e32 v30, v12, v30, vcc
	v_or_b32_e32 v14, 0x800000, v13
	v_add_u32_e32 v12, 20, v30
	v_cndmask_b32_e32 v52, v14, v13, vcc
	v_lshlrev_b64 v[12:13], v12, -1
	v_add_u32_e32 v14, 19, v30
	v_lshlrev_b64 v[31:32], v14, 1
	v_bfi_b32 v13, v13, 0, 0
	v_bfi_b32 v12, v12, 0, v52
	v_cmp_eq_u64_e64 s[20:21], v[12:13], v[31:32]
	v_lshrrev_b64 v[12:13], v30, v[52:53]
	v_mov_b32_e32 v14, v13
	v_mov_b32_e32 v13, v12
	s_and_saveexec_b64 s[92:93], s[20:21]
; %bb.15981:                            ;   in Loop: Header=BB6_15550 Depth=2
	v_bfe_u32 v13, v12, 20, 1
	v_add_co_u32_e64 v13, s[20:21], v12, v13
	v_add_co_u32_e64 v13, s[20:21], -1, v13
; %bb.15982:                            ;   in Loop: Header=BB6_15550 Depth=2
	s_or_b64 exec, exec, s[92:93]
	v_add_u32_e32 v14, 0xffffff81, v28
	v_mov_b32_e32 v28, 0xffffff82
	v_cndmask_b32_e32 v14, v14, v28, vcc
	v_lshrrev_b32_e32 v28, 23, v12
	v_add3_u32 v30, v30, v14, v28
	v_add_u32_e32 v28, 6, v30
	v_and_b32_e32 v13, 0xfffff, v13
	v_add_u32_e32 v52, v13, v12
	v_cmp_ne_u32_e32 vcc, 0, v28
                                        ; implicit-def: $vgpr12_vgpr13
                                        ; implicit-def: $vgpr14
	s_and_saveexec_b64 s[20:21], vcc
	s_xor_b64 s[20:21], exec, s[20:21]
; %bb.15983:                            ;   in Loop: Header=BB6_15550 Depth=2
	v_cmp_lt_u64_e32 vcc, s[58:59], v[52:53]
	v_add_u32_e32 v12, 7, v30
	v_cndmask_b32_e32 v14, v28, v12, vcc
	v_cndmask_b32_e64 v12, 0, 1, vcc
	v_lshrrev_b64 v[12:13], v12, v[52:53]
; %bb.15984:                            ;   in Loop: Header=BB6_15550 Depth=2
	s_andn2_saveexec_b64 s[20:21], s[20:21]
; %bb.15985:                            ;   in Loop: Header=BB6_15550 Depth=2
	v_mov_b32_e32 v12, v52
	v_mov_b32_e32 v13, v53
	v_bfe_u32 v14, v52, 23, 1
; %bb.15986:                            ;   in Loop: Header=BB6_15550 Depth=2
	s_or_b64 exec, exec, s[20:21]
	v_lshrrev_b64 v[12:13], 20, v[12:13]
	v_cmp_gt_i32_e32 vcc, 16, v14
	v_cndmask_b32_e32 v13, 0, v13, vcc
	v_cndmask_b32_e32 v12, 7, v12, vcc
	v_cmp_ne_u64_e32 vcc, 0, v[12:13]
	v_cmp_ne_u32_e64 s[20:21], 0, v14
	s_or_b64 s[20:21], s[20:21], vcc
                                        ; implicit-def: $vgpr28
	s_and_saveexec_b64 s[92:93], s[20:21]
	s_xor_b64 s[20:21], exec, s[92:93]
; %bb.15987:                            ;   in Loop: Header=BB6_15550 Depth=2
	v_min_i32_e32 v13, 15, v14
	v_lshl_or_b32 v13, v13, 3, v29
	v_and_or_b32 v28, v12, 7, v13
                                        ; implicit-def: $vgpr29
; %bb.15988:                            ;   in Loop: Header=BB6_15550 Depth=2
	s_andn2_saveexec_b64 s[20:21], s[20:21]
; %bb.15989:                            ;   in Loop: Header=BB6_15550 Depth=2
	v_mov_b32_e32 v28, v29
; %bb.15990:                            ;   in Loop: Header=BB6_15550 Depth=2
	s_or_b64 exec, exec, s[20:21]
.LBB6_15991:                            ;   in Loop: Header=BB6_15550 Depth=2
	s_or_b64 exec, exec, s[90:91]
                                        ; implicit-def: $vgpr29
.LBB6_15992:                            ;   in Loop: Header=BB6_15550 Depth=2
	s_andn2_saveexec_b64 s[20:21], s[88:89]
; %bb.15993:                            ;   in Loop: Header=BB6_15550 Depth=2
	v_or_b32_e32 v28, 0x7e, v29
; %bb.15994:                            ;   in Loop: Header=BB6_15550 Depth=2
	s_or_b64 exec, exec, s[20:21]
                                        ; implicit-def: $vgpr12
.LBB6_15995:                            ;   in Loop: Header=BB6_15550 Depth=2
	s_andn2_saveexec_b64 s[20:21], s[78:79]
; %bb.15996:                            ;   in Loop: Header=BB6_15550 Depth=2
	v_or_b32_sdwa v28, v12, s39 dst_sel:DWORD dst_unused:UNUSED_PAD src0_sel:BYTE_3 src1_sel:DWORD
; %bb.15997:                            ;   in Loop: Header=BB6_15550 Depth=2
	s_or_b64 exec, exec, s[20:21]
	flat_load_ubyte v13, v[10:11] offset:1088 glc slc
	v_mov_b32_e32 v14, 0
	s_waitcnt vmcnt(0) lgkmcnt(0)
	v_cmp_ne_u16_e32 vcc, 0, v13
	s_and_saveexec_b64 s[20:21], vcc
	s_cbranch_execz .LBB6_16003
; %bb.15998:                            ;   in Loop: Header=BB6_15550 Depth=2
	v_cmp_ne_u16_e32 vcc, s48, v13
	v_bfrev_b32_e32 v14, 1
	s_and_saveexec_b64 s[78:79], vcc
	s_cbranch_execz .LBB6_16002
; %bb.15999:                            ;   in Loop: Header=BB6_15550 Depth=2
	v_and_b32_e32 v12, 0xffff, v13
	v_and_b32_e32 v29, 0x7f, v12
	v_cmp_ne_u32_e32 vcc, s39, v29
	v_mov_b32_e32 v14, 0x7f800001
	s_and_saveexec_b64 s[88:89], vcc
	s_cbranch_execz .LBB6_16001
; %bb.16000:                            ;   in Loop: Header=BB6_15550 Depth=2
	v_and_b32_e32 v14, 7, v12
	v_lshrrev_b32_e32 v31, 3, v29
	v_cmp_gt_u32_e32 vcc, 8, v29
	v_ffbh_u32_e32 v29, v14
	v_min_u32_e32 v32, 32, v29
	v_subrev_u32_e32 v29, 28, v32
	v_lshlrev_b64 v[29:30], v29, v[12:13]
	v_sub_u32_e32 v12, 29, v32
	v_and_b32_e32 v29, 7, v29
	v_cndmask_b32_e32 v12, v31, v12, vcc
	v_cndmask_b32_e32 v14, v14, v29, vcc
	v_lshlrev_b32_e32 v13, 24, v13
	v_bfrev_b32_e32 v29, 60
	v_lshlrev_b32_e32 v14, 20, v14
	v_and_b32_e32 v13, 0x80000000, v13
	v_lshl_add_u32 v12, v12, 23, v29
	v_or3_b32 v14, v13, v12, v14
.LBB6_16001:                            ;   in Loop: Header=BB6_15550 Depth=2
	s_or_b64 exec, exec, s[88:89]
.LBB6_16002:                            ;   in Loop: Header=BB6_15550 Depth=2
	s_or_b64 exec, exec, s[78:79]
.LBB6_16003:                            ;   in Loop: Header=BB6_15550 Depth=2
	s_or_b64 exec, exec, s[20:21]
	v_mul_f32_e32 v12, s94, v14
	v_and_b32_e32 v52, 0x7f800000, v12
	v_cmp_ne_u64_e32 vcc, s[46:47], v[52:53]
                                        ; implicit-def: $vgpr29
	s_and_saveexec_b64 s[20:21], vcc
	s_xor_b64 s[78:79], exec, s[20:21]
	s_cbranch_execz .LBB6_16021
; %bb.16004:                            ;   in Loop: Header=BB6_15550 Depth=2
	v_and_b32_e32 v52, 0x7fffffff, v12
	v_cmp_gt_u64_e32 vcc, s[56:57], v[52:53]
	v_and_b32_sdwa v30, v12, s48 dst_sel:DWORD dst_unused:UNUSED_PAD src0_sel:BYTE_3 src1_sel:DWORD
                                        ; implicit-def: $vgpr29
	s_and_saveexec_b64 s[20:21], vcc
	s_xor_b64 s[88:89], exec, s[20:21]
	s_cbranch_execz .LBB6_16018
; %bb.16005:                            ;   in Loop: Header=BB6_15550 Depth=2
	v_cmp_ne_u32_e32 vcc, 0, v12
	v_mov_b32_e32 v29, 0
	s_and_saveexec_b64 s[90:91], vcc
	s_cbranch_execz .LBB6_16017
; %bb.16006:                            ;   in Loop: Header=BB6_15550 Depth=2
	v_bfe_u32 v29, v12, 23, 8
	v_and_b32_e32 v13, 0x7fffff, v12
	v_cmp_gt_u32_e64 s[20:21], s49, v29
	v_sub_u32_e32 v12, 0x79, v29
	v_cmp_eq_u32_e32 vcc, 0, v29
	v_cndmask_b32_e64 v12, 0, v12, s[20:21]
	v_mov_b32_e32 v31, 0x78
	v_cndmask_b32_e32 v31, v12, v31, vcc
	v_or_b32_e32 v14, 0x800000, v13
	v_add_u32_e32 v12, 20, v31
	v_cndmask_b32_e32 v52, v14, v13, vcc
	v_lshlrev_b64 v[12:13], v12, -1
	v_add_u32_e32 v14, 19, v31
	v_lshlrev_b64 v[32:33], v14, 1
	v_bfi_b32 v13, v13, 0, 0
	v_bfi_b32 v12, v12, 0, v52
	v_cmp_eq_u64_e64 s[20:21], v[12:13], v[32:33]
	v_lshrrev_b64 v[12:13], v31, v[52:53]
	v_mov_b32_e32 v14, v13
	v_mov_b32_e32 v13, v12
	s_and_saveexec_b64 s[92:93], s[20:21]
; %bb.16007:                            ;   in Loop: Header=BB6_15550 Depth=2
	v_bfe_u32 v13, v12, 20, 1
	v_add_co_u32_e64 v13, s[20:21], v12, v13
	v_add_co_u32_e64 v13, s[20:21], -1, v13
; %bb.16008:                            ;   in Loop: Header=BB6_15550 Depth=2
	s_or_b64 exec, exec, s[92:93]
	v_add_u32_e32 v14, 0xffffff81, v29
	v_mov_b32_e32 v29, 0xffffff82
	v_cndmask_b32_e32 v14, v14, v29, vcc
	v_lshrrev_b32_e32 v29, 23, v12
	v_add3_u32 v31, v31, v14, v29
	v_add_u32_e32 v29, 6, v31
	v_and_b32_e32 v13, 0xfffff, v13
	v_add_u32_e32 v52, v13, v12
	v_cmp_ne_u32_e32 vcc, 0, v29
                                        ; implicit-def: $vgpr12_vgpr13
                                        ; implicit-def: $vgpr14
	s_and_saveexec_b64 s[20:21], vcc
	s_xor_b64 s[20:21], exec, s[20:21]
; %bb.16009:                            ;   in Loop: Header=BB6_15550 Depth=2
	v_cmp_lt_u64_e32 vcc, s[58:59], v[52:53]
	v_add_u32_e32 v12, 7, v31
	v_cndmask_b32_e32 v14, v29, v12, vcc
	v_cndmask_b32_e64 v12, 0, 1, vcc
	v_lshrrev_b64 v[12:13], v12, v[52:53]
; %bb.16010:                            ;   in Loop: Header=BB6_15550 Depth=2
	s_andn2_saveexec_b64 s[20:21], s[20:21]
; %bb.16011:                            ;   in Loop: Header=BB6_15550 Depth=2
	v_mov_b32_e32 v12, v52
	v_mov_b32_e32 v13, v53
	v_bfe_u32 v14, v52, 23, 1
; %bb.16012:                            ;   in Loop: Header=BB6_15550 Depth=2
	s_or_b64 exec, exec, s[20:21]
	v_lshrrev_b64 v[12:13], 20, v[12:13]
	v_cmp_gt_i32_e32 vcc, 16, v14
	v_cndmask_b32_e32 v13, 0, v13, vcc
	v_cndmask_b32_e32 v12, 7, v12, vcc
	v_cmp_ne_u64_e32 vcc, 0, v[12:13]
	v_cmp_ne_u32_e64 s[20:21], 0, v14
	s_or_b64 s[20:21], s[20:21], vcc
                                        ; implicit-def: $vgpr29
	s_and_saveexec_b64 s[92:93], s[20:21]
	s_xor_b64 s[20:21], exec, s[92:93]
; %bb.16013:                            ;   in Loop: Header=BB6_15550 Depth=2
	v_min_i32_e32 v13, 15, v14
	v_lshl_or_b32 v13, v13, 3, v30
	v_and_or_b32 v29, v12, 7, v13
                                        ; implicit-def: $vgpr30
; %bb.16014:                            ;   in Loop: Header=BB6_15550 Depth=2
	s_andn2_saveexec_b64 s[20:21], s[20:21]
; %bb.16015:                            ;   in Loop: Header=BB6_15550 Depth=2
	v_mov_b32_e32 v29, v30
; %bb.16016:                            ;   in Loop: Header=BB6_15550 Depth=2
	s_or_b64 exec, exec, s[20:21]
.LBB6_16017:                            ;   in Loop: Header=BB6_15550 Depth=2
	s_or_b64 exec, exec, s[90:91]
                                        ; implicit-def: $vgpr30
.LBB6_16018:                            ;   in Loop: Header=BB6_15550 Depth=2
	s_andn2_saveexec_b64 s[20:21], s[88:89]
; %bb.16019:                            ;   in Loop: Header=BB6_15550 Depth=2
	v_or_b32_e32 v29, 0x7e, v30
; %bb.16020:                            ;   in Loop: Header=BB6_15550 Depth=2
	s_or_b64 exec, exec, s[20:21]
                                        ; implicit-def: $vgpr12
.LBB6_16021:                            ;   in Loop: Header=BB6_15550 Depth=2
	s_andn2_saveexec_b64 s[20:21], s[78:79]
; %bb.16022:                            ;   in Loop: Header=BB6_15550 Depth=2
	v_or_b32_sdwa v29, v12, s39 dst_sel:DWORD dst_unused:UNUSED_PAD src0_sel:BYTE_3 src1_sel:DWORD
; %bb.16023:                            ;   in Loop: Header=BB6_15550 Depth=2
	s_or_b64 exec, exec, s[20:21]
	flat_load_ubyte v13, v[10:11] offset:1152 glc slc
	v_mov_b32_e32 v14, 0
	s_waitcnt vmcnt(0) lgkmcnt(0)
	v_cmp_ne_u16_e32 vcc, 0, v13
	s_and_saveexec_b64 s[20:21], vcc
	s_cbranch_execz .LBB6_16029
; %bb.16024:                            ;   in Loop: Header=BB6_15550 Depth=2
	v_cmp_ne_u16_e32 vcc, s48, v13
	v_bfrev_b32_e32 v14, 1
	s_and_saveexec_b64 s[78:79], vcc
	s_cbranch_execz .LBB6_16028
; %bb.16025:                            ;   in Loop: Header=BB6_15550 Depth=2
	v_and_b32_e32 v12, 0xffff, v13
	v_and_b32_e32 v30, 0x7f, v12
	v_cmp_ne_u32_e32 vcc, s39, v30
	v_mov_b32_e32 v14, 0x7f800001
	s_and_saveexec_b64 s[88:89], vcc
	s_cbranch_execz .LBB6_16027
; %bb.16026:                            ;   in Loop: Header=BB6_15550 Depth=2
	v_and_b32_e32 v14, 7, v12
	v_lshrrev_b32_e32 v32, 3, v30
	v_cmp_gt_u32_e32 vcc, 8, v30
	v_ffbh_u32_e32 v30, v14
	v_min_u32_e32 v33, 32, v30
	v_subrev_u32_e32 v30, 28, v33
	v_lshlrev_b64 v[30:31], v30, v[12:13]
	v_sub_u32_e32 v12, 29, v33
	v_and_b32_e32 v30, 7, v30
	v_cndmask_b32_e32 v12, v32, v12, vcc
	v_cndmask_b32_e32 v14, v14, v30, vcc
	v_lshlrev_b32_e32 v13, 24, v13
	v_bfrev_b32_e32 v30, 60
	v_lshlrev_b32_e32 v14, 20, v14
	v_and_b32_e32 v13, 0x80000000, v13
	v_lshl_add_u32 v12, v12, 23, v30
	v_or3_b32 v14, v13, v12, v14
.LBB6_16027:                            ;   in Loop: Header=BB6_15550 Depth=2
	s_or_b64 exec, exec, s[88:89]
.LBB6_16028:                            ;   in Loop: Header=BB6_15550 Depth=2
	s_or_b64 exec, exec, s[78:79]
.LBB6_16029:                            ;   in Loop: Header=BB6_15550 Depth=2
	s_or_b64 exec, exec, s[20:21]
	v_mul_f32_e32 v12, s94, v14
	v_and_b32_e32 v52, 0x7f800000, v12
	v_cmp_ne_u64_e32 vcc, s[46:47], v[52:53]
                                        ; implicit-def: $vgpr30
	s_and_saveexec_b64 s[20:21], vcc
	s_xor_b64 s[78:79], exec, s[20:21]
	s_cbranch_execz .LBB6_16047
; %bb.16030:                            ;   in Loop: Header=BB6_15550 Depth=2
	v_and_b32_e32 v52, 0x7fffffff, v12
	v_cmp_gt_u64_e32 vcc, s[56:57], v[52:53]
	v_and_b32_sdwa v31, v12, s48 dst_sel:DWORD dst_unused:UNUSED_PAD src0_sel:BYTE_3 src1_sel:DWORD
                                        ; implicit-def: $vgpr30
	s_and_saveexec_b64 s[20:21], vcc
	s_xor_b64 s[88:89], exec, s[20:21]
	s_cbranch_execz .LBB6_16044
; %bb.16031:                            ;   in Loop: Header=BB6_15550 Depth=2
	v_cmp_ne_u32_e32 vcc, 0, v12
	v_mov_b32_e32 v30, 0
	s_and_saveexec_b64 s[90:91], vcc
	s_cbranch_execz .LBB6_16043
; %bb.16032:                            ;   in Loop: Header=BB6_15550 Depth=2
	v_bfe_u32 v30, v12, 23, 8
	v_and_b32_e32 v13, 0x7fffff, v12
	v_cmp_gt_u32_e64 s[20:21], s49, v30
	v_sub_u32_e32 v12, 0x79, v30
	v_cmp_eq_u32_e32 vcc, 0, v30
	v_cndmask_b32_e64 v12, 0, v12, s[20:21]
	v_mov_b32_e32 v32, 0x78
	v_cndmask_b32_e32 v32, v12, v32, vcc
	v_or_b32_e32 v14, 0x800000, v13
	v_add_u32_e32 v12, 20, v32
	v_cndmask_b32_e32 v52, v14, v13, vcc
	v_lshlrev_b64 v[12:13], v12, -1
	v_add_u32_e32 v14, 19, v32
	v_lshlrev_b64 v[33:34], v14, 1
	v_bfi_b32 v13, v13, 0, 0
	v_bfi_b32 v12, v12, 0, v52
	v_cmp_eq_u64_e64 s[20:21], v[12:13], v[33:34]
	v_lshrrev_b64 v[12:13], v32, v[52:53]
	v_mov_b32_e32 v14, v13
	v_mov_b32_e32 v13, v12
	s_and_saveexec_b64 s[92:93], s[20:21]
; %bb.16033:                            ;   in Loop: Header=BB6_15550 Depth=2
	v_bfe_u32 v13, v12, 20, 1
	v_add_co_u32_e64 v13, s[20:21], v12, v13
	v_add_co_u32_e64 v13, s[20:21], -1, v13
; %bb.16034:                            ;   in Loop: Header=BB6_15550 Depth=2
	s_or_b64 exec, exec, s[92:93]
	v_add_u32_e32 v14, 0xffffff81, v30
	v_mov_b32_e32 v30, 0xffffff82
	v_cndmask_b32_e32 v14, v14, v30, vcc
	v_lshrrev_b32_e32 v30, 23, v12
	v_add3_u32 v32, v32, v14, v30
	v_add_u32_e32 v30, 6, v32
	v_and_b32_e32 v13, 0xfffff, v13
	v_add_u32_e32 v52, v13, v12
	v_cmp_ne_u32_e32 vcc, 0, v30
                                        ; implicit-def: $vgpr12_vgpr13
                                        ; implicit-def: $vgpr14
	s_and_saveexec_b64 s[20:21], vcc
	s_xor_b64 s[20:21], exec, s[20:21]
; %bb.16035:                            ;   in Loop: Header=BB6_15550 Depth=2
	v_cmp_lt_u64_e32 vcc, s[58:59], v[52:53]
	v_add_u32_e32 v12, 7, v32
	v_cndmask_b32_e32 v14, v30, v12, vcc
	v_cndmask_b32_e64 v12, 0, 1, vcc
	v_lshrrev_b64 v[12:13], v12, v[52:53]
; %bb.16036:                            ;   in Loop: Header=BB6_15550 Depth=2
	s_andn2_saveexec_b64 s[20:21], s[20:21]
; %bb.16037:                            ;   in Loop: Header=BB6_15550 Depth=2
	v_mov_b32_e32 v12, v52
	v_mov_b32_e32 v13, v53
	v_bfe_u32 v14, v52, 23, 1
; %bb.16038:                            ;   in Loop: Header=BB6_15550 Depth=2
	s_or_b64 exec, exec, s[20:21]
	v_lshrrev_b64 v[12:13], 20, v[12:13]
	v_cmp_gt_i32_e32 vcc, 16, v14
	v_cndmask_b32_e32 v13, 0, v13, vcc
	v_cndmask_b32_e32 v12, 7, v12, vcc
	v_cmp_ne_u64_e32 vcc, 0, v[12:13]
	v_cmp_ne_u32_e64 s[20:21], 0, v14
	s_or_b64 s[20:21], s[20:21], vcc
                                        ; implicit-def: $vgpr30
	s_and_saveexec_b64 s[92:93], s[20:21]
	s_xor_b64 s[20:21], exec, s[92:93]
; %bb.16039:                            ;   in Loop: Header=BB6_15550 Depth=2
	v_min_i32_e32 v13, 15, v14
	v_lshl_or_b32 v13, v13, 3, v31
	v_and_or_b32 v30, v12, 7, v13
                                        ; implicit-def: $vgpr31
; %bb.16040:                            ;   in Loop: Header=BB6_15550 Depth=2
	s_andn2_saveexec_b64 s[20:21], s[20:21]
; %bb.16041:                            ;   in Loop: Header=BB6_15550 Depth=2
	v_mov_b32_e32 v30, v31
; %bb.16042:                            ;   in Loop: Header=BB6_15550 Depth=2
	s_or_b64 exec, exec, s[20:21]
.LBB6_16043:                            ;   in Loop: Header=BB6_15550 Depth=2
	s_or_b64 exec, exec, s[90:91]
                                        ; implicit-def: $vgpr31
.LBB6_16044:                            ;   in Loop: Header=BB6_15550 Depth=2
	s_andn2_saveexec_b64 s[20:21], s[88:89]
; %bb.16045:                            ;   in Loop: Header=BB6_15550 Depth=2
	v_or_b32_e32 v30, 0x7e, v31
; %bb.16046:                            ;   in Loop: Header=BB6_15550 Depth=2
	s_or_b64 exec, exec, s[20:21]
                                        ; implicit-def: $vgpr12
.LBB6_16047:                            ;   in Loop: Header=BB6_15550 Depth=2
	s_andn2_saveexec_b64 s[20:21], s[78:79]
; %bb.16048:                            ;   in Loop: Header=BB6_15550 Depth=2
	v_or_b32_sdwa v30, v12, s39 dst_sel:DWORD dst_unused:UNUSED_PAD src0_sel:BYTE_3 src1_sel:DWORD
; %bb.16049:                            ;   in Loop: Header=BB6_15550 Depth=2
	s_or_b64 exec, exec, s[20:21]
	flat_load_ubyte v13, v[10:11] offset:1216 glc slc
	v_mov_b32_e32 v14, 0
	s_waitcnt vmcnt(0) lgkmcnt(0)
	v_cmp_ne_u16_e32 vcc, 0, v13
	s_and_saveexec_b64 s[20:21], vcc
	s_cbranch_execz .LBB6_16055
; %bb.16050:                            ;   in Loop: Header=BB6_15550 Depth=2
	v_cmp_ne_u16_e32 vcc, s48, v13
	v_bfrev_b32_e32 v14, 1
	s_and_saveexec_b64 s[78:79], vcc
	s_cbranch_execz .LBB6_16054
; %bb.16051:                            ;   in Loop: Header=BB6_15550 Depth=2
	v_and_b32_e32 v12, 0xffff, v13
	v_and_b32_e32 v31, 0x7f, v12
	v_cmp_ne_u32_e32 vcc, s39, v31
	v_mov_b32_e32 v14, 0x7f800001
	s_and_saveexec_b64 s[88:89], vcc
	s_cbranch_execz .LBB6_16053
; %bb.16052:                            ;   in Loop: Header=BB6_15550 Depth=2
	v_and_b32_e32 v14, 7, v12
	v_lshrrev_b32_e32 v33, 3, v31
	v_cmp_gt_u32_e32 vcc, 8, v31
	v_ffbh_u32_e32 v31, v14
	v_min_u32_e32 v34, 32, v31
	v_subrev_u32_e32 v31, 28, v34
	v_lshlrev_b64 v[31:32], v31, v[12:13]
	v_sub_u32_e32 v12, 29, v34
	v_and_b32_e32 v31, 7, v31
	v_cndmask_b32_e32 v12, v33, v12, vcc
	v_cndmask_b32_e32 v14, v14, v31, vcc
	v_lshlrev_b32_e32 v13, 24, v13
	v_bfrev_b32_e32 v31, 60
	v_lshlrev_b32_e32 v14, 20, v14
	v_and_b32_e32 v13, 0x80000000, v13
	v_lshl_add_u32 v12, v12, 23, v31
	v_or3_b32 v14, v13, v12, v14
.LBB6_16053:                            ;   in Loop: Header=BB6_15550 Depth=2
	s_or_b64 exec, exec, s[88:89]
.LBB6_16054:                            ;   in Loop: Header=BB6_15550 Depth=2
	s_or_b64 exec, exec, s[78:79]
.LBB6_16055:                            ;   in Loop: Header=BB6_15550 Depth=2
	s_or_b64 exec, exec, s[20:21]
	v_mul_f32_e32 v12, s94, v14
	v_and_b32_e32 v52, 0x7f800000, v12
	v_cmp_ne_u64_e32 vcc, s[46:47], v[52:53]
                                        ; implicit-def: $vgpr31
	s_and_saveexec_b64 s[20:21], vcc
	s_xor_b64 s[78:79], exec, s[20:21]
	s_cbranch_execz .LBB6_16073
; %bb.16056:                            ;   in Loop: Header=BB6_15550 Depth=2
	v_and_b32_e32 v52, 0x7fffffff, v12
	v_cmp_gt_u64_e32 vcc, s[56:57], v[52:53]
	v_and_b32_sdwa v32, v12, s48 dst_sel:DWORD dst_unused:UNUSED_PAD src0_sel:BYTE_3 src1_sel:DWORD
                                        ; implicit-def: $vgpr31
	s_and_saveexec_b64 s[20:21], vcc
	s_xor_b64 s[88:89], exec, s[20:21]
	s_cbranch_execz .LBB6_16070
; %bb.16057:                            ;   in Loop: Header=BB6_15550 Depth=2
	v_cmp_ne_u32_e32 vcc, 0, v12
	v_mov_b32_e32 v31, 0
	s_and_saveexec_b64 s[90:91], vcc
	s_cbranch_execz .LBB6_16069
; %bb.16058:                            ;   in Loop: Header=BB6_15550 Depth=2
	v_bfe_u32 v31, v12, 23, 8
	v_and_b32_e32 v13, 0x7fffff, v12
	v_cmp_gt_u32_e64 s[20:21], s49, v31
	v_sub_u32_e32 v12, 0x79, v31
	v_cmp_eq_u32_e32 vcc, 0, v31
	v_cndmask_b32_e64 v12, 0, v12, s[20:21]
	v_mov_b32_e32 v33, 0x78
	v_cndmask_b32_e32 v33, v12, v33, vcc
	v_or_b32_e32 v14, 0x800000, v13
	v_add_u32_e32 v12, 20, v33
	v_cndmask_b32_e32 v52, v14, v13, vcc
	v_lshlrev_b64 v[12:13], v12, -1
	v_add_u32_e32 v14, 19, v33
	v_lshlrev_b64 v[34:35], v14, 1
	v_bfi_b32 v13, v13, 0, 0
	v_bfi_b32 v12, v12, 0, v52
	v_cmp_eq_u64_e64 s[20:21], v[12:13], v[34:35]
	v_lshrrev_b64 v[12:13], v33, v[52:53]
	v_mov_b32_e32 v14, v13
	v_mov_b32_e32 v13, v12
	s_and_saveexec_b64 s[92:93], s[20:21]
; %bb.16059:                            ;   in Loop: Header=BB6_15550 Depth=2
	v_bfe_u32 v13, v12, 20, 1
	v_add_co_u32_e64 v13, s[20:21], v12, v13
	v_add_co_u32_e64 v13, s[20:21], -1, v13
; %bb.16060:                            ;   in Loop: Header=BB6_15550 Depth=2
	s_or_b64 exec, exec, s[92:93]
	v_add_u32_e32 v14, 0xffffff81, v31
	v_mov_b32_e32 v31, 0xffffff82
	v_cndmask_b32_e32 v14, v14, v31, vcc
	v_lshrrev_b32_e32 v31, 23, v12
	v_add3_u32 v33, v33, v14, v31
	v_add_u32_e32 v31, 6, v33
	v_and_b32_e32 v13, 0xfffff, v13
	v_add_u32_e32 v52, v13, v12
	v_cmp_ne_u32_e32 vcc, 0, v31
                                        ; implicit-def: $vgpr12_vgpr13
                                        ; implicit-def: $vgpr14
	s_and_saveexec_b64 s[20:21], vcc
	s_xor_b64 s[20:21], exec, s[20:21]
; %bb.16061:                            ;   in Loop: Header=BB6_15550 Depth=2
	v_cmp_lt_u64_e32 vcc, s[58:59], v[52:53]
	v_add_u32_e32 v12, 7, v33
	v_cndmask_b32_e32 v14, v31, v12, vcc
	v_cndmask_b32_e64 v12, 0, 1, vcc
	v_lshrrev_b64 v[12:13], v12, v[52:53]
; %bb.16062:                            ;   in Loop: Header=BB6_15550 Depth=2
	s_andn2_saveexec_b64 s[20:21], s[20:21]
; %bb.16063:                            ;   in Loop: Header=BB6_15550 Depth=2
	v_mov_b32_e32 v12, v52
	v_mov_b32_e32 v13, v53
	v_bfe_u32 v14, v52, 23, 1
; %bb.16064:                            ;   in Loop: Header=BB6_15550 Depth=2
	s_or_b64 exec, exec, s[20:21]
	v_lshrrev_b64 v[12:13], 20, v[12:13]
	v_cmp_gt_i32_e32 vcc, 16, v14
	v_cndmask_b32_e32 v13, 0, v13, vcc
	v_cndmask_b32_e32 v12, 7, v12, vcc
	v_cmp_ne_u64_e32 vcc, 0, v[12:13]
	v_cmp_ne_u32_e64 s[20:21], 0, v14
	s_or_b64 s[20:21], s[20:21], vcc
                                        ; implicit-def: $vgpr31
	s_and_saveexec_b64 s[92:93], s[20:21]
	s_xor_b64 s[20:21], exec, s[92:93]
; %bb.16065:                            ;   in Loop: Header=BB6_15550 Depth=2
	v_min_i32_e32 v13, 15, v14
	v_lshl_or_b32 v13, v13, 3, v32
	v_and_or_b32 v31, v12, 7, v13
                                        ; implicit-def: $vgpr32
; %bb.16066:                            ;   in Loop: Header=BB6_15550 Depth=2
	s_andn2_saveexec_b64 s[20:21], s[20:21]
; %bb.16067:                            ;   in Loop: Header=BB6_15550 Depth=2
	v_mov_b32_e32 v31, v32
; %bb.16068:                            ;   in Loop: Header=BB6_15550 Depth=2
	s_or_b64 exec, exec, s[20:21]
.LBB6_16069:                            ;   in Loop: Header=BB6_15550 Depth=2
	s_or_b64 exec, exec, s[90:91]
                                        ; implicit-def: $vgpr32
.LBB6_16070:                            ;   in Loop: Header=BB6_15550 Depth=2
	s_andn2_saveexec_b64 s[20:21], s[88:89]
; %bb.16071:                            ;   in Loop: Header=BB6_15550 Depth=2
	v_or_b32_e32 v31, 0x7e, v32
; %bb.16072:                            ;   in Loop: Header=BB6_15550 Depth=2
	s_or_b64 exec, exec, s[20:21]
                                        ; implicit-def: $vgpr12
.LBB6_16073:                            ;   in Loop: Header=BB6_15550 Depth=2
	s_andn2_saveexec_b64 s[20:21], s[78:79]
; %bb.16074:                            ;   in Loop: Header=BB6_15550 Depth=2
	v_or_b32_sdwa v31, v12, s39 dst_sel:DWORD dst_unused:UNUSED_PAD src0_sel:BYTE_3 src1_sel:DWORD
; %bb.16075:                            ;   in Loop: Header=BB6_15550 Depth=2
	s_or_b64 exec, exec, s[20:21]
	flat_load_ubyte v13, v[10:11] offset:1280 glc slc
	v_mov_b32_e32 v14, 0
	s_waitcnt vmcnt(0) lgkmcnt(0)
	v_cmp_ne_u16_e32 vcc, 0, v13
	s_and_saveexec_b64 s[20:21], vcc
	s_cbranch_execz .LBB6_16081
; %bb.16076:                            ;   in Loop: Header=BB6_15550 Depth=2
	v_cmp_ne_u16_e32 vcc, s48, v13
	v_bfrev_b32_e32 v14, 1
	s_and_saveexec_b64 s[78:79], vcc
	s_cbranch_execz .LBB6_16080
; %bb.16077:                            ;   in Loop: Header=BB6_15550 Depth=2
	v_and_b32_e32 v12, 0xffff, v13
	v_and_b32_e32 v32, 0x7f, v12
	v_cmp_ne_u32_e32 vcc, s39, v32
	v_mov_b32_e32 v14, 0x7f800001
	s_and_saveexec_b64 s[88:89], vcc
	s_cbranch_execz .LBB6_16079
; %bb.16078:                            ;   in Loop: Header=BB6_15550 Depth=2
	v_and_b32_e32 v14, 7, v12
	v_lshrrev_b32_e32 v34, 3, v32
	v_cmp_gt_u32_e32 vcc, 8, v32
	v_ffbh_u32_e32 v32, v14
	v_min_u32_e32 v35, 32, v32
	v_subrev_u32_e32 v32, 28, v35
	v_lshlrev_b64 v[32:33], v32, v[12:13]
	v_sub_u32_e32 v12, 29, v35
	v_and_b32_e32 v32, 7, v32
	v_cndmask_b32_e32 v12, v34, v12, vcc
	v_cndmask_b32_e32 v14, v14, v32, vcc
	v_lshlrev_b32_e32 v13, 24, v13
	v_bfrev_b32_e32 v32, 60
	v_lshlrev_b32_e32 v14, 20, v14
	v_and_b32_e32 v13, 0x80000000, v13
	v_lshl_add_u32 v12, v12, 23, v32
	v_or3_b32 v14, v13, v12, v14
.LBB6_16079:                            ;   in Loop: Header=BB6_15550 Depth=2
	s_or_b64 exec, exec, s[88:89]
.LBB6_16080:                            ;   in Loop: Header=BB6_15550 Depth=2
	s_or_b64 exec, exec, s[78:79]
.LBB6_16081:                            ;   in Loop: Header=BB6_15550 Depth=2
	s_or_b64 exec, exec, s[20:21]
	v_mul_f32_e32 v12, s94, v14
	v_and_b32_e32 v52, 0x7f800000, v12
	v_cmp_ne_u64_e32 vcc, s[46:47], v[52:53]
                                        ; implicit-def: $vgpr32
	s_and_saveexec_b64 s[20:21], vcc
	s_xor_b64 s[78:79], exec, s[20:21]
	s_cbranch_execz .LBB6_16099
; %bb.16082:                            ;   in Loop: Header=BB6_15550 Depth=2
	v_and_b32_e32 v52, 0x7fffffff, v12
	v_cmp_gt_u64_e32 vcc, s[56:57], v[52:53]
	v_and_b32_sdwa v33, v12, s48 dst_sel:DWORD dst_unused:UNUSED_PAD src0_sel:BYTE_3 src1_sel:DWORD
                                        ; implicit-def: $vgpr32
	s_and_saveexec_b64 s[20:21], vcc
	s_xor_b64 s[88:89], exec, s[20:21]
	s_cbranch_execz .LBB6_16096
; %bb.16083:                            ;   in Loop: Header=BB6_15550 Depth=2
	v_cmp_ne_u32_e32 vcc, 0, v12
	v_mov_b32_e32 v32, 0
	s_and_saveexec_b64 s[90:91], vcc
	s_cbranch_execz .LBB6_16095
; %bb.16084:                            ;   in Loop: Header=BB6_15550 Depth=2
	v_bfe_u32 v32, v12, 23, 8
	v_and_b32_e32 v13, 0x7fffff, v12
	v_cmp_gt_u32_e64 s[20:21], s49, v32
	v_sub_u32_e32 v12, 0x79, v32
	v_cmp_eq_u32_e32 vcc, 0, v32
	v_cndmask_b32_e64 v12, 0, v12, s[20:21]
	v_mov_b32_e32 v34, 0x78
	v_cndmask_b32_e32 v34, v12, v34, vcc
	v_or_b32_e32 v14, 0x800000, v13
	v_add_u32_e32 v12, 20, v34
	v_cndmask_b32_e32 v52, v14, v13, vcc
	v_lshlrev_b64 v[12:13], v12, -1
	v_add_u32_e32 v14, 19, v34
	v_lshlrev_b64 v[35:36], v14, 1
	v_bfi_b32 v13, v13, 0, 0
	v_bfi_b32 v12, v12, 0, v52
	v_cmp_eq_u64_e64 s[20:21], v[12:13], v[35:36]
	v_lshrrev_b64 v[12:13], v34, v[52:53]
	v_mov_b32_e32 v14, v13
	v_mov_b32_e32 v13, v12
	s_and_saveexec_b64 s[92:93], s[20:21]
; %bb.16085:                            ;   in Loop: Header=BB6_15550 Depth=2
	v_bfe_u32 v13, v12, 20, 1
	v_add_co_u32_e64 v13, s[20:21], v12, v13
	v_add_co_u32_e64 v13, s[20:21], -1, v13
; %bb.16086:                            ;   in Loop: Header=BB6_15550 Depth=2
	s_or_b64 exec, exec, s[92:93]
	v_add_u32_e32 v14, 0xffffff81, v32
	v_mov_b32_e32 v32, 0xffffff82
	v_cndmask_b32_e32 v14, v14, v32, vcc
	v_lshrrev_b32_e32 v32, 23, v12
	v_add3_u32 v34, v34, v14, v32
	v_add_u32_e32 v32, 6, v34
	v_and_b32_e32 v13, 0xfffff, v13
	v_add_u32_e32 v52, v13, v12
	v_cmp_ne_u32_e32 vcc, 0, v32
                                        ; implicit-def: $vgpr12_vgpr13
                                        ; implicit-def: $vgpr14
	s_and_saveexec_b64 s[20:21], vcc
	s_xor_b64 s[20:21], exec, s[20:21]
; %bb.16087:                            ;   in Loop: Header=BB6_15550 Depth=2
	v_cmp_lt_u64_e32 vcc, s[58:59], v[52:53]
	v_add_u32_e32 v12, 7, v34
	v_cndmask_b32_e32 v14, v32, v12, vcc
	v_cndmask_b32_e64 v12, 0, 1, vcc
	v_lshrrev_b64 v[12:13], v12, v[52:53]
; %bb.16088:                            ;   in Loop: Header=BB6_15550 Depth=2
	s_andn2_saveexec_b64 s[20:21], s[20:21]
; %bb.16089:                            ;   in Loop: Header=BB6_15550 Depth=2
	v_mov_b32_e32 v12, v52
	v_mov_b32_e32 v13, v53
	v_bfe_u32 v14, v52, 23, 1
; %bb.16090:                            ;   in Loop: Header=BB6_15550 Depth=2
	s_or_b64 exec, exec, s[20:21]
	v_lshrrev_b64 v[12:13], 20, v[12:13]
	v_cmp_gt_i32_e32 vcc, 16, v14
	v_cndmask_b32_e32 v13, 0, v13, vcc
	v_cndmask_b32_e32 v12, 7, v12, vcc
	v_cmp_ne_u64_e32 vcc, 0, v[12:13]
	v_cmp_ne_u32_e64 s[20:21], 0, v14
	s_or_b64 s[20:21], s[20:21], vcc
                                        ; implicit-def: $vgpr32
	s_and_saveexec_b64 s[92:93], s[20:21]
	s_xor_b64 s[20:21], exec, s[92:93]
; %bb.16091:                            ;   in Loop: Header=BB6_15550 Depth=2
	v_min_i32_e32 v13, 15, v14
	v_lshl_or_b32 v13, v13, 3, v33
	v_and_or_b32 v32, v12, 7, v13
                                        ; implicit-def: $vgpr33
; %bb.16092:                            ;   in Loop: Header=BB6_15550 Depth=2
	s_andn2_saveexec_b64 s[20:21], s[20:21]
; %bb.16093:                            ;   in Loop: Header=BB6_15550 Depth=2
	v_mov_b32_e32 v32, v33
; %bb.16094:                            ;   in Loop: Header=BB6_15550 Depth=2
	s_or_b64 exec, exec, s[20:21]
.LBB6_16095:                            ;   in Loop: Header=BB6_15550 Depth=2
	s_or_b64 exec, exec, s[90:91]
                                        ; implicit-def: $vgpr33
.LBB6_16096:                            ;   in Loop: Header=BB6_15550 Depth=2
	s_andn2_saveexec_b64 s[20:21], s[88:89]
; %bb.16097:                            ;   in Loop: Header=BB6_15550 Depth=2
	v_or_b32_e32 v32, 0x7e, v33
; %bb.16098:                            ;   in Loop: Header=BB6_15550 Depth=2
	s_or_b64 exec, exec, s[20:21]
                                        ; implicit-def: $vgpr12
.LBB6_16099:                            ;   in Loop: Header=BB6_15550 Depth=2
	s_andn2_saveexec_b64 s[20:21], s[78:79]
; %bb.16100:                            ;   in Loop: Header=BB6_15550 Depth=2
	v_or_b32_sdwa v32, v12, s39 dst_sel:DWORD dst_unused:UNUSED_PAD src0_sel:BYTE_3 src1_sel:DWORD
; %bb.16101:                            ;   in Loop: Header=BB6_15550 Depth=2
	s_or_b64 exec, exec, s[20:21]
	flat_load_ubyte v13, v[10:11] offset:1344 glc slc
	v_mov_b32_e32 v14, 0
	s_waitcnt vmcnt(0) lgkmcnt(0)
	v_cmp_ne_u16_e32 vcc, 0, v13
	s_and_saveexec_b64 s[20:21], vcc
	s_cbranch_execz .LBB6_16107
; %bb.16102:                            ;   in Loop: Header=BB6_15550 Depth=2
	v_cmp_ne_u16_e32 vcc, s48, v13
	v_bfrev_b32_e32 v14, 1
	s_and_saveexec_b64 s[78:79], vcc
	s_cbranch_execz .LBB6_16106
; %bb.16103:                            ;   in Loop: Header=BB6_15550 Depth=2
	v_and_b32_e32 v12, 0xffff, v13
	v_and_b32_e32 v33, 0x7f, v12
	v_cmp_ne_u32_e32 vcc, s39, v33
	v_mov_b32_e32 v14, 0x7f800001
	s_and_saveexec_b64 s[88:89], vcc
	s_cbranch_execz .LBB6_16105
; %bb.16104:                            ;   in Loop: Header=BB6_15550 Depth=2
	v_and_b32_e32 v14, 7, v12
	v_lshrrev_b32_e32 v35, 3, v33
	v_cmp_gt_u32_e32 vcc, 8, v33
	v_ffbh_u32_e32 v33, v14
	v_min_u32_e32 v36, 32, v33
	v_subrev_u32_e32 v33, 28, v36
	v_lshlrev_b64 v[33:34], v33, v[12:13]
	v_sub_u32_e32 v12, 29, v36
	v_and_b32_e32 v33, 7, v33
	v_cndmask_b32_e32 v12, v35, v12, vcc
	v_cndmask_b32_e32 v14, v14, v33, vcc
	v_lshlrev_b32_e32 v13, 24, v13
	v_bfrev_b32_e32 v33, 60
	v_lshlrev_b32_e32 v14, 20, v14
	v_and_b32_e32 v13, 0x80000000, v13
	v_lshl_add_u32 v12, v12, 23, v33
	v_or3_b32 v14, v13, v12, v14
.LBB6_16105:                            ;   in Loop: Header=BB6_15550 Depth=2
	s_or_b64 exec, exec, s[88:89]
.LBB6_16106:                            ;   in Loop: Header=BB6_15550 Depth=2
	s_or_b64 exec, exec, s[78:79]
.LBB6_16107:                            ;   in Loop: Header=BB6_15550 Depth=2
	s_or_b64 exec, exec, s[20:21]
	v_mul_f32_e32 v12, s94, v14
	v_and_b32_e32 v52, 0x7f800000, v12
	v_cmp_ne_u64_e32 vcc, s[46:47], v[52:53]
                                        ; implicit-def: $vgpr33
	s_and_saveexec_b64 s[20:21], vcc
	s_xor_b64 s[78:79], exec, s[20:21]
	s_cbranch_execz .LBB6_16125
; %bb.16108:                            ;   in Loop: Header=BB6_15550 Depth=2
	v_and_b32_e32 v52, 0x7fffffff, v12
	v_cmp_gt_u64_e32 vcc, s[56:57], v[52:53]
	v_and_b32_sdwa v34, v12, s48 dst_sel:DWORD dst_unused:UNUSED_PAD src0_sel:BYTE_3 src1_sel:DWORD
                                        ; implicit-def: $vgpr33
	s_and_saveexec_b64 s[20:21], vcc
	s_xor_b64 s[88:89], exec, s[20:21]
	s_cbranch_execz .LBB6_16122
; %bb.16109:                            ;   in Loop: Header=BB6_15550 Depth=2
	v_cmp_ne_u32_e32 vcc, 0, v12
	v_mov_b32_e32 v33, 0
	s_and_saveexec_b64 s[90:91], vcc
	s_cbranch_execz .LBB6_16121
; %bb.16110:                            ;   in Loop: Header=BB6_15550 Depth=2
	v_bfe_u32 v33, v12, 23, 8
	v_and_b32_e32 v13, 0x7fffff, v12
	v_cmp_gt_u32_e64 s[20:21], s49, v33
	v_sub_u32_e32 v12, 0x79, v33
	v_cmp_eq_u32_e32 vcc, 0, v33
	v_cndmask_b32_e64 v12, 0, v12, s[20:21]
	v_mov_b32_e32 v35, 0x78
	v_cndmask_b32_e32 v35, v12, v35, vcc
	v_or_b32_e32 v14, 0x800000, v13
	v_add_u32_e32 v12, 20, v35
	v_cndmask_b32_e32 v52, v14, v13, vcc
	v_lshlrev_b64 v[12:13], v12, -1
	v_add_u32_e32 v14, 19, v35
	v_lshlrev_b64 v[36:37], v14, 1
	v_bfi_b32 v13, v13, 0, 0
	v_bfi_b32 v12, v12, 0, v52
	v_cmp_eq_u64_e64 s[20:21], v[12:13], v[36:37]
	v_lshrrev_b64 v[12:13], v35, v[52:53]
	v_mov_b32_e32 v14, v13
	v_mov_b32_e32 v13, v12
	s_and_saveexec_b64 s[92:93], s[20:21]
; %bb.16111:                            ;   in Loop: Header=BB6_15550 Depth=2
	v_bfe_u32 v13, v12, 20, 1
	v_add_co_u32_e64 v13, s[20:21], v12, v13
	v_add_co_u32_e64 v13, s[20:21], -1, v13
; %bb.16112:                            ;   in Loop: Header=BB6_15550 Depth=2
	s_or_b64 exec, exec, s[92:93]
	v_add_u32_e32 v14, 0xffffff81, v33
	v_mov_b32_e32 v33, 0xffffff82
	v_cndmask_b32_e32 v14, v14, v33, vcc
	v_lshrrev_b32_e32 v33, 23, v12
	v_add3_u32 v35, v35, v14, v33
	v_add_u32_e32 v33, 6, v35
	v_and_b32_e32 v13, 0xfffff, v13
	v_add_u32_e32 v52, v13, v12
	v_cmp_ne_u32_e32 vcc, 0, v33
                                        ; implicit-def: $vgpr12_vgpr13
                                        ; implicit-def: $vgpr14
	s_and_saveexec_b64 s[20:21], vcc
	s_xor_b64 s[20:21], exec, s[20:21]
; %bb.16113:                            ;   in Loop: Header=BB6_15550 Depth=2
	v_cmp_lt_u64_e32 vcc, s[58:59], v[52:53]
	v_add_u32_e32 v12, 7, v35
	v_cndmask_b32_e32 v14, v33, v12, vcc
	v_cndmask_b32_e64 v12, 0, 1, vcc
	v_lshrrev_b64 v[12:13], v12, v[52:53]
; %bb.16114:                            ;   in Loop: Header=BB6_15550 Depth=2
	s_andn2_saveexec_b64 s[20:21], s[20:21]
; %bb.16115:                            ;   in Loop: Header=BB6_15550 Depth=2
	v_mov_b32_e32 v12, v52
	v_mov_b32_e32 v13, v53
	v_bfe_u32 v14, v52, 23, 1
; %bb.16116:                            ;   in Loop: Header=BB6_15550 Depth=2
	s_or_b64 exec, exec, s[20:21]
	v_lshrrev_b64 v[12:13], 20, v[12:13]
	v_cmp_gt_i32_e32 vcc, 16, v14
	v_cndmask_b32_e32 v13, 0, v13, vcc
	v_cndmask_b32_e32 v12, 7, v12, vcc
	v_cmp_ne_u64_e32 vcc, 0, v[12:13]
	v_cmp_ne_u32_e64 s[20:21], 0, v14
	s_or_b64 s[20:21], s[20:21], vcc
                                        ; implicit-def: $vgpr33
	s_and_saveexec_b64 s[92:93], s[20:21]
	s_xor_b64 s[20:21], exec, s[92:93]
; %bb.16117:                            ;   in Loop: Header=BB6_15550 Depth=2
	v_min_i32_e32 v13, 15, v14
	v_lshl_or_b32 v13, v13, 3, v34
	v_and_or_b32 v33, v12, 7, v13
                                        ; implicit-def: $vgpr34
; %bb.16118:                            ;   in Loop: Header=BB6_15550 Depth=2
	s_andn2_saveexec_b64 s[20:21], s[20:21]
; %bb.16119:                            ;   in Loop: Header=BB6_15550 Depth=2
	v_mov_b32_e32 v33, v34
; %bb.16120:                            ;   in Loop: Header=BB6_15550 Depth=2
	s_or_b64 exec, exec, s[20:21]
.LBB6_16121:                            ;   in Loop: Header=BB6_15550 Depth=2
	s_or_b64 exec, exec, s[90:91]
                                        ; implicit-def: $vgpr34
.LBB6_16122:                            ;   in Loop: Header=BB6_15550 Depth=2
	s_andn2_saveexec_b64 s[20:21], s[88:89]
; %bb.16123:                            ;   in Loop: Header=BB6_15550 Depth=2
	v_or_b32_e32 v33, 0x7e, v34
; %bb.16124:                            ;   in Loop: Header=BB6_15550 Depth=2
	s_or_b64 exec, exec, s[20:21]
                                        ; implicit-def: $vgpr12
.LBB6_16125:                            ;   in Loop: Header=BB6_15550 Depth=2
	s_andn2_saveexec_b64 s[20:21], s[78:79]
; %bb.16126:                            ;   in Loop: Header=BB6_15550 Depth=2
	v_or_b32_sdwa v33, v12, s39 dst_sel:DWORD dst_unused:UNUSED_PAD src0_sel:BYTE_3 src1_sel:DWORD
; %bb.16127:                            ;   in Loop: Header=BB6_15550 Depth=2
	s_or_b64 exec, exec, s[20:21]
	flat_load_ubyte v13, v[10:11] offset:1408 glc slc
	v_mov_b32_e32 v14, 0
	s_waitcnt vmcnt(0) lgkmcnt(0)
	v_cmp_ne_u16_e32 vcc, 0, v13
	s_and_saveexec_b64 s[20:21], vcc
	s_cbranch_execz .LBB6_16133
; %bb.16128:                            ;   in Loop: Header=BB6_15550 Depth=2
	v_cmp_ne_u16_e32 vcc, s48, v13
	v_bfrev_b32_e32 v14, 1
	s_and_saveexec_b64 s[78:79], vcc
	s_cbranch_execz .LBB6_16132
; %bb.16129:                            ;   in Loop: Header=BB6_15550 Depth=2
	v_and_b32_e32 v12, 0xffff, v13
	v_and_b32_e32 v34, 0x7f, v12
	v_cmp_ne_u32_e32 vcc, s39, v34
	v_mov_b32_e32 v14, 0x7f800001
	s_and_saveexec_b64 s[88:89], vcc
	s_cbranch_execz .LBB6_16131
; %bb.16130:                            ;   in Loop: Header=BB6_15550 Depth=2
	v_and_b32_e32 v14, 7, v12
	v_lshrrev_b32_e32 v36, 3, v34
	v_cmp_gt_u32_e32 vcc, 8, v34
	v_ffbh_u32_e32 v34, v14
	v_min_u32_e32 v37, 32, v34
	v_subrev_u32_e32 v34, 28, v37
	v_lshlrev_b64 v[34:35], v34, v[12:13]
	v_sub_u32_e32 v12, 29, v37
	v_and_b32_e32 v34, 7, v34
	v_cndmask_b32_e32 v12, v36, v12, vcc
	v_cndmask_b32_e32 v14, v14, v34, vcc
	v_lshlrev_b32_e32 v13, 24, v13
	v_bfrev_b32_e32 v34, 60
	v_lshlrev_b32_e32 v14, 20, v14
	v_and_b32_e32 v13, 0x80000000, v13
	v_lshl_add_u32 v12, v12, 23, v34
	v_or3_b32 v14, v13, v12, v14
.LBB6_16131:                            ;   in Loop: Header=BB6_15550 Depth=2
	s_or_b64 exec, exec, s[88:89]
.LBB6_16132:                            ;   in Loop: Header=BB6_15550 Depth=2
	s_or_b64 exec, exec, s[78:79]
.LBB6_16133:                            ;   in Loop: Header=BB6_15550 Depth=2
	s_or_b64 exec, exec, s[20:21]
	v_mul_f32_e32 v12, s94, v14
	v_and_b32_e32 v52, 0x7f800000, v12
	v_cmp_ne_u64_e32 vcc, s[46:47], v[52:53]
                                        ; implicit-def: $vgpr34
	s_and_saveexec_b64 s[20:21], vcc
	s_xor_b64 s[78:79], exec, s[20:21]
	s_cbranch_execz .LBB6_16151
; %bb.16134:                            ;   in Loop: Header=BB6_15550 Depth=2
	v_and_b32_e32 v52, 0x7fffffff, v12
	v_cmp_gt_u64_e32 vcc, s[56:57], v[52:53]
	v_and_b32_sdwa v35, v12, s48 dst_sel:DWORD dst_unused:UNUSED_PAD src0_sel:BYTE_3 src1_sel:DWORD
                                        ; implicit-def: $vgpr34
	s_and_saveexec_b64 s[20:21], vcc
	s_xor_b64 s[88:89], exec, s[20:21]
	s_cbranch_execz .LBB6_16148
; %bb.16135:                            ;   in Loop: Header=BB6_15550 Depth=2
	v_cmp_ne_u32_e32 vcc, 0, v12
	v_mov_b32_e32 v34, 0
	s_and_saveexec_b64 s[90:91], vcc
	s_cbranch_execz .LBB6_16147
; %bb.16136:                            ;   in Loop: Header=BB6_15550 Depth=2
	v_bfe_u32 v34, v12, 23, 8
	v_and_b32_e32 v13, 0x7fffff, v12
	v_cmp_gt_u32_e64 s[20:21], s49, v34
	v_sub_u32_e32 v12, 0x79, v34
	v_cmp_eq_u32_e32 vcc, 0, v34
	v_cndmask_b32_e64 v12, 0, v12, s[20:21]
	v_mov_b32_e32 v36, 0x78
	v_cndmask_b32_e32 v36, v12, v36, vcc
	v_or_b32_e32 v14, 0x800000, v13
	v_add_u32_e32 v12, 20, v36
	v_cndmask_b32_e32 v52, v14, v13, vcc
	v_lshlrev_b64 v[12:13], v12, -1
	v_add_u32_e32 v14, 19, v36
	v_lshlrev_b64 v[37:38], v14, 1
	v_bfi_b32 v13, v13, 0, 0
	v_bfi_b32 v12, v12, 0, v52
	v_cmp_eq_u64_e64 s[20:21], v[12:13], v[37:38]
	v_lshrrev_b64 v[12:13], v36, v[52:53]
	v_mov_b32_e32 v14, v13
	v_mov_b32_e32 v13, v12
	s_and_saveexec_b64 s[92:93], s[20:21]
; %bb.16137:                            ;   in Loop: Header=BB6_15550 Depth=2
	v_bfe_u32 v13, v12, 20, 1
	v_add_co_u32_e64 v13, s[20:21], v12, v13
	v_add_co_u32_e64 v13, s[20:21], -1, v13
; %bb.16138:                            ;   in Loop: Header=BB6_15550 Depth=2
	s_or_b64 exec, exec, s[92:93]
	v_add_u32_e32 v14, 0xffffff81, v34
	v_mov_b32_e32 v34, 0xffffff82
	v_cndmask_b32_e32 v14, v14, v34, vcc
	v_lshrrev_b32_e32 v34, 23, v12
	v_add3_u32 v36, v36, v14, v34
	v_add_u32_e32 v34, 6, v36
	v_and_b32_e32 v13, 0xfffff, v13
	v_add_u32_e32 v52, v13, v12
	v_cmp_ne_u32_e32 vcc, 0, v34
                                        ; implicit-def: $vgpr12_vgpr13
                                        ; implicit-def: $vgpr14
	s_and_saveexec_b64 s[20:21], vcc
	s_xor_b64 s[20:21], exec, s[20:21]
; %bb.16139:                            ;   in Loop: Header=BB6_15550 Depth=2
	v_cmp_lt_u64_e32 vcc, s[58:59], v[52:53]
	v_add_u32_e32 v12, 7, v36
	v_cndmask_b32_e32 v14, v34, v12, vcc
	v_cndmask_b32_e64 v12, 0, 1, vcc
	v_lshrrev_b64 v[12:13], v12, v[52:53]
; %bb.16140:                            ;   in Loop: Header=BB6_15550 Depth=2
	s_andn2_saveexec_b64 s[20:21], s[20:21]
; %bb.16141:                            ;   in Loop: Header=BB6_15550 Depth=2
	v_mov_b32_e32 v12, v52
	v_mov_b32_e32 v13, v53
	v_bfe_u32 v14, v52, 23, 1
; %bb.16142:                            ;   in Loop: Header=BB6_15550 Depth=2
	s_or_b64 exec, exec, s[20:21]
	v_lshrrev_b64 v[12:13], 20, v[12:13]
	v_cmp_gt_i32_e32 vcc, 16, v14
	v_cndmask_b32_e32 v13, 0, v13, vcc
	v_cndmask_b32_e32 v12, 7, v12, vcc
	v_cmp_ne_u64_e32 vcc, 0, v[12:13]
	v_cmp_ne_u32_e64 s[20:21], 0, v14
	s_or_b64 s[20:21], s[20:21], vcc
                                        ; implicit-def: $vgpr34
	s_and_saveexec_b64 s[92:93], s[20:21]
	s_xor_b64 s[20:21], exec, s[92:93]
; %bb.16143:                            ;   in Loop: Header=BB6_15550 Depth=2
	v_min_i32_e32 v13, 15, v14
	v_lshl_or_b32 v13, v13, 3, v35
	v_and_or_b32 v34, v12, 7, v13
                                        ; implicit-def: $vgpr35
; %bb.16144:                            ;   in Loop: Header=BB6_15550 Depth=2
	s_andn2_saveexec_b64 s[20:21], s[20:21]
; %bb.16145:                            ;   in Loop: Header=BB6_15550 Depth=2
	v_mov_b32_e32 v34, v35
; %bb.16146:                            ;   in Loop: Header=BB6_15550 Depth=2
	s_or_b64 exec, exec, s[20:21]
.LBB6_16147:                            ;   in Loop: Header=BB6_15550 Depth=2
	s_or_b64 exec, exec, s[90:91]
                                        ; implicit-def: $vgpr35
.LBB6_16148:                            ;   in Loop: Header=BB6_15550 Depth=2
	s_andn2_saveexec_b64 s[20:21], s[88:89]
; %bb.16149:                            ;   in Loop: Header=BB6_15550 Depth=2
	v_or_b32_e32 v34, 0x7e, v35
; %bb.16150:                            ;   in Loop: Header=BB6_15550 Depth=2
	s_or_b64 exec, exec, s[20:21]
                                        ; implicit-def: $vgpr12
.LBB6_16151:                            ;   in Loop: Header=BB6_15550 Depth=2
	s_andn2_saveexec_b64 s[20:21], s[78:79]
; %bb.16152:                            ;   in Loop: Header=BB6_15550 Depth=2
	v_or_b32_sdwa v34, v12, s39 dst_sel:DWORD dst_unused:UNUSED_PAD src0_sel:BYTE_3 src1_sel:DWORD
; %bb.16153:                            ;   in Loop: Header=BB6_15550 Depth=2
	s_or_b64 exec, exec, s[20:21]
	flat_load_ubyte v13, v[10:11] offset:1472 glc slc
	v_mov_b32_e32 v14, 0
	s_waitcnt vmcnt(0) lgkmcnt(0)
	v_cmp_ne_u16_e32 vcc, 0, v13
	s_and_saveexec_b64 s[20:21], vcc
	s_cbranch_execz .LBB6_16159
; %bb.16154:                            ;   in Loop: Header=BB6_15550 Depth=2
	v_cmp_ne_u16_e32 vcc, s48, v13
	v_bfrev_b32_e32 v14, 1
	s_and_saveexec_b64 s[78:79], vcc
	s_cbranch_execz .LBB6_16158
; %bb.16155:                            ;   in Loop: Header=BB6_15550 Depth=2
	v_and_b32_e32 v12, 0xffff, v13
	v_and_b32_e32 v35, 0x7f, v12
	v_cmp_ne_u32_e32 vcc, s39, v35
	v_mov_b32_e32 v14, 0x7f800001
	s_and_saveexec_b64 s[88:89], vcc
	s_cbranch_execz .LBB6_16157
; %bb.16156:                            ;   in Loop: Header=BB6_15550 Depth=2
	v_and_b32_e32 v14, 7, v12
	v_lshrrev_b32_e32 v37, 3, v35
	v_cmp_gt_u32_e32 vcc, 8, v35
	v_ffbh_u32_e32 v35, v14
	v_min_u32_e32 v38, 32, v35
	v_subrev_u32_e32 v35, 28, v38
	v_lshlrev_b64 v[35:36], v35, v[12:13]
	v_sub_u32_e32 v12, 29, v38
	v_and_b32_e32 v35, 7, v35
	v_cndmask_b32_e32 v12, v37, v12, vcc
	v_cndmask_b32_e32 v14, v14, v35, vcc
	v_lshlrev_b32_e32 v13, 24, v13
	v_bfrev_b32_e32 v35, 60
	v_lshlrev_b32_e32 v14, 20, v14
	v_and_b32_e32 v13, 0x80000000, v13
	v_lshl_add_u32 v12, v12, 23, v35
	v_or3_b32 v14, v13, v12, v14
.LBB6_16157:                            ;   in Loop: Header=BB6_15550 Depth=2
	s_or_b64 exec, exec, s[88:89]
.LBB6_16158:                            ;   in Loop: Header=BB6_15550 Depth=2
	s_or_b64 exec, exec, s[78:79]
.LBB6_16159:                            ;   in Loop: Header=BB6_15550 Depth=2
	s_or_b64 exec, exec, s[20:21]
	v_mul_f32_e32 v12, s94, v14
	v_and_b32_e32 v52, 0x7f800000, v12
	v_cmp_ne_u64_e32 vcc, s[46:47], v[52:53]
                                        ; implicit-def: $vgpr35
	s_and_saveexec_b64 s[20:21], vcc
	s_xor_b64 s[78:79], exec, s[20:21]
	s_cbranch_execz .LBB6_16177
; %bb.16160:                            ;   in Loop: Header=BB6_15550 Depth=2
	v_and_b32_e32 v52, 0x7fffffff, v12
	v_cmp_gt_u64_e32 vcc, s[56:57], v[52:53]
	v_and_b32_sdwa v36, v12, s48 dst_sel:DWORD dst_unused:UNUSED_PAD src0_sel:BYTE_3 src1_sel:DWORD
                                        ; implicit-def: $vgpr35
	s_and_saveexec_b64 s[20:21], vcc
	s_xor_b64 s[88:89], exec, s[20:21]
	s_cbranch_execz .LBB6_16174
; %bb.16161:                            ;   in Loop: Header=BB6_15550 Depth=2
	v_cmp_ne_u32_e32 vcc, 0, v12
	v_mov_b32_e32 v35, 0
	s_and_saveexec_b64 s[90:91], vcc
	s_cbranch_execz .LBB6_16173
; %bb.16162:                            ;   in Loop: Header=BB6_15550 Depth=2
	v_bfe_u32 v35, v12, 23, 8
	v_and_b32_e32 v13, 0x7fffff, v12
	v_cmp_gt_u32_e64 s[20:21], s49, v35
	v_sub_u32_e32 v12, 0x79, v35
	v_cmp_eq_u32_e32 vcc, 0, v35
	v_cndmask_b32_e64 v12, 0, v12, s[20:21]
	v_mov_b32_e32 v37, 0x78
	v_cndmask_b32_e32 v37, v12, v37, vcc
	v_or_b32_e32 v14, 0x800000, v13
	v_add_u32_e32 v12, 20, v37
	v_cndmask_b32_e32 v52, v14, v13, vcc
	v_lshlrev_b64 v[12:13], v12, -1
	v_add_u32_e32 v14, 19, v37
	v_lshlrev_b64 v[38:39], v14, 1
	v_bfi_b32 v13, v13, 0, 0
	v_bfi_b32 v12, v12, 0, v52
	v_cmp_eq_u64_e64 s[20:21], v[12:13], v[38:39]
	v_lshrrev_b64 v[12:13], v37, v[52:53]
	v_mov_b32_e32 v14, v13
	v_mov_b32_e32 v13, v12
	s_and_saveexec_b64 s[92:93], s[20:21]
; %bb.16163:                            ;   in Loop: Header=BB6_15550 Depth=2
	v_bfe_u32 v13, v12, 20, 1
	v_add_co_u32_e64 v13, s[20:21], v12, v13
	v_add_co_u32_e64 v13, s[20:21], -1, v13
; %bb.16164:                            ;   in Loop: Header=BB6_15550 Depth=2
	s_or_b64 exec, exec, s[92:93]
	v_add_u32_e32 v14, 0xffffff81, v35
	v_mov_b32_e32 v35, 0xffffff82
	v_cndmask_b32_e32 v14, v14, v35, vcc
	v_lshrrev_b32_e32 v35, 23, v12
	v_add3_u32 v37, v37, v14, v35
	v_add_u32_e32 v35, 6, v37
	v_and_b32_e32 v13, 0xfffff, v13
	v_add_u32_e32 v52, v13, v12
	v_cmp_ne_u32_e32 vcc, 0, v35
                                        ; implicit-def: $vgpr12_vgpr13
                                        ; implicit-def: $vgpr14
	s_and_saveexec_b64 s[20:21], vcc
	s_xor_b64 s[20:21], exec, s[20:21]
; %bb.16165:                            ;   in Loop: Header=BB6_15550 Depth=2
	v_cmp_lt_u64_e32 vcc, s[58:59], v[52:53]
	v_add_u32_e32 v12, 7, v37
	v_cndmask_b32_e32 v14, v35, v12, vcc
	v_cndmask_b32_e64 v12, 0, 1, vcc
	v_lshrrev_b64 v[12:13], v12, v[52:53]
; %bb.16166:                            ;   in Loop: Header=BB6_15550 Depth=2
	s_andn2_saveexec_b64 s[20:21], s[20:21]
; %bb.16167:                            ;   in Loop: Header=BB6_15550 Depth=2
	v_mov_b32_e32 v12, v52
	v_mov_b32_e32 v13, v53
	v_bfe_u32 v14, v52, 23, 1
; %bb.16168:                            ;   in Loop: Header=BB6_15550 Depth=2
	s_or_b64 exec, exec, s[20:21]
	v_lshrrev_b64 v[12:13], 20, v[12:13]
	v_cmp_gt_i32_e32 vcc, 16, v14
	v_cndmask_b32_e32 v13, 0, v13, vcc
	v_cndmask_b32_e32 v12, 7, v12, vcc
	v_cmp_ne_u64_e32 vcc, 0, v[12:13]
	v_cmp_ne_u32_e64 s[20:21], 0, v14
	s_or_b64 s[20:21], s[20:21], vcc
                                        ; implicit-def: $vgpr35
	s_and_saveexec_b64 s[92:93], s[20:21]
	s_xor_b64 s[20:21], exec, s[92:93]
; %bb.16169:                            ;   in Loop: Header=BB6_15550 Depth=2
	v_min_i32_e32 v13, 15, v14
	v_lshl_or_b32 v13, v13, 3, v36
	v_and_or_b32 v35, v12, 7, v13
                                        ; implicit-def: $vgpr36
; %bb.16170:                            ;   in Loop: Header=BB6_15550 Depth=2
	s_andn2_saveexec_b64 s[20:21], s[20:21]
; %bb.16171:                            ;   in Loop: Header=BB6_15550 Depth=2
	v_mov_b32_e32 v35, v36
; %bb.16172:                            ;   in Loop: Header=BB6_15550 Depth=2
	s_or_b64 exec, exec, s[20:21]
.LBB6_16173:                            ;   in Loop: Header=BB6_15550 Depth=2
	s_or_b64 exec, exec, s[90:91]
                                        ; implicit-def: $vgpr36
.LBB6_16174:                            ;   in Loop: Header=BB6_15550 Depth=2
	s_andn2_saveexec_b64 s[20:21], s[88:89]
; %bb.16175:                            ;   in Loop: Header=BB6_15550 Depth=2
	v_or_b32_e32 v35, 0x7e, v36
; %bb.16176:                            ;   in Loop: Header=BB6_15550 Depth=2
	s_or_b64 exec, exec, s[20:21]
                                        ; implicit-def: $vgpr12
.LBB6_16177:                            ;   in Loop: Header=BB6_15550 Depth=2
	s_andn2_saveexec_b64 s[20:21], s[78:79]
; %bb.16178:                            ;   in Loop: Header=BB6_15550 Depth=2
	v_or_b32_sdwa v35, v12, s39 dst_sel:DWORD dst_unused:UNUSED_PAD src0_sel:BYTE_3 src1_sel:DWORD
; %bb.16179:                            ;   in Loop: Header=BB6_15550 Depth=2
	s_or_b64 exec, exec, s[20:21]
	flat_load_ubyte v13, v[10:11] offset:1536 glc slc
	v_mov_b32_e32 v14, 0
	s_waitcnt vmcnt(0) lgkmcnt(0)
	v_cmp_ne_u16_e32 vcc, 0, v13
	s_and_saveexec_b64 s[20:21], vcc
	s_cbranch_execz .LBB6_16185
; %bb.16180:                            ;   in Loop: Header=BB6_15550 Depth=2
	v_cmp_ne_u16_e32 vcc, s48, v13
	v_bfrev_b32_e32 v14, 1
	s_and_saveexec_b64 s[78:79], vcc
	s_cbranch_execz .LBB6_16184
; %bb.16181:                            ;   in Loop: Header=BB6_15550 Depth=2
	v_and_b32_e32 v12, 0xffff, v13
	v_and_b32_e32 v36, 0x7f, v12
	v_cmp_ne_u32_e32 vcc, s39, v36
	v_mov_b32_e32 v14, 0x7f800001
	s_and_saveexec_b64 s[88:89], vcc
	s_cbranch_execz .LBB6_16183
; %bb.16182:                            ;   in Loop: Header=BB6_15550 Depth=2
	v_and_b32_e32 v14, 7, v12
	v_lshrrev_b32_e32 v38, 3, v36
	v_cmp_gt_u32_e32 vcc, 8, v36
	v_ffbh_u32_e32 v36, v14
	v_min_u32_e32 v39, 32, v36
	v_subrev_u32_e32 v36, 28, v39
	v_lshlrev_b64 v[36:37], v36, v[12:13]
	v_sub_u32_e32 v12, 29, v39
	v_and_b32_e32 v36, 7, v36
	v_cndmask_b32_e32 v12, v38, v12, vcc
	v_cndmask_b32_e32 v14, v14, v36, vcc
	v_lshlrev_b32_e32 v13, 24, v13
	v_bfrev_b32_e32 v36, 60
	v_lshlrev_b32_e32 v14, 20, v14
	v_and_b32_e32 v13, 0x80000000, v13
	v_lshl_add_u32 v12, v12, 23, v36
	v_or3_b32 v14, v13, v12, v14
.LBB6_16183:                            ;   in Loop: Header=BB6_15550 Depth=2
	s_or_b64 exec, exec, s[88:89]
.LBB6_16184:                            ;   in Loop: Header=BB6_15550 Depth=2
	s_or_b64 exec, exec, s[78:79]
.LBB6_16185:                            ;   in Loop: Header=BB6_15550 Depth=2
	s_or_b64 exec, exec, s[20:21]
	v_mul_f32_e32 v12, s94, v14
	v_and_b32_e32 v52, 0x7f800000, v12
	v_cmp_ne_u64_e32 vcc, s[46:47], v[52:53]
                                        ; implicit-def: $vgpr36
	s_and_saveexec_b64 s[20:21], vcc
	s_xor_b64 s[78:79], exec, s[20:21]
	s_cbranch_execz .LBB6_16203
; %bb.16186:                            ;   in Loop: Header=BB6_15550 Depth=2
	v_and_b32_e32 v52, 0x7fffffff, v12
	v_cmp_gt_u64_e32 vcc, s[56:57], v[52:53]
	v_and_b32_sdwa v37, v12, s48 dst_sel:DWORD dst_unused:UNUSED_PAD src0_sel:BYTE_3 src1_sel:DWORD
                                        ; implicit-def: $vgpr36
	s_and_saveexec_b64 s[20:21], vcc
	s_xor_b64 s[88:89], exec, s[20:21]
	s_cbranch_execz .LBB6_16200
; %bb.16187:                            ;   in Loop: Header=BB6_15550 Depth=2
	v_cmp_ne_u32_e32 vcc, 0, v12
	v_mov_b32_e32 v36, 0
	s_and_saveexec_b64 s[90:91], vcc
	s_cbranch_execz .LBB6_16199
; %bb.16188:                            ;   in Loop: Header=BB6_15550 Depth=2
	v_bfe_u32 v36, v12, 23, 8
	v_and_b32_e32 v13, 0x7fffff, v12
	v_cmp_gt_u32_e64 s[20:21], s49, v36
	v_sub_u32_e32 v12, 0x79, v36
	v_cmp_eq_u32_e32 vcc, 0, v36
	v_cndmask_b32_e64 v12, 0, v12, s[20:21]
	v_mov_b32_e32 v38, 0x78
	v_cndmask_b32_e32 v38, v12, v38, vcc
	v_or_b32_e32 v14, 0x800000, v13
	v_add_u32_e32 v12, 20, v38
	v_cndmask_b32_e32 v52, v14, v13, vcc
	v_lshlrev_b64 v[12:13], v12, -1
	v_add_u32_e32 v14, 19, v38
	v_lshlrev_b64 v[48:49], v14, 1
	v_bfi_b32 v13, v13, 0, 0
	v_bfi_b32 v12, v12, 0, v52
	v_cmp_eq_u64_e64 s[20:21], v[12:13], v[48:49]
	v_lshrrev_b64 v[12:13], v38, v[52:53]
	v_mov_b32_e32 v14, v13
	v_mov_b32_e32 v13, v12
	s_and_saveexec_b64 s[92:93], s[20:21]
; %bb.16189:                            ;   in Loop: Header=BB6_15550 Depth=2
	v_bfe_u32 v13, v12, 20, 1
	v_add_co_u32_e64 v13, s[20:21], v12, v13
	v_add_co_u32_e64 v13, s[20:21], -1, v13
; %bb.16190:                            ;   in Loop: Header=BB6_15550 Depth=2
	s_or_b64 exec, exec, s[92:93]
	v_add_u32_e32 v14, 0xffffff81, v36
	v_mov_b32_e32 v36, 0xffffff82
	v_cndmask_b32_e32 v14, v14, v36, vcc
	v_lshrrev_b32_e32 v36, 23, v12
	v_add3_u32 v38, v38, v14, v36
	v_add_u32_e32 v36, 6, v38
	v_and_b32_e32 v13, 0xfffff, v13
	v_add_u32_e32 v52, v13, v12
	v_cmp_ne_u32_e32 vcc, 0, v36
                                        ; implicit-def: $vgpr12_vgpr13
                                        ; implicit-def: $vgpr14
	s_and_saveexec_b64 s[20:21], vcc
	s_xor_b64 s[20:21], exec, s[20:21]
; %bb.16191:                            ;   in Loop: Header=BB6_15550 Depth=2
	v_cmp_lt_u64_e32 vcc, s[58:59], v[52:53]
	v_add_u32_e32 v12, 7, v38
	v_cndmask_b32_e32 v14, v36, v12, vcc
	v_cndmask_b32_e64 v12, 0, 1, vcc
	v_lshrrev_b64 v[12:13], v12, v[52:53]
; %bb.16192:                            ;   in Loop: Header=BB6_15550 Depth=2
	s_andn2_saveexec_b64 s[20:21], s[20:21]
; %bb.16193:                            ;   in Loop: Header=BB6_15550 Depth=2
	v_mov_b32_e32 v12, v52
	v_mov_b32_e32 v13, v53
	v_bfe_u32 v14, v52, 23, 1
; %bb.16194:                            ;   in Loop: Header=BB6_15550 Depth=2
	s_or_b64 exec, exec, s[20:21]
	v_lshrrev_b64 v[12:13], 20, v[12:13]
	v_cmp_gt_i32_e32 vcc, 16, v14
	v_cndmask_b32_e32 v13, 0, v13, vcc
	v_cndmask_b32_e32 v12, 7, v12, vcc
	v_cmp_ne_u64_e32 vcc, 0, v[12:13]
	v_cmp_ne_u32_e64 s[20:21], 0, v14
	s_or_b64 s[20:21], s[20:21], vcc
                                        ; implicit-def: $vgpr36
	s_and_saveexec_b64 s[92:93], s[20:21]
	s_xor_b64 s[20:21], exec, s[92:93]
; %bb.16195:                            ;   in Loop: Header=BB6_15550 Depth=2
	v_min_i32_e32 v13, 15, v14
	v_lshl_or_b32 v13, v13, 3, v37
	v_and_or_b32 v36, v12, 7, v13
                                        ; implicit-def: $vgpr37
; %bb.16196:                            ;   in Loop: Header=BB6_15550 Depth=2
	s_andn2_saveexec_b64 s[20:21], s[20:21]
; %bb.16197:                            ;   in Loop: Header=BB6_15550 Depth=2
	v_mov_b32_e32 v36, v37
; %bb.16198:                            ;   in Loop: Header=BB6_15550 Depth=2
	s_or_b64 exec, exec, s[20:21]
.LBB6_16199:                            ;   in Loop: Header=BB6_15550 Depth=2
	s_or_b64 exec, exec, s[90:91]
                                        ; implicit-def: $vgpr37
.LBB6_16200:                            ;   in Loop: Header=BB6_15550 Depth=2
	s_andn2_saveexec_b64 s[20:21], s[88:89]
; %bb.16201:                            ;   in Loop: Header=BB6_15550 Depth=2
	v_or_b32_e32 v36, 0x7e, v37
; %bb.16202:                            ;   in Loop: Header=BB6_15550 Depth=2
	s_or_b64 exec, exec, s[20:21]
                                        ; implicit-def: $vgpr12
.LBB6_16203:                            ;   in Loop: Header=BB6_15550 Depth=2
	s_andn2_saveexec_b64 s[20:21], s[78:79]
; %bb.16204:                            ;   in Loop: Header=BB6_15550 Depth=2
	v_or_b32_sdwa v36, v12, s39 dst_sel:DWORD dst_unused:UNUSED_PAD src0_sel:BYTE_3 src1_sel:DWORD
; %bb.16205:                            ;   in Loop: Header=BB6_15550 Depth=2
	s_or_b64 exec, exec, s[20:21]
	flat_load_ubyte v13, v[10:11] offset:1600 glc slc
	v_mov_b32_e32 v14, 0
	s_waitcnt vmcnt(0) lgkmcnt(0)
	v_cmp_ne_u16_e32 vcc, 0, v13
	s_and_saveexec_b64 s[20:21], vcc
	s_cbranch_execz .LBB6_16211
; %bb.16206:                            ;   in Loop: Header=BB6_15550 Depth=2
	v_cmp_ne_u16_e32 vcc, s48, v13
	v_bfrev_b32_e32 v14, 1
	s_and_saveexec_b64 s[78:79], vcc
	s_cbranch_execz .LBB6_16210
; %bb.16207:                            ;   in Loop: Header=BB6_15550 Depth=2
	v_and_b32_e32 v12, 0xffff, v13
	v_and_b32_e32 v37, 0x7f, v12
	v_cmp_ne_u32_e32 vcc, s39, v37
	v_mov_b32_e32 v14, 0x7f800001
	s_and_saveexec_b64 s[88:89], vcc
	s_cbranch_execz .LBB6_16209
; %bb.16208:                            ;   in Loop: Header=BB6_15550 Depth=2
	v_and_b32_e32 v14, 7, v12
	v_lshrrev_b32_e32 v39, 3, v37
	v_cmp_gt_u32_e32 vcc, 8, v37
	v_ffbh_u32_e32 v37, v14
	v_min_u32_e32 v48, 32, v37
	v_subrev_u32_e32 v37, 28, v48
	v_lshlrev_b64 v[37:38], v37, v[12:13]
	v_sub_u32_e32 v12, 29, v48
	v_and_b32_e32 v37, 7, v37
	v_cndmask_b32_e32 v12, v39, v12, vcc
	v_cndmask_b32_e32 v14, v14, v37, vcc
	v_lshlrev_b32_e32 v13, 24, v13
	v_bfrev_b32_e32 v37, 60
	v_lshlrev_b32_e32 v14, 20, v14
	v_and_b32_e32 v13, 0x80000000, v13
	v_lshl_add_u32 v12, v12, 23, v37
	v_or3_b32 v14, v13, v12, v14
.LBB6_16209:                            ;   in Loop: Header=BB6_15550 Depth=2
	s_or_b64 exec, exec, s[88:89]
.LBB6_16210:                            ;   in Loop: Header=BB6_15550 Depth=2
	s_or_b64 exec, exec, s[78:79]
.LBB6_16211:                            ;   in Loop: Header=BB6_15550 Depth=2
	s_or_b64 exec, exec, s[20:21]
	v_mul_f32_e32 v12, s94, v14
	v_and_b32_e32 v52, 0x7f800000, v12
	v_cmp_ne_u64_e32 vcc, s[46:47], v[52:53]
                                        ; implicit-def: $vgpr37
	s_and_saveexec_b64 s[20:21], vcc
	s_xor_b64 s[78:79], exec, s[20:21]
	s_cbranch_execz .LBB6_16229
; %bb.16212:                            ;   in Loop: Header=BB6_15550 Depth=2
	v_and_b32_e32 v52, 0x7fffffff, v12
	v_cmp_gt_u64_e32 vcc, s[56:57], v[52:53]
	v_and_b32_sdwa v38, v12, s48 dst_sel:DWORD dst_unused:UNUSED_PAD src0_sel:BYTE_3 src1_sel:DWORD
                                        ; implicit-def: $vgpr37
	s_and_saveexec_b64 s[20:21], vcc
	s_xor_b64 s[88:89], exec, s[20:21]
	s_cbranch_execz .LBB6_16226
; %bb.16213:                            ;   in Loop: Header=BB6_15550 Depth=2
	v_cmp_ne_u32_e32 vcc, 0, v12
	v_mov_b32_e32 v37, 0
	s_and_saveexec_b64 s[90:91], vcc
	s_cbranch_execz .LBB6_16225
; %bb.16214:                            ;   in Loop: Header=BB6_15550 Depth=2
	v_bfe_u32 v37, v12, 23, 8
	v_and_b32_e32 v13, 0x7fffff, v12
	v_cmp_gt_u32_e64 s[20:21], s49, v37
	v_sub_u32_e32 v12, 0x79, v37
	v_cmp_eq_u32_e32 vcc, 0, v37
	v_cndmask_b32_e64 v12, 0, v12, s[20:21]
	v_mov_b32_e32 v39, 0x78
	v_cndmask_b32_e32 v39, v12, v39, vcc
	v_or_b32_e32 v14, 0x800000, v13
	v_add_u32_e32 v12, 20, v39
	v_cndmask_b32_e32 v52, v14, v13, vcc
	v_lshlrev_b64 v[12:13], v12, -1
	v_add_u32_e32 v14, 19, v39
	v_lshlrev_b64 v[48:49], v14, 1
	v_bfi_b32 v13, v13, 0, 0
	v_bfi_b32 v12, v12, 0, v52
	v_cmp_eq_u64_e64 s[20:21], v[12:13], v[48:49]
	v_lshrrev_b64 v[12:13], v39, v[52:53]
	v_mov_b32_e32 v14, v13
	v_mov_b32_e32 v13, v12
	s_and_saveexec_b64 s[92:93], s[20:21]
; %bb.16215:                            ;   in Loop: Header=BB6_15550 Depth=2
	v_bfe_u32 v13, v12, 20, 1
	v_add_co_u32_e64 v13, s[20:21], v12, v13
	v_add_co_u32_e64 v13, s[20:21], -1, v13
; %bb.16216:                            ;   in Loop: Header=BB6_15550 Depth=2
	s_or_b64 exec, exec, s[92:93]
	v_add_u32_e32 v14, 0xffffff81, v37
	v_mov_b32_e32 v37, 0xffffff82
	v_cndmask_b32_e32 v14, v14, v37, vcc
	v_lshrrev_b32_e32 v37, 23, v12
	v_add3_u32 v39, v39, v14, v37
	v_add_u32_e32 v37, 6, v39
	v_and_b32_e32 v13, 0xfffff, v13
	v_add_u32_e32 v52, v13, v12
	v_cmp_ne_u32_e32 vcc, 0, v37
                                        ; implicit-def: $vgpr12_vgpr13
                                        ; implicit-def: $vgpr14
	s_and_saveexec_b64 s[20:21], vcc
	s_xor_b64 s[20:21], exec, s[20:21]
; %bb.16217:                            ;   in Loop: Header=BB6_15550 Depth=2
	v_cmp_lt_u64_e32 vcc, s[58:59], v[52:53]
	v_add_u32_e32 v12, 7, v39
	v_cndmask_b32_e32 v14, v37, v12, vcc
	v_cndmask_b32_e64 v12, 0, 1, vcc
	v_lshrrev_b64 v[12:13], v12, v[52:53]
; %bb.16218:                            ;   in Loop: Header=BB6_15550 Depth=2
	s_andn2_saveexec_b64 s[20:21], s[20:21]
; %bb.16219:                            ;   in Loop: Header=BB6_15550 Depth=2
	v_mov_b32_e32 v12, v52
	v_mov_b32_e32 v13, v53
	v_bfe_u32 v14, v52, 23, 1
; %bb.16220:                            ;   in Loop: Header=BB6_15550 Depth=2
	s_or_b64 exec, exec, s[20:21]
	v_lshrrev_b64 v[12:13], 20, v[12:13]
	v_cmp_gt_i32_e32 vcc, 16, v14
	v_cndmask_b32_e32 v13, 0, v13, vcc
	v_cndmask_b32_e32 v12, 7, v12, vcc
	v_cmp_ne_u64_e32 vcc, 0, v[12:13]
	v_cmp_ne_u32_e64 s[20:21], 0, v14
	s_or_b64 s[20:21], s[20:21], vcc
                                        ; implicit-def: $vgpr37
	s_and_saveexec_b64 s[92:93], s[20:21]
	s_xor_b64 s[20:21], exec, s[92:93]
; %bb.16221:                            ;   in Loop: Header=BB6_15550 Depth=2
	v_min_i32_e32 v13, 15, v14
	v_lshl_or_b32 v13, v13, 3, v38
	v_and_or_b32 v37, v12, 7, v13
                                        ; implicit-def: $vgpr38
; %bb.16222:                            ;   in Loop: Header=BB6_15550 Depth=2
	s_andn2_saveexec_b64 s[20:21], s[20:21]
; %bb.16223:                            ;   in Loop: Header=BB6_15550 Depth=2
	v_mov_b32_e32 v37, v38
; %bb.16224:                            ;   in Loop: Header=BB6_15550 Depth=2
	s_or_b64 exec, exec, s[20:21]
.LBB6_16225:                            ;   in Loop: Header=BB6_15550 Depth=2
	s_or_b64 exec, exec, s[90:91]
                                        ; implicit-def: $vgpr38
.LBB6_16226:                            ;   in Loop: Header=BB6_15550 Depth=2
	s_andn2_saveexec_b64 s[20:21], s[88:89]
; %bb.16227:                            ;   in Loop: Header=BB6_15550 Depth=2
	v_or_b32_e32 v37, 0x7e, v38
; %bb.16228:                            ;   in Loop: Header=BB6_15550 Depth=2
	s_or_b64 exec, exec, s[20:21]
                                        ; implicit-def: $vgpr12
.LBB6_16229:                            ;   in Loop: Header=BB6_15550 Depth=2
	s_andn2_saveexec_b64 s[20:21], s[78:79]
; %bb.16230:                            ;   in Loop: Header=BB6_15550 Depth=2
	v_or_b32_sdwa v37, v12, s39 dst_sel:DWORD dst_unused:UNUSED_PAD src0_sel:BYTE_3 src1_sel:DWORD
; %bb.16231:                            ;   in Loop: Header=BB6_15550 Depth=2
	s_or_b64 exec, exec, s[20:21]
	flat_load_ubyte v13, v[10:11] offset:1664 glc slc
	v_mov_b32_e32 v14, 0
	s_waitcnt vmcnt(0) lgkmcnt(0)
	v_cmp_ne_u16_e32 vcc, 0, v13
	s_and_saveexec_b64 s[20:21], vcc
	s_cbranch_execz .LBB6_16237
; %bb.16232:                            ;   in Loop: Header=BB6_15550 Depth=2
	v_cmp_ne_u16_e32 vcc, s48, v13
	v_bfrev_b32_e32 v14, 1
	s_and_saveexec_b64 s[78:79], vcc
	s_cbranch_execz .LBB6_16236
; %bb.16233:                            ;   in Loop: Header=BB6_15550 Depth=2
	v_and_b32_e32 v12, 0xffff, v13
	v_and_b32_e32 v38, 0x7f, v12
	v_cmp_ne_u32_e32 vcc, s39, v38
	v_mov_b32_e32 v14, 0x7f800001
	s_and_saveexec_b64 s[88:89], vcc
	s_cbranch_execz .LBB6_16235
; %bb.16234:                            ;   in Loop: Header=BB6_15550 Depth=2
	v_and_b32_e32 v14, 7, v12
	v_lshrrev_b32_e32 v48, 3, v38
	v_cmp_gt_u32_e32 vcc, 8, v38
	v_ffbh_u32_e32 v38, v14
	v_min_u32_e32 v49, 32, v38
	v_subrev_u32_e32 v38, 28, v49
	v_lshlrev_b64 v[38:39], v38, v[12:13]
	v_sub_u32_e32 v12, 29, v49
	v_and_b32_e32 v38, 7, v38
	v_cndmask_b32_e32 v12, v48, v12, vcc
	v_cndmask_b32_e32 v14, v14, v38, vcc
	v_lshlrev_b32_e32 v13, 24, v13
	v_bfrev_b32_e32 v38, 60
	v_lshlrev_b32_e32 v14, 20, v14
	v_and_b32_e32 v13, 0x80000000, v13
	v_lshl_add_u32 v12, v12, 23, v38
	v_or3_b32 v14, v13, v12, v14
.LBB6_16235:                            ;   in Loop: Header=BB6_15550 Depth=2
	s_or_b64 exec, exec, s[88:89]
.LBB6_16236:                            ;   in Loop: Header=BB6_15550 Depth=2
	s_or_b64 exec, exec, s[78:79]
.LBB6_16237:                            ;   in Loop: Header=BB6_15550 Depth=2
	s_or_b64 exec, exec, s[20:21]
	v_mul_f32_e32 v12, s94, v14
	v_and_b32_e32 v52, 0x7f800000, v12
	v_cmp_ne_u64_e32 vcc, s[46:47], v[52:53]
                                        ; implicit-def: $vgpr38
	s_and_saveexec_b64 s[20:21], vcc
	s_xor_b64 s[78:79], exec, s[20:21]
	s_cbranch_execz .LBB6_16255
; %bb.16238:                            ;   in Loop: Header=BB6_15550 Depth=2
	v_and_b32_e32 v52, 0x7fffffff, v12
	v_cmp_gt_u64_e32 vcc, s[56:57], v[52:53]
	v_and_b32_sdwa v39, v12, s48 dst_sel:DWORD dst_unused:UNUSED_PAD src0_sel:BYTE_3 src1_sel:DWORD
                                        ; implicit-def: $vgpr38
	s_and_saveexec_b64 s[20:21], vcc
	s_xor_b64 s[88:89], exec, s[20:21]
	s_cbranch_execz .LBB6_16252
; %bb.16239:                            ;   in Loop: Header=BB6_15550 Depth=2
	v_cmp_ne_u32_e32 vcc, 0, v12
	v_mov_b32_e32 v38, 0
	s_and_saveexec_b64 s[90:91], vcc
	s_cbranch_execz .LBB6_16251
; %bb.16240:                            ;   in Loop: Header=BB6_15550 Depth=2
	v_bfe_u32 v38, v12, 23, 8
	v_and_b32_e32 v13, 0x7fffff, v12
	v_cmp_gt_u32_e64 s[20:21], s49, v38
	v_sub_u32_e32 v12, 0x79, v38
	v_cmp_eq_u32_e32 vcc, 0, v38
	v_cndmask_b32_e64 v12, 0, v12, s[20:21]
	v_mov_b32_e32 v48, 0x78
	v_cndmask_b32_e32 v48, v12, v48, vcc
	v_or_b32_e32 v14, 0x800000, v13
	v_add_u32_e32 v12, 20, v48
	v_cndmask_b32_e32 v52, v14, v13, vcc
	v_lshlrev_b64 v[12:13], v12, -1
	v_add_u32_e32 v14, 19, v48
	v_lshlrev_b64 v[49:50], v14, 1
	v_bfi_b32 v13, v13, 0, 0
	v_bfi_b32 v12, v12, 0, v52
	v_cmp_eq_u64_e64 s[20:21], v[12:13], v[49:50]
	v_lshrrev_b64 v[12:13], v48, v[52:53]
	v_mov_b32_e32 v14, v13
	v_mov_b32_e32 v13, v12
	s_and_saveexec_b64 s[92:93], s[20:21]
; %bb.16241:                            ;   in Loop: Header=BB6_15550 Depth=2
	v_bfe_u32 v13, v12, 20, 1
	v_add_co_u32_e64 v13, s[20:21], v12, v13
	v_add_co_u32_e64 v13, s[20:21], -1, v13
; %bb.16242:                            ;   in Loop: Header=BB6_15550 Depth=2
	s_or_b64 exec, exec, s[92:93]
	v_add_u32_e32 v14, 0xffffff81, v38
	v_mov_b32_e32 v38, 0xffffff82
	v_cndmask_b32_e32 v14, v14, v38, vcc
	v_lshrrev_b32_e32 v38, 23, v12
	v_add3_u32 v48, v48, v14, v38
	v_add_u32_e32 v38, 6, v48
	v_and_b32_e32 v13, 0xfffff, v13
	v_add_u32_e32 v52, v13, v12
	v_cmp_ne_u32_e32 vcc, 0, v38
                                        ; implicit-def: $vgpr12_vgpr13
                                        ; implicit-def: $vgpr14
	s_and_saveexec_b64 s[20:21], vcc
	s_xor_b64 s[20:21], exec, s[20:21]
; %bb.16243:                            ;   in Loop: Header=BB6_15550 Depth=2
	v_cmp_lt_u64_e32 vcc, s[58:59], v[52:53]
	v_add_u32_e32 v12, 7, v48
	v_cndmask_b32_e32 v14, v38, v12, vcc
	v_cndmask_b32_e64 v12, 0, 1, vcc
	v_lshrrev_b64 v[12:13], v12, v[52:53]
; %bb.16244:                            ;   in Loop: Header=BB6_15550 Depth=2
	s_andn2_saveexec_b64 s[20:21], s[20:21]
; %bb.16245:                            ;   in Loop: Header=BB6_15550 Depth=2
	v_mov_b32_e32 v12, v52
	v_mov_b32_e32 v13, v53
	v_bfe_u32 v14, v52, 23, 1
; %bb.16246:                            ;   in Loop: Header=BB6_15550 Depth=2
	s_or_b64 exec, exec, s[20:21]
	v_lshrrev_b64 v[12:13], 20, v[12:13]
	v_cmp_gt_i32_e32 vcc, 16, v14
	v_cndmask_b32_e32 v13, 0, v13, vcc
	v_cndmask_b32_e32 v12, 7, v12, vcc
	v_cmp_ne_u64_e32 vcc, 0, v[12:13]
	v_cmp_ne_u32_e64 s[20:21], 0, v14
	s_or_b64 s[20:21], s[20:21], vcc
                                        ; implicit-def: $vgpr38
	s_and_saveexec_b64 s[92:93], s[20:21]
	s_xor_b64 s[20:21], exec, s[92:93]
; %bb.16247:                            ;   in Loop: Header=BB6_15550 Depth=2
	v_min_i32_e32 v13, 15, v14
	v_lshl_or_b32 v13, v13, 3, v39
	v_and_or_b32 v38, v12, 7, v13
                                        ; implicit-def: $vgpr39
; %bb.16248:                            ;   in Loop: Header=BB6_15550 Depth=2
	s_andn2_saveexec_b64 s[20:21], s[20:21]
; %bb.16249:                            ;   in Loop: Header=BB6_15550 Depth=2
	v_mov_b32_e32 v38, v39
; %bb.16250:                            ;   in Loop: Header=BB6_15550 Depth=2
	s_or_b64 exec, exec, s[20:21]
.LBB6_16251:                            ;   in Loop: Header=BB6_15550 Depth=2
	s_or_b64 exec, exec, s[90:91]
                                        ; implicit-def: $vgpr39
.LBB6_16252:                            ;   in Loop: Header=BB6_15550 Depth=2
	s_andn2_saveexec_b64 s[20:21], s[88:89]
; %bb.16253:                            ;   in Loop: Header=BB6_15550 Depth=2
	v_or_b32_e32 v38, 0x7e, v39
; %bb.16254:                            ;   in Loop: Header=BB6_15550 Depth=2
	s_or_b64 exec, exec, s[20:21]
                                        ; implicit-def: $vgpr12
.LBB6_16255:                            ;   in Loop: Header=BB6_15550 Depth=2
	s_andn2_saveexec_b64 s[20:21], s[78:79]
; %bb.16256:                            ;   in Loop: Header=BB6_15550 Depth=2
	v_or_b32_sdwa v38, v12, s39 dst_sel:DWORD dst_unused:UNUSED_PAD src0_sel:BYTE_3 src1_sel:DWORD
; %bb.16257:                            ;   in Loop: Header=BB6_15550 Depth=2
	s_or_b64 exec, exec, s[20:21]
	flat_load_ubyte v13, v[10:11] offset:1728 glc slc
	v_mov_b32_e32 v14, 0
	s_waitcnt vmcnt(0) lgkmcnt(0)
	v_cmp_ne_u16_e32 vcc, 0, v13
	s_and_saveexec_b64 s[20:21], vcc
	s_cbranch_execz .LBB6_16263
; %bb.16258:                            ;   in Loop: Header=BB6_15550 Depth=2
	v_cmp_ne_u16_e32 vcc, s48, v13
	v_bfrev_b32_e32 v14, 1
	s_and_saveexec_b64 s[78:79], vcc
	s_cbranch_execz .LBB6_16262
; %bb.16259:                            ;   in Loop: Header=BB6_15550 Depth=2
	v_and_b32_e32 v12, 0xffff, v13
	v_and_b32_e32 v39, 0x7f, v12
	v_cmp_ne_u32_e32 vcc, s39, v39
	v_mov_b32_e32 v14, 0x7f800001
	s_and_saveexec_b64 s[88:89], vcc
	s_cbranch_execz .LBB6_16261
; %bb.16260:                            ;   in Loop: Header=BB6_15550 Depth=2
	v_and_b32_e32 v14, 7, v12
	v_lshrrev_b32_e32 v50, 3, v39
	v_cmp_gt_u32_e32 vcc, 8, v39
	v_ffbh_u32_e32 v39, v14
	v_min_u32_e32 v39, 32, v39
	v_subrev_u32_e32 v48, 28, v39
	v_lshlrev_b64 v[48:49], v48, v[12:13]
	v_sub_u32_e32 v12, 29, v39
	v_and_b32_e32 v39, 7, v48
	v_cndmask_b32_e32 v12, v50, v12, vcc
	v_cndmask_b32_e32 v14, v14, v39, vcc
	v_lshlrev_b32_e32 v13, 24, v13
	v_bfrev_b32_e32 v39, 60
	v_lshlrev_b32_e32 v14, 20, v14
	v_and_b32_e32 v13, 0x80000000, v13
	v_lshl_add_u32 v12, v12, 23, v39
	v_or3_b32 v14, v13, v12, v14
.LBB6_16261:                            ;   in Loop: Header=BB6_15550 Depth=2
	s_or_b64 exec, exec, s[88:89]
.LBB6_16262:                            ;   in Loop: Header=BB6_15550 Depth=2
	s_or_b64 exec, exec, s[78:79]
.LBB6_16263:                            ;   in Loop: Header=BB6_15550 Depth=2
	s_or_b64 exec, exec, s[20:21]
	v_mul_f32_e32 v12, s94, v14
	v_and_b32_e32 v52, 0x7f800000, v12
	v_cmp_ne_u64_e32 vcc, s[46:47], v[52:53]
                                        ; implicit-def: $vgpr39
	s_and_saveexec_b64 s[20:21], vcc
	s_xor_b64 s[78:79], exec, s[20:21]
	s_cbranch_execz .LBB6_16281
; %bb.16264:                            ;   in Loop: Header=BB6_15550 Depth=2
	v_and_b32_e32 v52, 0x7fffffff, v12
	v_cmp_gt_u64_e32 vcc, s[56:57], v[52:53]
	v_and_b32_sdwa v48, v12, s48 dst_sel:DWORD dst_unused:UNUSED_PAD src0_sel:BYTE_3 src1_sel:DWORD
                                        ; implicit-def: $vgpr39
	s_and_saveexec_b64 s[20:21], vcc
	s_xor_b64 s[88:89], exec, s[20:21]
	s_cbranch_execz .LBB6_16278
; %bb.16265:                            ;   in Loop: Header=BB6_15550 Depth=2
	v_cmp_ne_u32_e32 vcc, 0, v12
	v_mov_b32_e32 v39, 0
	s_and_saveexec_b64 s[90:91], vcc
	s_cbranch_execz .LBB6_16277
; %bb.16266:                            ;   in Loop: Header=BB6_15550 Depth=2
	v_bfe_u32 v39, v12, 23, 8
	v_and_b32_e32 v13, 0x7fffff, v12
	v_cmp_gt_u32_e64 s[20:21], s49, v39
	v_sub_u32_e32 v12, 0x79, v39
	v_cmp_eq_u32_e32 vcc, 0, v39
	v_cndmask_b32_e64 v12, 0, v12, s[20:21]
	v_mov_b32_e32 v49, 0x78
	v_cndmask_b32_e32 v49, v12, v49, vcc
	v_or_b32_e32 v14, 0x800000, v13
	v_add_u32_e32 v12, 20, v49
	v_cndmask_b32_e32 v52, v14, v13, vcc
	v_lshlrev_b64 v[12:13], v12, -1
	v_add_u32_e32 v14, 19, v49
	v_lshlrev_b64 v[50:51], v14, 1
	v_bfi_b32 v13, v13, 0, 0
	v_bfi_b32 v12, v12, 0, v52
	v_cmp_eq_u64_e64 s[20:21], v[12:13], v[50:51]
	v_lshrrev_b64 v[12:13], v49, v[52:53]
	v_mov_b32_e32 v14, v13
	v_mov_b32_e32 v13, v12
	s_and_saveexec_b64 s[92:93], s[20:21]
; %bb.16267:                            ;   in Loop: Header=BB6_15550 Depth=2
	v_bfe_u32 v13, v12, 20, 1
	v_add_co_u32_e64 v13, s[20:21], v12, v13
	v_add_co_u32_e64 v13, s[20:21], -1, v13
; %bb.16268:                            ;   in Loop: Header=BB6_15550 Depth=2
	s_or_b64 exec, exec, s[92:93]
	v_add_u32_e32 v14, 0xffffff81, v39
	v_mov_b32_e32 v39, 0xffffff82
	v_cndmask_b32_e32 v14, v14, v39, vcc
	v_lshrrev_b32_e32 v39, 23, v12
	v_add3_u32 v49, v49, v14, v39
	v_add_u32_e32 v39, 6, v49
	v_and_b32_e32 v13, 0xfffff, v13
	v_add_u32_e32 v52, v13, v12
	v_cmp_ne_u32_e32 vcc, 0, v39
                                        ; implicit-def: $vgpr12_vgpr13
                                        ; implicit-def: $vgpr14
	s_and_saveexec_b64 s[20:21], vcc
	s_xor_b64 s[20:21], exec, s[20:21]
; %bb.16269:                            ;   in Loop: Header=BB6_15550 Depth=2
	v_cmp_lt_u64_e32 vcc, s[58:59], v[52:53]
	v_add_u32_e32 v12, 7, v49
	v_cndmask_b32_e32 v14, v39, v12, vcc
	v_cndmask_b32_e64 v12, 0, 1, vcc
	v_lshrrev_b64 v[12:13], v12, v[52:53]
; %bb.16270:                            ;   in Loop: Header=BB6_15550 Depth=2
	s_andn2_saveexec_b64 s[20:21], s[20:21]
; %bb.16271:                            ;   in Loop: Header=BB6_15550 Depth=2
	v_mov_b32_e32 v12, v52
	v_mov_b32_e32 v13, v53
	v_bfe_u32 v14, v52, 23, 1
; %bb.16272:                            ;   in Loop: Header=BB6_15550 Depth=2
	s_or_b64 exec, exec, s[20:21]
	v_lshrrev_b64 v[12:13], 20, v[12:13]
	v_cmp_gt_i32_e32 vcc, 16, v14
	v_cndmask_b32_e32 v13, 0, v13, vcc
	v_cndmask_b32_e32 v12, 7, v12, vcc
	v_cmp_ne_u64_e32 vcc, 0, v[12:13]
	v_cmp_ne_u32_e64 s[20:21], 0, v14
	s_or_b64 s[20:21], s[20:21], vcc
                                        ; implicit-def: $vgpr39
	s_and_saveexec_b64 s[92:93], s[20:21]
	s_xor_b64 s[20:21], exec, s[92:93]
; %bb.16273:                            ;   in Loop: Header=BB6_15550 Depth=2
	v_min_i32_e32 v13, 15, v14
	v_lshl_or_b32 v13, v13, 3, v48
	v_and_or_b32 v39, v12, 7, v13
                                        ; implicit-def: $vgpr48
; %bb.16274:                            ;   in Loop: Header=BB6_15550 Depth=2
	s_andn2_saveexec_b64 s[20:21], s[20:21]
; %bb.16275:                            ;   in Loop: Header=BB6_15550 Depth=2
	v_mov_b32_e32 v39, v48
; %bb.16276:                            ;   in Loop: Header=BB6_15550 Depth=2
	s_or_b64 exec, exec, s[20:21]
.LBB6_16277:                            ;   in Loop: Header=BB6_15550 Depth=2
	s_or_b64 exec, exec, s[90:91]
                                        ; implicit-def: $vgpr48
.LBB6_16278:                            ;   in Loop: Header=BB6_15550 Depth=2
	s_andn2_saveexec_b64 s[20:21], s[88:89]
; %bb.16279:                            ;   in Loop: Header=BB6_15550 Depth=2
	v_or_b32_e32 v39, 0x7e, v48
; %bb.16280:                            ;   in Loop: Header=BB6_15550 Depth=2
	s_or_b64 exec, exec, s[20:21]
                                        ; implicit-def: $vgpr12
.LBB6_16281:                            ;   in Loop: Header=BB6_15550 Depth=2
	s_andn2_saveexec_b64 s[20:21], s[78:79]
; %bb.16282:                            ;   in Loop: Header=BB6_15550 Depth=2
	v_or_b32_sdwa v39, v12, s39 dst_sel:DWORD dst_unused:UNUSED_PAD src0_sel:BYTE_3 src1_sel:DWORD
; %bb.16283:                            ;   in Loop: Header=BB6_15550 Depth=2
	s_or_b64 exec, exec, s[20:21]
	flat_load_ubyte v13, v[10:11] offset:1792 glc slc
	v_mov_b32_e32 v14, 0
	s_waitcnt vmcnt(0) lgkmcnt(0)
	v_cmp_ne_u16_e32 vcc, 0, v13
	s_and_saveexec_b64 s[20:21], vcc
	s_cbranch_execz .LBB6_16289
; %bb.16284:                            ;   in Loop: Header=BB6_15550 Depth=2
	v_cmp_ne_u16_e32 vcc, s48, v13
	v_bfrev_b32_e32 v14, 1
	s_and_saveexec_b64 s[78:79], vcc
	s_cbranch_execz .LBB6_16288
; %bb.16285:                            ;   in Loop: Header=BB6_15550 Depth=2
	v_and_b32_e32 v12, 0xffff, v13
	v_and_b32_e32 v48, 0x7f, v12
	v_cmp_ne_u32_e32 vcc, s39, v48
	v_mov_b32_e32 v14, 0x7f800001
	s_and_saveexec_b64 s[88:89], vcc
	s_cbranch_execz .LBB6_16287
; %bb.16286:                            ;   in Loop: Header=BB6_15550 Depth=2
	v_and_b32_e32 v14, 7, v12
	v_lshrrev_b32_e32 v50, 3, v48
	v_cmp_gt_u32_e32 vcc, 8, v48
	v_ffbh_u32_e32 v48, v14
	v_min_u32_e32 v51, 32, v48
	v_subrev_u32_e32 v48, 28, v51
	v_lshlrev_b64 v[48:49], v48, v[12:13]
	v_sub_u32_e32 v12, 29, v51
	v_and_b32_e32 v48, 7, v48
	v_cndmask_b32_e32 v12, v50, v12, vcc
	v_cndmask_b32_e32 v14, v14, v48, vcc
	v_lshlrev_b32_e32 v13, 24, v13
	v_bfrev_b32_e32 v48, 60
	v_lshlrev_b32_e32 v14, 20, v14
	v_and_b32_e32 v13, 0x80000000, v13
	v_lshl_add_u32 v12, v12, 23, v48
	v_or3_b32 v14, v13, v12, v14
.LBB6_16287:                            ;   in Loop: Header=BB6_15550 Depth=2
	s_or_b64 exec, exec, s[88:89]
.LBB6_16288:                            ;   in Loop: Header=BB6_15550 Depth=2
	s_or_b64 exec, exec, s[78:79]
.LBB6_16289:                            ;   in Loop: Header=BB6_15550 Depth=2
	s_or_b64 exec, exec, s[20:21]
	v_mul_f32_e32 v12, s94, v14
	v_and_b32_e32 v52, 0x7f800000, v12
	v_cmp_ne_u64_e32 vcc, s[46:47], v[52:53]
                                        ; implicit-def: $vgpr48
	s_and_saveexec_b64 s[20:21], vcc
	s_xor_b64 s[78:79], exec, s[20:21]
	s_cbranch_execz .LBB6_16307
; %bb.16290:                            ;   in Loop: Header=BB6_15550 Depth=2
	v_and_b32_e32 v52, 0x7fffffff, v12
	v_cmp_gt_u64_e32 vcc, s[56:57], v[52:53]
	v_and_b32_sdwa v49, v12, s48 dst_sel:DWORD dst_unused:UNUSED_PAD src0_sel:BYTE_3 src1_sel:DWORD
                                        ; implicit-def: $vgpr48
	s_and_saveexec_b64 s[20:21], vcc
	s_xor_b64 s[88:89], exec, s[20:21]
	s_cbranch_execz .LBB6_16304
; %bb.16291:                            ;   in Loop: Header=BB6_15550 Depth=2
	v_cmp_ne_u32_e32 vcc, 0, v12
	v_mov_b32_e32 v48, 0
	s_and_saveexec_b64 s[90:91], vcc
	s_cbranch_execz .LBB6_16303
; %bb.16292:                            ;   in Loop: Header=BB6_15550 Depth=2
	v_bfe_u32 v48, v12, 23, 8
	v_and_b32_e32 v13, 0x7fffff, v12
	v_cmp_gt_u32_e64 s[20:21], s49, v48
	v_sub_u32_e32 v12, 0x79, v48
	v_cmp_eq_u32_e32 vcc, 0, v48
	v_cndmask_b32_e64 v12, 0, v12, s[20:21]
	v_mov_b32_e32 v50, 0x78
	v_cndmask_b32_e32 v50, v12, v50, vcc
	v_or_b32_e32 v14, 0x800000, v13
	v_add_u32_e32 v12, 20, v50
	v_cndmask_b32_e32 v52, v14, v13, vcc
	v_lshlrev_b64 v[12:13], v12, -1
	v_add_u32_e32 v14, 19, v50
	v_lshlrev_b64 v[54:55], v14, 1
	v_bfi_b32 v13, v13, 0, 0
	v_bfi_b32 v12, v12, 0, v52
	v_cmp_eq_u64_e64 s[20:21], v[12:13], v[54:55]
	v_lshrrev_b64 v[12:13], v50, v[52:53]
	v_mov_b32_e32 v14, v13
	v_mov_b32_e32 v13, v12
	s_and_saveexec_b64 s[92:93], s[20:21]
; %bb.16293:                            ;   in Loop: Header=BB6_15550 Depth=2
	v_bfe_u32 v13, v12, 20, 1
	v_add_co_u32_e64 v13, s[20:21], v12, v13
	v_add_co_u32_e64 v13, s[20:21], -1, v13
; %bb.16294:                            ;   in Loop: Header=BB6_15550 Depth=2
	s_or_b64 exec, exec, s[92:93]
	v_add_u32_e32 v14, 0xffffff81, v48
	v_mov_b32_e32 v48, 0xffffff82
	v_cndmask_b32_e32 v14, v14, v48, vcc
	v_lshrrev_b32_e32 v48, 23, v12
	v_add3_u32 v50, v50, v14, v48
	v_add_u32_e32 v48, 6, v50
	v_and_b32_e32 v13, 0xfffff, v13
	v_add_u32_e32 v52, v13, v12
	v_cmp_ne_u32_e32 vcc, 0, v48
                                        ; implicit-def: $vgpr12_vgpr13
                                        ; implicit-def: $vgpr14
	s_and_saveexec_b64 s[20:21], vcc
	s_xor_b64 s[20:21], exec, s[20:21]
; %bb.16295:                            ;   in Loop: Header=BB6_15550 Depth=2
	v_cmp_lt_u64_e32 vcc, s[58:59], v[52:53]
	v_add_u32_e32 v12, 7, v50
	v_cndmask_b32_e32 v14, v48, v12, vcc
	v_cndmask_b32_e64 v12, 0, 1, vcc
	v_lshrrev_b64 v[12:13], v12, v[52:53]
; %bb.16296:                            ;   in Loop: Header=BB6_15550 Depth=2
	s_andn2_saveexec_b64 s[20:21], s[20:21]
; %bb.16297:                            ;   in Loop: Header=BB6_15550 Depth=2
	v_mov_b32_e32 v12, v52
	v_mov_b32_e32 v13, v53
	v_bfe_u32 v14, v52, 23, 1
; %bb.16298:                            ;   in Loop: Header=BB6_15550 Depth=2
	s_or_b64 exec, exec, s[20:21]
	v_lshrrev_b64 v[12:13], 20, v[12:13]
	v_cmp_gt_i32_e32 vcc, 16, v14
	v_cndmask_b32_e32 v13, 0, v13, vcc
	v_cndmask_b32_e32 v12, 7, v12, vcc
	v_cmp_ne_u64_e32 vcc, 0, v[12:13]
	v_cmp_ne_u32_e64 s[20:21], 0, v14
	s_or_b64 s[20:21], s[20:21], vcc
                                        ; implicit-def: $vgpr48
	s_and_saveexec_b64 s[92:93], s[20:21]
	s_xor_b64 s[20:21], exec, s[92:93]
; %bb.16299:                            ;   in Loop: Header=BB6_15550 Depth=2
	v_min_i32_e32 v13, 15, v14
	v_lshl_or_b32 v13, v13, 3, v49
	v_and_or_b32 v48, v12, 7, v13
                                        ; implicit-def: $vgpr49
; %bb.16300:                            ;   in Loop: Header=BB6_15550 Depth=2
	s_andn2_saveexec_b64 s[20:21], s[20:21]
; %bb.16301:                            ;   in Loop: Header=BB6_15550 Depth=2
	v_mov_b32_e32 v48, v49
; %bb.16302:                            ;   in Loop: Header=BB6_15550 Depth=2
	s_or_b64 exec, exec, s[20:21]
.LBB6_16303:                            ;   in Loop: Header=BB6_15550 Depth=2
	s_or_b64 exec, exec, s[90:91]
                                        ; implicit-def: $vgpr49
.LBB6_16304:                            ;   in Loop: Header=BB6_15550 Depth=2
	s_andn2_saveexec_b64 s[20:21], s[88:89]
; %bb.16305:                            ;   in Loop: Header=BB6_15550 Depth=2
	v_or_b32_e32 v48, 0x7e, v49
; %bb.16306:                            ;   in Loop: Header=BB6_15550 Depth=2
	s_or_b64 exec, exec, s[20:21]
                                        ; implicit-def: $vgpr12
.LBB6_16307:                            ;   in Loop: Header=BB6_15550 Depth=2
	s_andn2_saveexec_b64 s[20:21], s[78:79]
; %bb.16308:                            ;   in Loop: Header=BB6_15550 Depth=2
	v_or_b32_sdwa v48, v12, s39 dst_sel:DWORD dst_unused:UNUSED_PAD src0_sel:BYTE_3 src1_sel:DWORD
; %bb.16309:                            ;   in Loop: Header=BB6_15550 Depth=2
	s_or_b64 exec, exec, s[20:21]
	flat_load_ubyte v13, v[10:11] offset:1856 glc slc
	v_mov_b32_e32 v14, 0
	s_waitcnt vmcnt(0) lgkmcnt(0)
	v_cmp_ne_u16_e32 vcc, 0, v13
	s_and_saveexec_b64 s[20:21], vcc
	s_cbranch_execz .LBB6_16315
; %bb.16310:                            ;   in Loop: Header=BB6_15550 Depth=2
	v_cmp_ne_u16_e32 vcc, s48, v13
	v_bfrev_b32_e32 v14, 1
	s_and_saveexec_b64 s[78:79], vcc
	s_cbranch_execz .LBB6_16314
; %bb.16311:                            ;   in Loop: Header=BB6_15550 Depth=2
	v_and_b32_e32 v12, 0xffff, v13
	v_and_b32_e32 v49, 0x7f, v12
	v_cmp_ne_u32_e32 vcc, s39, v49
	v_mov_b32_e32 v14, 0x7f800001
	s_and_saveexec_b64 s[88:89], vcc
	s_cbranch_execz .LBB6_16313
; %bb.16312:                            ;   in Loop: Header=BB6_15550 Depth=2
	v_and_b32_e32 v14, 7, v12
	v_lshrrev_b32_e32 v51, 3, v49
	v_cmp_gt_u32_e32 vcc, 8, v49
	v_ffbh_u32_e32 v49, v14
	v_min_u32_e32 v52, 32, v49
	v_subrev_u32_e32 v49, 28, v52
	v_lshlrev_b64 v[49:50], v49, v[12:13]
	v_sub_u32_e32 v12, 29, v52
	v_and_b32_e32 v49, 7, v49
	v_cndmask_b32_e32 v12, v51, v12, vcc
	v_cndmask_b32_e32 v14, v14, v49, vcc
	v_lshlrev_b32_e32 v13, 24, v13
	v_bfrev_b32_e32 v49, 60
	v_lshlrev_b32_e32 v14, 20, v14
	v_and_b32_e32 v13, 0x80000000, v13
	v_lshl_add_u32 v12, v12, 23, v49
	v_or3_b32 v14, v13, v12, v14
.LBB6_16313:                            ;   in Loop: Header=BB6_15550 Depth=2
	s_or_b64 exec, exec, s[88:89]
.LBB6_16314:                            ;   in Loop: Header=BB6_15550 Depth=2
	s_or_b64 exec, exec, s[78:79]
.LBB6_16315:                            ;   in Loop: Header=BB6_15550 Depth=2
	s_or_b64 exec, exec, s[20:21]
	v_mul_f32_e32 v12, s94, v14
	v_and_b32_e32 v52, 0x7f800000, v12
	v_cmp_ne_u64_e32 vcc, s[46:47], v[52:53]
                                        ; implicit-def: $vgpr49
	s_and_saveexec_b64 s[20:21], vcc
	s_xor_b64 s[78:79], exec, s[20:21]
	s_cbranch_execz .LBB6_16333
; %bb.16316:                            ;   in Loop: Header=BB6_15550 Depth=2
	v_and_b32_e32 v52, 0x7fffffff, v12
	v_cmp_gt_u64_e32 vcc, s[56:57], v[52:53]
	v_and_b32_sdwa v50, v12, s48 dst_sel:DWORD dst_unused:UNUSED_PAD src0_sel:BYTE_3 src1_sel:DWORD
                                        ; implicit-def: $vgpr49
	s_and_saveexec_b64 s[20:21], vcc
	s_xor_b64 s[88:89], exec, s[20:21]
	s_cbranch_execz .LBB6_16330
; %bb.16317:                            ;   in Loop: Header=BB6_15550 Depth=2
	v_cmp_ne_u32_e32 vcc, 0, v12
	v_mov_b32_e32 v49, 0
	s_and_saveexec_b64 s[90:91], vcc
	s_cbranch_execz .LBB6_16329
; %bb.16318:                            ;   in Loop: Header=BB6_15550 Depth=2
	v_bfe_u32 v49, v12, 23, 8
	v_and_b32_e32 v13, 0x7fffff, v12
	v_cmp_gt_u32_e64 s[20:21], s49, v49
	v_sub_u32_e32 v12, 0x79, v49
	v_cmp_eq_u32_e32 vcc, 0, v49
	v_cndmask_b32_e64 v12, 0, v12, s[20:21]
	v_mov_b32_e32 v51, 0x78
	v_cndmask_b32_e32 v40, v12, v51, vcc
	v_or_b32_e32 v14, 0x800000, v13
	v_add_u32_e32 v12, 20, v40
	v_cndmask_b32_e32 v52, v14, v13, vcc
	v_lshlrev_b64 v[12:13], v12, -1
	v_add_u32_e32 v14, 19, v40
	v_lshlrev_b64 v[54:55], v14, 1
	v_bfi_b32 v13, v13, 0, 0
	v_bfi_b32 v12, v12, 0, v52
	v_cmp_eq_u64_e64 s[20:21], v[12:13], v[54:55]
	v_lshrrev_b64 v[12:13], v40, v[52:53]
	v_mov_b32_e32 v14, v13
	v_mov_b32_e32 v13, v12
	s_and_saveexec_b64 s[92:93], s[20:21]
; %bb.16319:                            ;   in Loop: Header=BB6_15550 Depth=2
	v_bfe_u32 v13, v12, 20, 1
	v_add_co_u32_e64 v13, s[20:21], v12, v13
	v_add_co_u32_e64 v13, s[20:21], -1, v13
; %bb.16320:                            ;   in Loop: Header=BB6_15550 Depth=2
	s_or_b64 exec, exec, s[92:93]
	v_add_u32_e32 v14, 0xffffff81, v49
	v_mov_b32_e32 v49, 0xffffff82
	v_cndmask_b32_e32 v14, v14, v49, vcc
	v_lshrrev_b32_e32 v49, 23, v12
	v_add3_u32 v40, v40, v14, v49
	v_add_u32_e32 v49, 6, v40
	v_and_b32_e32 v13, 0xfffff, v13
	v_add_u32_e32 v52, v13, v12
	v_cmp_ne_u32_e32 vcc, 0, v49
                                        ; implicit-def: $vgpr12_vgpr13
                                        ; implicit-def: $vgpr14
	s_and_saveexec_b64 s[20:21], vcc
	s_xor_b64 s[20:21], exec, s[20:21]
; %bb.16321:                            ;   in Loop: Header=BB6_15550 Depth=2
	v_cmp_lt_u64_e32 vcc, s[58:59], v[52:53]
	v_add_u32_e32 v12, 7, v40
	v_cndmask_b32_e32 v14, v49, v12, vcc
	v_cndmask_b32_e64 v12, 0, 1, vcc
	v_lshrrev_b64 v[12:13], v12, v[52:53]
; %bb.16322:                            ;   in Loop: Header=BB6_15550 Depth=2
	s_andn2_saveexec_b64 s[20:21], s[20:21]
; %bb.16323:                            ;   in Loop: Header=BB6_15550 Depth=2
	v_mov_b32_e32 v12, v52
	v_mov_b32_e32 v13, v53
	v_bfe_u32 v14, v52, 23, 1
; %bb.16324:                            ;   in Loop: Header=BB6_15550 Depth=2
	s_or_b64 exec, exec, s[20:21]
	v_lshrrev_b64 v[12:13], 20, v[12:13]
	v_cmp_gt_i32_e32 vcc, 16, v14
	v_cndmask_b32_e32 v13, 0, v13, vcc
	v_cndmask_b32_e32 v12, 7, v12, vcc
	v_cmp_ne_u64_e32 vcc, 0, v[12:13]
	v_cmp_ne_u32_e64 s[20:21], 0, v14
	s_or_b64 s[20:21], s[20:21], vcc
                                        ; implicit-def: $vgpr49
	s_and_saveexec_b64 s[92:93], s[20:21]
	s_xor_b64 s[20:21], exec, s[92:93]
; %bb.16325:                            ;   in Loop: Header=BB6_15550 Depth=2
	v_min_i32_e32 v13, 15, v14
	v_lshl_or_b32 v13, v13, 3, v50
	v_and_or_b32 v49, v12, 7, v13
                                        ; implicit-def: $vgpr50
; %bb.16326:                            ;   in Loop: Header=BB6_15550 Depth=2
	s_andn2_saveexec_b64 s[20:21], s[20:21]
; %bb.16327:                            ;   in Loop: Header=BB6_15550 Depth=2
	v_mov_b32_e32 v49, v50
; %bb.16328:                            ;   in Loop: Header=BB6_15550 Depth=2
	s_or_b64 exec, exec, s[20:21]
.LBB6_16329:                            ;   in Loop: Header=BB6_15550 Depth=2
	s_or_b64 exec, exec, s[90:91]
                                        ; implicit-def: $vgpr50
.LBB6_16330:                            ;   in Loop: Header=BB6_15550 Depth=2
	s_andn2_saveexec_b64 s[20:21], s[88:89]
; %bb.16331:                            ;   in Loop: Header=BB6_15550 Depth=2
	v_or_b32_e32 v49, 0x7e, v50
; %bb.16332:                            ;   in Loop: Header=BB6_15550 Depth=2
	s_or_b64 exec, exec, s[20:21]
                                        ; implicit-def: $vgpr12
.LBB6_16333:                            ;   in Loop: Header=BB6_15550 Depth=2
	s_andn2_saveexec_b64 s[20:21], s[78:79]
; %bb.16334:                            ;   in Loop: Header=BB6_15550 Depth=2
	v_or_b32_sdwa v49, v12, s39 dst_sel:DWORD dst_unused:UNUSED_PAD src0_sel:BYTE_3 src1_sel:DWORD
; %bb.16335:                            ;   in Loop: Header=BB6_15550 Depth=2
	s_or_b64 exec, exec, s[20:21]
	flat_load_ubyte v13, v[10:11] offset:1920 glc slc
	v_mov_b32_e32 v14, 0
	s_waitcnt vmcnt(0) lgkmcnt(0)
	v_cmp_ne_u16_e32 vcc, 0, v13
	s_and_saveexec_b64 s[20:21], vcc
	s_cbranch_execz .LBB6_16341
; %bb.16336:                            ;   in Loop: Header=BB6_15550 Depth=2
	v_cmp_ne_u16_e32 vcc, s48, v13
	v_bfrev_b32_e32 v14, 1
	s_and_saveexec_b64 s[78:79], vcc
	s_cbranch_execz .LBB6_16340
; %bb.16337:                            ;   in Loop: Header=BB6_15550 Depth=2
	v_and_b32_e32 v12, 0xffff, v13
	v_and_b32_e32 v50, 0x7f, v12
	v_cmp_ne_u32_e32 vcc, s39, v50
	v_mov_b32_e32 v14, 0x7f800001
	s_and_saveexec_b64 s[88:89], vcc
	s_cbranch_execz .LBB6_16339
; %bb.16338:                            ;   in Loop: Header=BB6_15550 Depth=2
	v_and_b32_e32 v14, 7, v12
	v_lshrrev_b32_e32 v52, 3, v50
	v_cmp_gt_u32_e32 vcc, 8, v50
	v_ffbh_u32_e32 v50, v14
	v_min_u32_e32 v54, 32, v50
	v_subrev_u32_e32 v50, 28, v54
	v_lshlrev_b64 v[50:51], v50, v[12:13]
	v_sub_u32_e32 v12, 29, v54
	v_and_b32_e32 v50, 7, v50
	v_cndmask_b32_e32 v12, v52, v12, vcc
	v_cndmask_b32_e32 v14, v14, v50, vcc
	v_lshlrev_b32_e32 v13, 24, v13
	v_bfrev_b32_e32 v50, 60
	v_lshlrev_b32_e32 v14, 20, v14
	v_and_b32_e32 v13, 0x80000000, v13
	v_lshl_add_u32 v12, v12, 23, v50
	v_or3_b32 v14, v13, v12, v14
.LBB6_16339:                            ;   in Loop: Header=BB6_15550 Depth=2
	s_or_b64 exec, exec, s[88:89]
.LBB6_16340:                            ;   in Loop: Header=BB6_15550 Depth=2
	s_or_b64 exec, exec, s[78:79]
.LBB6_16341:                            ;   in Loop: Header=BB6_15550 Depth=2
	s_or_b64 exec, exec, s[20:21]
	v_mul_f32_e32 v12, s94, v14
	v_and_b32_e32 v52, 0x7f800000, v12
	v_cmp_ne_u64_e32 vcc, s[46:47], v[52:53]
                                        ; implicit-def: $vgpr13
	s_and_saveexec_b64 s[20:21], vcc
	s_xor_b64 s[78:79], exec, s[20:21]
	s_cbranch_execz .LBB6_16359
; %bb.16342:                            ;   in Loop: Header=BB6_15550 Depth=2
	v_and_b32_e32 v52, 0x7fffffff, v12
	v_cmp_gt_u64_e32 vcc, s[56:57], v[52:53]
	v_and_b32_sdwa v50, v12, s48 dst_sel:DWORD dst_unused:UNUSED_PAD src0_sel:BYTE_3 src1_sel:DWORD
                                        ; implicit-def: $vgpr13
	s_and_saveexec_b64 s[20:21], vcc
	s_xor_b64 s[88:89], exec, s[20:21]
	s_cbranch_execz .LBB6_16356
; %bb.16343:                            ;   in Loop: Header=BB6_15550 Depth=2
	v_cmp_ne_u32_e32 vcc, 0, v12
	v_mov_b32_e32 v13, 0
	s_and_saveexec_b64 s[90:91], vcc
	s_cbranch_execz .LBB6_16355
; %bb.16344:                            ;   in Loop: Header=BB6_15550 Depth=2
	v_bfe_u32 v40, v12, 23, 8
	v_and_b32_e32 v13, 0x7fffff, v12
	v_cmp_gt_u32_e64 s[20:21], s49, v40
	v_sub_u32_e32 v12, 0x79, v40
	v_cmp_eq_u32_e32 vcc, 0, v40
	v_cndmask_b32_e64 v12, 0, v12, s[20:21]
	v_mov_b32_e32 v51, 0x78
	v_cndmask_b32_e32 v41, v12, v51, vcc
	v_or_b32_e32 v14, 0x800000, v13
	v_add_u32_e32 v12, 20, v41
	v_cndmask_b32_e32 v52, v14, v13, vcc
	v_lshlrev_b64 v[12:13], v12, -1
	v_add_u32_e32 v14, 19, v41
	v_lshlrev_b64 v[54:55], v14, 1
	v_bfi_b32 v13, v13, 0, 0
	v_bfi_b32 v12, v12, 0, v52
	v_cmp_eq_u64_e64 s[20:21], v[12:13], v[54:55]
	v_lshrrev_b64 v[12:13], v41, v[52:53]
	v_mov_b32_e32 v14, v13
	v_mov_b32_e32 v13, v12
	s_and_saveexec_b64 s[92:93], s[20:21]
; %bb.16345:                            ;   in Loop: Header=BB6_15550 Depth=2
	v_bfe_u32 v13, v12, 20, 1
	v_add_co_u32_e64 v13, s[20:21], v12, v13
	v_add_co_u32_e64 v13, s[20:21], -1, v13
; %bb.16346:                            ;   in Loop: Header=BB6_15550 Depth=2
	s_or_b64 exec, exec, s[92:93]
	v_add_u32_e32 v14, 0xffffff81, v40
	v_mov_b32_e32 v51, 0xffffff82
	v_cndmask_b32_e32 v14, v14, v51, vcc
	v_lshrrev_b32_e32 v51, 23, v12
	v_add3_u32 v41, v41, v14, v51
	v_add_u32_e32 v40, 6, v41
	v_and_b32_e32 v13, 0xfffff, v13
	v_add_u32_e32 v52, v13, v12
	v_cmp_ne_u32_e32 vcc, 0, v40
                                        ; implicit-def: $vgpr12_vgpr13
                                        ; implicit-def: $vgpr14
	s_and_saveexec_b64 s[20:21], vcc
	s_xor_b64 s[20:21], exec, s[20:21]
; %bb.16347:                            ;   in Loop: Header=BB6_15550 Depth=2
	v_cmp_lt_u64_e32 vcc, s[58:59], v[52:53]
	v_add_u32_e32 v12, 7, v41
	v_cndmask_b32_e32 v14, v40, v12, vcc
	v_cndmask_b32_e64 v12, 0, 1, vcc
	v_lshrrev_b64 v[12:13], v12, v[52:53]
; %bb.16348:                            ;   in Loop: Header=BB6_15550 Depth=2
	s_andn2_saveexec_b64 s[20:21], s[20:21]
; %bb.16349:                            ;   in Loop: Header=BB6_15550 Depth=2
	v_mov_b32_e32 v12, v52
	v_mov_b32_e32 v13, v53
	v_bfe_u32 v14, v52, 23, 1
; %bb.16350:                            ;   in Loop: Header=BB6_15550 Depth=2
	s_or_b64 exec, exec, s[20:21]
	v_lshrrev_b64 v[12:13], 20, v[12:13]
	v_cmp_gt_i32_e32 vcc, 16, v14
	v_cndmask_b32_e32 v13, 0, v13, vcc
	v_cndmask_b32_e32 v12, 7, v12, vcc
	v_cmp_ne_u64_e32 vcc, 0, v[12:13]
	v_cmp_ne_u32_e64 s[20:21], 0, v14
	s_or_b64 s[20:21], s[20:21], vcc
                                        ; implicit-def: $vgpr13
	s_and_saveexec_b64 s[92:93], s[20:21]
	s_xor_b64 s[20:21], exec, s[92:93]
; %bb.16351:                            ;   in Loop: Header=BB6_15550 Depth=2
	v_min_i32_e32 v13, 15, v14
	v_lshl_or_b32 v13, v13, 3, v50
	v_and_or_b32 v13, v12, 7, v13
                                        ; implicit-def: $vgpr50
; %bb.16352:                            ;   in Loop: Header=BB6_15550 Depth=2
	s_andn2_saveexec_b64 s[20:21], s[20:21]
; %bb.16353:                            ;   in Loop: Header=BB6_15550 Depth=2
	v_mov_b32_e32 v13, v50
; %bb.16354:                            ;   in Loop: Header=BB6_15550 Depth=2
	s_or_b64 exec, exec, s[20:21]
.LBB6_16355:                            ;   in Loop: Header=BB6_15550 Depth=2
	s_or_b64 exec, exec, s[90:91]
                                        ; implicit-def: $vgpr50
.LBB6_16356:                            ;   in Loop: Header=BB6_15550 Depth=2
	s_andn2_saveexec_b64 s[20:21], s[88:89]
; %bb.16357:                            ;   in Loop: Header=BB6_15550 Depth=2
	v_or_b32_e32 v13, 0x7e, v50
; %bb.16358:                            ;   in Loop: Header=BB6_15550 Depth=2
	s_or_b64 exec, exec, s[20:21]
                                        ; implicit-def: $vgpr12
.LBB6_16359:                            ;   in Loop: Header=BB6_15550 Depth=2
	s_andn2_saveexec_b64 s[20:21], s[78:79]
; %bb.16360:                            ;   in Loop: Header=BB6_15550 Depth=2
	v_or_b32_sdwa v13, v12, s39 dst_sel:DWORD dst_unused:UNUSED_PAD src0_sel:BYTE_3 src1_sel:DWORD
; %bb.16361:                            ;   in Loop: Header=BB6_15550 Depth=2
	s_or_b64 exec, exec, s[20:21]
	flat_load_ubyte v11, v[10:11] offset:1984 glc slc
	v_mov_b32_e32 v12, 0
	s_waitcnt vmcnt(0) lgkmcnt(0)
	v_cmp_ne_u16_e32 vcc, 0, v11
	s_and_saveexec_b64 s[20:21], vcc
	s_cbranch_execz .LBB6_16367
; %bb.16362:                            ;   in Loop: Header=BB6_15550 Depth=2
	v_cmp_ne_u16_e32 vcc, s48, v11
	v_bfrev_b32_e32 v12, 1
	s_and_saveexec_b64 s[78:79], vcc
	s_cbranch_execz .LBB6_16366
; %bb.16363:                            ;   in Loop: Header=BB6_15550 Depth=2
	v_and_b32_e32 v10, 0xffff, v11
	v_and_b32_e32 v14, 0x7f, v10
	v_cmp_ne_u32_e32 vcc, s39, v14
	v_mov_b32_e32 v12, 0x7f800001
	s_and_saveexec_b64 s[88:89], vcc
	s_cbranch_execz .LBB6_16365
; %bb.16364:                            ;   in Loop: Header=BB6_15550 Depth=2
	v_and_b32_e32 v12, 7, v10
	v_lshrrev_b32_e32 v52, 3, v14
	v_cmp_gt_u32_e32 vcc, 8, v14
	v_ffbh_u32_e32 v14, v12
	v_min_u32_e32 v14, 32, v14
	v_subrev_u32_e32 v50, 28, v14
	v_lshlrev_b64 v[50:51], v50, v[10:11]
	v_sub_u32_e32 v10, 29, v14
	v_and_b32_e32 v14, 7, v50
	v_cndmask_b32_e32 v10, v52, v10, vcc
	v_cndmask_b32_e32 v12, v12, v14, vcc
	v_lshlrev_b32_e32 v11, 24, v11
	v_bfrev_b32_e32 v14, 60
	v_lshlrev_b32_e32 v12, 20, v12
	v_and_b32_e32 v11, 0x80000000, v11
	v_lshl_add_u32 v10, v10, 23, v14
	v_or3_b32 v12, v11, v10, v12
.LBB6_16365:                            ;   in Loop: Header=BB6_15550 Depth=2
	s_or_b64 exec, exec, s[88:89]
.LBB6_16366:                            ;   in Loop: Header=BB6_15550 Depth=2
	s_or_b64 exec, exec, s[78:79]
.LBB6_16367:                            ;   in Loop: Header=BB6_15550 Depth=2
	s_or_b64 exec, exec, s[20:21]
	v_mul_f32_e32 v10, s94, v12
	v_and_b32_e32 v52, 0x7f800000, v10
	v_cmp_ne_u64_e32 vcc, s[46:47], v[52:53]
                                        ; implicit-def: $vgpr11
	s_and_saveexec_b64 s[20:21], vcc
	s_xor_b64 s[78:79], exec, s[20:21]
	s_cbranch_execz .LBB6_16385
; %bb.16368:                            ;   in Loop: Header=BB6_15550 Depth=2
	v_and_b32_e32 v52, 0x7fffffff, v10
	v_cmp_gt_u64_e32 vcc, s[56:57], v[52:53]
	v_and_b32_sdwa v14, v10, s48 dst_sel:DWORD dst_unused:UNUSED_PAD src0_sel:BYTE_3 src1_sel:DWORD
                                        ; implicit-def: $vgpr11
	s_and_saveexec_b64 s[20:21], vcc
	s_xor_b64 s[88:89], exec, s[20:21]
	s_cbranch_execz .LBB6_16382
; %bb.16369:                            ;   in Loop: Header=BB6_15550 Depth=2
	v_cmp_ne_u32_e32 vcc, 0, v10
	v_mov_b32_e32 v11, 0
	s_and_saveexec_b64 s[90:91], vcc
	s_cbranch_execz .LBB6_16381
; %bb.16370:                            ;   in Loop: Header=BB6_15550 Depth=2
	v_bfe_u32 v50, v10, 23, 8
	v_and_b32_e32 v11, 0x7fffff, v10
	v_cmp_gt_u32_e64 s[20:21], s49, v50
	v_sub_u32_e32 v10, 0x79, v50
	v_cmp_eq_u32_e32 vcc, 0, v50
	v_cndmask_b32_e64 v10, 0, v10, s[20:21]
	v_mov_b32_e32 v51, 0x78
	v_cndmask_b32_e32 v40, v10, v51, vcc
	v_or_b32_e32 v12, 0x800000, v11
	v_add_u32_e32 v10, 20, v40
	v_cndmask_b32_e32 v52, v12, v11, vcc
	v_lshlrev_b64 v[10:11], v10, -1
	v_add_u32_e32 v12, 19, v40
	v_lshlrev_b64 v[54:55], v12, 1
	v_bfi_b32 v11, v11, 0, 0
	v_bfi_b32 v10, v10, 0, v52
	v_cmp_eq_u64_e64 s[20:21], v[10:11], v[54:55]
	v_lshrrev_b64 v[10:11], v40, v[52:53]
	v_mov_b32_e32 v12, v11
	v_mov_b32_e32 v11, v10
	s_and_saveexec_b64 s[92:93], s[20:21]
; %bb.16371:                            ;   in Loop: Header=BB6_15550 Depth=2
	v_bfe_u32 v11, v10, 20, 1
	v_add_co_u32_e64 v11, s[20:21], v10, v11
	v_add_co_u32_e64 v11, s[20:21], -1, v11
; %bb.16372:                            ;   in Loop: Header=BB6_15550 Depth=2
	s_or_b64 exec, exec, s[92:93]
	v_add_u32_e32 v12, 0xffffff81, v50
	v_mov_b32_e32 v50, 0xffffff82
	v_cndmask_b32_e32 v12, v12, v50, vcc
	v_lshrrev_b32_e32 v50, 23, v10
	v_add3_u32 v40, v40, v12, v50
	v_add_u32_e32 v50, 6, v40
	v_and_b32_e32 v11, 0xfffff, v11
	v_add_u32_e32 v52, v11, v10
	v_cmp_ne_u32_e32 vcc, 0, v50
                                        ; implicit-def: $vgpr10_vgpr11
                                        ; implicit-def: $vgpr12
	s_and_saveexec_b64 s[20:21], vcc
	s_xor_b64 s[20:21], exec, s[20:21]
; %bb.16373:                            ;   in Loop: Header=BB6_15550 Depth=2
	v_cmp_lt_u64_e32 vcc, s[58:59], v[52:53]
	v_add_u32_e32 v10, 7, v40
	v_cndmask_b32_e32 v12, v50, v10, vcc
	v_cndmask_b32_e64 v10, 0, 1, vcc
	v_lshrrev_b64 v[10:11], v10, v[52:53]
; %bb.16374:                            ;   in Loop: Header=BB6_15550 Depth=2
	s_andn2_saveexec_b64 s[20:21], s[20:21]
; %bb.16375:                            ;   in Loop: Header=BB6_15550 Depth=2
	v_mov_b32_e32 v10, v52
	v_mov_b32_e32 v11, v53
	v_bfe_u32 v12, v52, 23, 1
; %bb.16376:                            ;   in Loop: Header=BB6_15550 Depth=2
	s_or_b64 exec, exec, s[20:21]
	v_lshrrev_b64 v[10:11], 20, v[10:11]
	v_cmp_gt_i32_e32 vcc, 16, v12
	v_cndmask_b32_e32 v11, 0, v11, vcc
	v_cndmask_b32_e32 v10, 7, v10, vcc
	v_cmp_ne_u64_e32 vcc, 0, v[10:11]
	v_cmp_ne_u32_e64 s[20:21], 0, v12
	s_or_b64 s[20:21], s[20:21], vcc
                                        ; implicit-def: $vgpr11
	s_and_saveexec_b64 s[92:93], s[20:21]
	s_xor_b64 s[20:21], exec, s[92:93]
; %bb.16377:                            ;   in Loop: Header=BB6_15550 Depth=2
	v_min_i32_e32 v11, 15, v12
	v_lshl_or_b32 v11, v11, 3, v14
	v_and_or_b32 v11, v10, 7, v11
                                        ; implicit-def: $vgpr14
; %bb.16378:                            ;   in Loop: Header=BB6_15550 Depth=2
	s_andn2_saveexec_b64 s[20:21], s[20:21]
; %bb.16379:                            ;   in Loop: Header=BB6_15550 Depth=2
	v_mov_b32_e32 v11, v14
; %bb.16380:                            ;   in Loop: Header=BB6_15550 Depth=2
	s_or_b64 exec, exec, s[20:21]
.LBB6_16381:                            ;   in Loop: Header=BB6_15550 Depth=2
	s_or_b64 exec, exec, s[90:91]
                                        ; implicit-def: $vgpr14
.LBB6_16382:                            ;   in Loop: Header=BB6_15550 Depth=2
	s_andn2_saveexec_b64 s[20:21], s[88:89]
; %bb.16383:                            ;   in Loop: Header=BB6_15550 Depth=2
	v_or_b32_e32 v11, 0x7e, v14
; %bb.16384:                            ;   in Loop: Header=BB6_15550 Depth=2
	s_or_b64 exec, exec, s[20:21]
                                        ; implicit-def: $vgpr10
.LBB6_16385:                            ;   in Loop: Header=BB6_15550 Depth=2
	s_andn2_saveexec_b64 s[20:21], s[78:79]
	s_cbranch_execz .LBB6_15549
; %bb.16386:                            ;   in Loop: Header=BB6_15550 Depth=2
	v_or_b32_sdwa v11, v10, s39 dst_sel:DWORD dst_unused:UNUSED_PAD src0_sel:BYTE_3 src1_sel:DWORD
	s_branch .LBB6_15549
.LBB6_16387:                            ;   in Loop: Header=BB6_12279 Depth=1
	s_or_b64 exec, exec, s[76:77]
.LBB6_16388:                            ;   in Loop: Header=BB6_12279 Depth=1
	s_or_b64 exec, exec, s[74:75]
	v_and_b32_e32 v5, 0xfffff800, v1
	v_cmp_ne_u32_e32 vcc, v1, v5
	s_and_b64 exec, exec, vcc
	s_cbranch_execz .LBB6_16423
; %bb.16389:                            ;   in Loop: Header=BB6_12279 Depth=1
	v_lshlrev_b32_e32 v3, 6, v3
	v_sub_u32_e32 v2, v2, v3
	v_lshlrev_b32_e32 v3, 6, v4
	v_sub_u32_e32 v2, v2, v3
	v_and_b32_e32 v1, 0x7ff, v1
	v_sub_u32_e32 v1, v1, v2
	v_cmp_lt_i32_e32 vcc, 0, v1
	s_and_b64 exec, exec, vcc
	s_cbranch_execz .LBB6_16423
; %bb.16390:                            ;   in Loop: Header=BB6_12279 Depth=1
	s_trap 2
	ds_read_b64 v[10:11], v0
	v_add3_u32 v0, v5, v0, v2
	v_ashrrev_i32_e32 v2, 31, v0
	s_mov_b64 s[74:75], 0
	s_branch .LBB6_16392
.LBB6_16391:                            ;   in Loop: Header=BB6_16392 Depth=2
	s_or_b64 exec, exec, s[20:21]
	buffer_load_dword v3, off, s[0:3], s33 offset:544 ; 4-byte Folded Reload
	s_waitcnt vmcnt(0)
	v_sub_u32_e32 v1, v1, v3
	v_cmp_gt_i32_e32 vcc, 1, v1
	s_or_b64 s[74:75], vcc, s[74:75]
	v_add_co_u32_e32 v0, vcc, v0, v3
	v_addc_co_u32_e32 v2, vcc, 0, v2, vcc
	flat_store_byte v[12:13], v4 glc slc
	s_andn2_b64 exec, exec, s[74:75]
	s_cbranch_execz .LBB6_16423
.LBB6_16392:                            ;   Parent Loop BB6_12279 Depth=1
                                        ; =>  This Inner Loop Header: Depth=2
	s_trap 2
	ds_read_b64 v[12:13], v0
	s_waitcnt lgkmcnt(0)
	v_cmp_eq_u32_sdwa s[76:77], v12, v53 src0_sel:BYTE_0 src1_sel:DWORD
	v_readfirstlane_b32 s20, v12
	s_and_b64 vcc, exec, s[76:77]
	v_readfirstlane_b32 s21, v13
	s_cbranch_vccnz .LBB6_16396
; %bb.16393:                            ;   in Loop: Header=BB6_16392 Depth=2
	v_cmp_eq_u32_sdwa s[76:77], v12, s48 src0_sel:BYTE_0 src1_sel:DWORD
	s_and_b64 vcc, exec, s[76:77]
	s_brev_b32 s88, 1
	s_cbranch_vccnz .LBB6_16397
; %bb.16394:                            ;   in Loop: Header=BB6_16392 Depth=2
	s_and_b32 s76, s20, 0x7f
	s_cmpk_eq_i32 s76, 0x7f
	s_mov_b32 s88, 0x7f800001
	s_cbranch_scc1 .LBB6_16397
; %bb.16395:                            ;   in Loop: Header=BB6_16392 Depth=2
	s_and_b32 s77, s20, 7
	s_flbit_i32_b32 s77, s77
	s_min_u32 s77, s77, 32
	s_lshr_b32 s78, s76, 3
	s_sub_i32 s79, s77, 28
	s_sub_i32 s77, 29, s77
	s_cmp_lt_u32 s76, 8
	s_cselect_b32 s76, s79, 0
	s_cselect_b32 s78, s77, s78
	s_lshl_b64 s[76:77], s[20:21], s76
	s_lshl_b32 s21, s76, 20
	s_lshl_b32 s20, s20, 24
	;; [unrolled: 1-line block ×3, first 2 shown]
	s_and_b32 s20, s20, 0x80000000
	s_add_i32 s76, s76, 0x3c000000
	s_and_b32 s21, s21, 0x700000
	s_or_b32 s20, s20, s76
	s_or_b32 s88, s20, s21
	s_branch .LBB6_16397
.LBB6_16396:                            ;   in Loop: Header=BB6_16392 Depth=2
	s_mov_b32 s88, 0
.LBB6_16397:                            ;   in Loop: Header=BB6_16392 Depth=2
	v_add_co_u32_e32 v12, vcc, v10, v0
	v_addc_co_u32_e32 v13, vcc, v11, v2, vcc
	flat_load_ubyte v3, v[12:13] glc slc
	v_mov_b32_e32 v4, 0
	s_waitcnt vmcnt(0) lgkmcnt(0)
	v_cmp_ne_u16_e32 vcc, 0, v3
	s_and_saveexec_b64 s[20:21], vcc
	s_cbranch_execz .LBB6_16403
; %bb.16398:                            ;   in Loop: Header=BB6_16392 Depth=2
	v_cmp_ne_u16_e32 vcc, s48, v3
	v_bfrev_b32_e32 v4, 1
	s_and_saveexec_b64 s[76:77], vcc
	s_cbranch_execz .LBB6_16402
; %bb.16399:                            ;   in Loop: Header=BB6_16392 Depth=2
	v_and_b32_e32 v14, 0xffff, v3
	v_and_b32_e32 v5, 0x7f, v14
	v_cmp_ne_u32_e32 vcc, s39, v5
	v_mov_b32_e32 v4, 0x7f800001
	s_and_saveexec_b64 s[78:79], vcc
	s_cbranch_execz .LBB6_16401
; %bb.16400:                            ;   in Loop: Header=BB6_16392 Depth=2
	v_and_b32_e32 v6, 7, v14
	v_ffbh_u32_e32 v4, v6
	v_min_u32_e32 v8, 32, v4
	v_subrev_u32_e32 v4, 28, v8
	v_lshrrev_b32_e32 v7, 3, v5
	v_cmp_gt_u32_e32 vcc, 8, v5
	v_lshlrev_b64 v[4:5], v4, v[14:15]
	v_sub_u32_e32 v5, 29, v8
	v_and_b32_e32 v4, 7, v4
	v_cndmask_b32_e32 v5, v7, v5, vcc
	v_cndmask_b32_e32 v4, v6, v4, vcc
	v_lshlrev_b32_e32 v3, 24, v3
	v_bfrev_b32_e32 v6, 60
	v_lshlrev_b32_e32 v4, 20, v4
	v_and_b32_e32 v3, 0x80000000, v3
	v_lshl_add_u32 v5, v5, 23, v6
	v_or3_b32 v4, v3, v5, v4
.LBB6_16401:                            ;   in Loop: Header=BB6_16392 Depth=2
	s_or_b64 exec, exec, s[78:79]
.LBB6_16402:                            ;   in Loop: Header=BB6_16392 Depth=2
	s_or_b64 exec, exec, s[76:77]
.LBB6_16403:                            ;   in Loop: Header=BB6_16392 Depth=2
	s_or_b64 exec, exec, s[20:21]
	v_mul_f32_e32 v5, s88, v4
	v_and_b32_e32 v52, 0x7f800000, v5
	v_cmp_ne_u64_e32 vcc, s[46:47], v[52:53]
                                        ; implicit-def: $vgpr4
	s_and_saveexec_b64 s[20:21], vcc
	s_xor_b64 s[76:77], exec, s[20:21]
	s_cbranch_execz .LBB6_16421
; %bb.16404:                            ;   in Loop: Header=BB6_16392 Depth=2
	v_and_b32_e32 v52, 0x7fffffff, v5
	v_cmp_gt_u64_e32 vcc, s[56:57], v[52:53]
	v_and_b32_sdwa v3, v5, s48 dst_sel:DWORD dst_unused:UNUSED_PAD src0_sel:BYTE_3 src1_sel:DWORD
                                        ; implicit-def: $vgpr4
	s_and_saveexec_b64 s[20:21], vcc
	s_xor_b64 s[78:79], exec, s[20:21]
	s_cbranch_execz .LBB6_16418
; %bb.16405:                            ;   in Loop: Header=BB6_16392 Depth=2
	v_cmp_ne_u32_e32 vcc, 0, v5
	v_mov_b32_e32 v4, 0
	s_and_saveexec_b64 s[88:89], vcc
	s_cbranch_execz .LBB6_16417
; %bb.16406:                            ;   in Loop: Header=BB6_16392 Depth=2
	v_bfe_u32 v4, v5, 23, 8
	v_and_b32_e32 v6, 0x7fffff, v5
	v_cmp_gt_u32_e64 s[20:21], s49, v4
	v_sub_u32_e32 v5, 0x79, v4
	v_cmp_eq_u32_e32 vcc, 0, v4
	v_cndmask_b32_e64 v5, 0, v5, s[20:21]
	v_mov_b32_e32 v8, 0x78
	v_or_b32_e32 v7, 0x800000, v6
	v_cndmask_b32_e32 v5, v5, v8, vcc
	v_cndmask_b32_e32 v52, v7, v6, vcc
	v_add_u32_e32 v6, 20, v5
	v_lshlrev_b64 v[6:7], v6, -1
	v_add_u32_e32 v8, 19, v5
	v_lshlrev_b64 v[8:9], v8, 1
	v_lshrrev_b64 v[14:15], v5, v[52:53]
	v_bfi_b32 v7, v7, 0, 0
	v_bfi_b32 v6, v6, 0, v52
	v_cmp_eq_u64_e64 s[20:21], v[6:7], v[8:9]
	v_mov_b32_e32 v16, v15
	v_mov_b32_e32 v15, v14
	s_and_saveexec_b64 s[90:91], s[20:21]
; %bb.16407:                            ;   in Loop: Header=BB6_16392 Depth=2
	v_bfe_u32 v6, v14, 20, 1
	v_add_co_u32_e64 v6, s[20:21], v14, v6
	v_add_co_u32_e64 v15, s[20:21], -1, v6
; %bb.16408:                            ;   in Loop: Header=BB6_16392 Depth=2
	s_or_b64 exec, exec, s[90:91]
	v_add_u32_e32 v4, 0xffffff81, v4
	v_mov_b32_e32 v6, 0xffffff82
	v_cndmask_b32_e32 v4, v4, v6, vcc
	v_lshrrev_b32_e32 v6, 23, v14
	v_add3_u32 v6, v5, v4, v6
	v_add_u32_e32 v4, 6, v6
	v_and_b32_e32 v5, 0xfffff, v15
	v_add_u32_e32 v52, v5, v14
	v_cmp_ne_u32_e32 vcc, 0, v4
                                        ; implicit-def: $vgpr14_vgpr15
                                        ; implicit-def: $vgpr5
	s_and_saveexec_b64 s[20:21], vcc
	s_xor_b64 s[20:21], exec, s[20:21]
; %bb.16409:                            ;   in Loop: Header=BB6_16392 Depth=2
	v_cmp_lt_u64_e32 vcc, s[58:59], v[52:53]
	v_add_u32_e32 v5, 7, v6
	v_cndmask_b32_e32 v5, v4, v5, vcc
	v_cndmask_b32_e64 v4, 0, 1, vcc
	v_lshrrev_b64 v[14:15], v4, v[52:53]
; %bb.16410:                            ;   in Loop: Header=BB6_16392 Depth=2
	s_andn2_saveexec_b64 s[20:21], s[20:21]
; %bb.16411:                            ;   in Loop: Header=BB6_16392 Depth=2
	v_mov_b32_e32 v14, v52
	v_mov_b32_e32 v15, v53
	v_bfe_u32 v5, v52, 23, 1
; %bb.16412:                            ;   in Loop: Header=BB6_16392 Depth=2
	s_or_b64 exec, exec, s[20:21]
	v_lshrrev_b64 v[6:7], 20, v[14:15]
	v_cmp_gt_i32_e32 vcc, 16, v5
	v_cndmask_b32_e32 v15, 0, v7, vcc
	v_cndmask_b32_e32 v14, 7, v6, vcc
	v_cmp_ne_u64_e32 vcc, 0, v[14:15]
	v_cmp_ne_u32_e64 s[20:21], 0, v5
	s_or_b64 s[20:21], s[20:21], vcc
                                        ; implicit-def: $vgpr4
	s_and_saveexec_b64 s[90:91], s[20:21]
	s_xor_b64 s[20:21], exec, s[90:91]
; %bb.16413:                            ;   in Loop: Header=BB6_16392 Depth=2
	v_min_i32_e32 v4, 15, v5
	v_lshl_or_b32 v3, v4, 3, v3
	v_and_or_b32 v4, v14, 7, v3
                                        ; implicit-def: $vgpr3
; %bb.16414:                            ;   in Loop: Header=BB6_16392 Depth=2
	s_andn2_saveexec_b64 s[20:21], s[20:21]
; %bb.16415:                            ;   in Loop: Header=BB6_16392 Depth=2
	v_mov_b32_e32 v4, v3
; %bb.16416:                            ;   in Loop: Header=BB6_16392 Depth=2
	s_or_b64 exec, exec, s[20:21]
.LBB6_16417:                            ;   in Loop: Header=BB6_16392 Depth=2
	s_or_b64 exec, exec, s[88:89]
                                        ; implicit-def: $vgpr3
.LBB6_16418:                            ;   in Loop: Header=BB6_16392 Depth=2
	s_andn2_saveexec_b64 s[20:21], s[78:79]
; %bb.16419:                            ;   in Loop: Header=BB6_16392 Depth=2
	v_or_b32_e32 v4, 0x7e, v3
; %bb.16420:                            ;   in Loop: Header=BB6_16392 Depth=2
	s_or_b64 exec, exec, s[20:21]
                                        ; implicit-def: $vgpr5
.LBB6_16421:                            ;   in Loop: Header=BB6_16392 Depth=2
	s_andn2_saveexec_b64 s[20:21], s[76:77]
	s_cbranch_execz .LBB6_16391
; %bb.16422:                            ;   in Loop: Header=BB6_16392 Depth=2
	v_or_b32_sdwa v4, v5, s39 dst_sel:DWORD dst_unused:UNUSED_PAD src0_sel:BYTE_3 src1_sel:DWORD
	s_branch .LBB6_16391
.LBB6_16423:                            ;   in Loop: Header=BB6_12279 Depth=1
	s_or_b64 exec, exec, s[22:23]
	buffer_load_dword v0, off, s[0:3], s33 offset:584 ; 4-byte Folded Reload
	s_waitcnt vmcnt(0)
	v_cmp_ne_u32_e64 s[20:21], 0, v0
.LBB6_16424:                            ;   in Loop: Header=BB6_12279 Depth=1
	buffer_load_dword v6, off, s[0:3], s33 offset:560 ; 4-byte Folded Reload
	buffer_load_dword v7, off, s[0:3], s33 offset:564 ; 4-byte Folded Reload
	buffer_load_dword v14, off, s[0:3], s33 offset:568 ; 4-byte Folded Reload
	buffer_load_dword v15, off, s[0:3], s33 offset:572 ; 4-byte Folded Reload
	buffer_load_dword v15, off, s[0:3], s33 offset:536 ; 4-byte Folded Reload
	buffer_load_dword v16, off, s[0:3], s33 offset:540 ; 4-byte Folded Reload
	s_and_saveexec_b64 s[22:23], s[10:11]
	s_cbranch_execz .LBB6_16443
.LBB6_16425:                            ;   in Loop: Header=BB6_12279 Depth=1
	s_and_saveexec_b64 s[74:75], s[40:41]
	s_xor_b64 s[74:75], exec, s[74:75]
	s_cbranch_execz .LBB6_16440
; %bb.16426:                            ;   in Loop: Header=BB6_12279 Depth=1
	s_and_saveexec_b64 s[76:77], s[12:13]
	s_cbranch_execz .LBB6_16439
; %bb.16427:                            ;   in Loop: Header=BB6_12279 Depth=1
	s_mov_b64 s[88:89], exec
	v_mbcnt_lo_u32_b32 v0, s88, 0
	v_mbcnt_hi_u32_b32 v0, s89, v0
	v_cmp_eq_u32_e32 vcc, 0, v0
	s_waitcnt vmcnt(0) lgkmcnt(0)
	buffer_wbinvl1_vol
	s_and_saveexec_b64 s[78:79], vcc
	s_cbranch_execz .LBB6_16429
; %bb.16428:                            ;   in Loop: Header=BB6_12279 Depth=1
	s_bcnt1_i32_b64 s88, s[88:89]
	v_mov_b32_e32 v0, s88
	v_mov_b32_e32 v1, v53
	ds_add_u64 v0, v[0:1]
	s_trap 2
.LBB6_16429:                            ;   in Loop: Header=BB6_12279 Depth=1
	s_or_b64 exec, exec, s[78:79]
	s_trap 2
	ds_read_b64 v[0:1], v0
	s_waitcnt lgkmcnt(0)
	buffer_load_dword v2, off, s[0:3], s33 offset:96 ; 4-byte Folded Reload
	buffer_load_dword v3, off, s[0:3], s33 offset:100 ; 4-byte Folded Reload
	s_waitcnt vmcnt(1)
	v_add_co_u32_e32 v2, vcc, v2, v47
	s_waitcnt vmcnt(0)
	v_addc_co_u32_e32 v3, vcc, 0, v3, vcc
	buffer_store_dword v2, off, s[0:3], s33 offset:96 ; 4-byte Folded Spill
	s_nop 0
	buffer_store_dword v3, off, s[0:3], s33 offset:100 ; 4-byte Folded Spill
	v_cmp_lt_u64_e32 vcc, v[0:1], v[2:3]
	s_and_saveexec_b64 s[78:79], vcc
	s_cbranch_execz .LBB6_16438
; %bb.16430:                            ;   in Loop: Header=BB6_12279 Depth=1
	s_mov_b32 s34, 0
	s_mov_b64 s[88:89], 0
                                        ; implicit-def: $sgpr90_sgpr91
                                        ; implicit-def: $sgpr92_sgpr93
	s_branch .LBB6_16432
.LBB6_16431:                            ;   in Loop: Header=BB6_16432 Depth=2
	s_or_b64 exec, exec, s[30:31]
	s_and_b64 s[94:95], exec, vcc
	s_or_b64 s[88:89], s[94:95], s[88:89]
	s_andn2_b64 s[90:91], s[90:91], exec
	s_and_b64 s[94:95], s[92:93], exec
	s_or_b64 s[90:91], s[90:91], s[94:95]
	s_andn2_b64 exec, exec, s[88:89]
	s_cbranch_execz .LBB6_16436
.LBB6_16432:                            ;   Parent Loop BB6_12279 Depth=1
                                        ; =>  This Inner Loop Header: Depth=2
	s_add_i32 s34, s34, 1
	s_cmpk_lg_i32 s34, 0x2710
	s_cselect_b64 s[94:95], -1, 0
	s_and_b64 vcc, exec, s[94:95]
	s_cbranch_vccz .LBB6_16434
; %bb.16433:                            ;   in Loop: Header=BB6_16432 Depth=2
	s_mov_b64 vcc, -1
	s_or_b64 s[92:93], s[92:93], exec
	s_and_saveexec_b64 s[30:31], s[94:95]
	s_cbranch_execz .LBB6_16431
	s_branch .LBB6_16435
.LBB6_16434:                            ;   in Loop: Header=BB6_16432 Depth=2
	s_trap 2
	ds_read_b64 v[0:1], v0
	s_andn2_b64 s[94:95], s[94:95], exec
	s_mov_b32 s34, 0
	s_waitcnt vmcnt(0) lgkmcnt(0)
	flat_load_dword v0, v[0:1] glc
	s_waitcnt vmcnt(0) lgkmcnt(0)
	buffer_wbinvl1_vol
	v_cmp_eq_u32_e32 vcc, 0, v0
	s_and_b64 vcc, vcc, exec
	s_or_b64 s[94:95], s[94:95], vcc
	s_mov_b64 vcc, -1
	s_or_b64 s[92:93], s[92:93], exec
	s_and_saveexec_b64 s[30:31], s[94:95]
	s_cbranch_execz .LBB6_16431
.LBB6_16435:                            ;   in Loop: Header=BB6_16432 Depth=2
	s_sleep 1
	s_trap 2
	ds_read_b64 v[0:1], v0
	s_waitcnt lgkmcnt(0)
	buffer_load_dword v2, off, s[0:3], s33 offset:96 ; 4-byte Folded Reload
	buffer_load_dword v3, off, s[0:3], s33 offset:100 ; 4-byte Folded Reload
	s_andn2_b64 s[92:93], s[92:93], exec
	s_waitcnt vmcnt(0)
	v_cmp_ge_u64_e32 vcc, v[0:1], v[2:3]
	s_orn2_b64 vcc, vcc, exec
	s_branch .LBB6_16431
.LBB6_16436:                            ;   in Loop: Header=BB6_12279 Depth=1
	s_or_b64 exec, exec, s[88:89]
	s_and_saveexec_b64 s[88:89], s[90:91]
	s_xor_b64 s[88:89], exec, s[88:89]
	s_cbranch_execz .LBB6_16438
; %bb.16437:                            ;   in Loop: Header=BB6_12279 Depth=1
	v_mov_b32_e32 v0, 1
	ds_write_b32 v0, v0
	s_trap 2
.LBB6_16438:                            ;   in Loop: Header=BB6_12279 Depth=1
	s_or_b64 exec, exec, s[78:79]
	;;#ASMSTART
	s_wakeup
	;;#ASMEND
.LBB6_16439:                            ;   in Loop: Header=BB6_12279 Depth=1
	s_or_b64 exec, exec, s[76:77]
.LBB6_16440:                            ;   in Loop: Header=BB6_12279 Depth=1
	s_andn2_saveexec_b64 s[74:75], s[74:75]
	s_cbranch_execz .LBB6_16442
; %bb.16441:                            ;   in Loop: Header=BB6_12279 Depth=1
	s_waitcnt vmcnt(0) lgkmcnt(0)
	buffer_wbinvl1_vol
	s_barrier
.LBB6_16442:                            ;   in Loop: Header=BB6_12279 Depth=1
	s_or_b64 exec, exec, s[74:75]
.LBB6_16443:                            ;   in Loop: Header=BB6_12279 Depth=1
	s_or_b64 exec, exec, s[22:23]
	buffer_load_dword v0, off, s[0:3], s33 offset:76 ; 4-byte Folded Reload
	s_waitcnt vmcnt(0)
	v_and_b32_e32 v0, 16, v0
	v_cmp_ne_u32_e32 vcc, 0, v0
	s_and_b64 s[22:23], vcc, s[20:21]
	s_and_saveexec_b64 s[20:21], s[22:23]
	s_cbranch_execz .LBB6_16445
; %bb.16444:                            ;   in Loop: Header=BB6_12279 Depth=1
	s_waitcnt lgkmcnt(0)
	buffer_wbinvl1_vol
.LBB6_16445:                            ;   in Loop: Header=BB6_12279 Depth=1
	s_or_b64 exec, exec, s[20:21]
	v_cmp_ne_u32_e32 vcc, 0, v0
	s_and_saveexec_b64 s[20:21], vcc
	s_cbranch_execz .LBB6_16449
; %bb.16446:                            ;   in Loop: Header=BB6_12279 Depth=1
	s_and_saveexec_b64 s[22:23], s[18:19]
	s_cbranch_execz .LBB6_16448
; %bb.16447:                            ;   in Loop: Header=BB6_12279 Depth=1
	buffer_load_dword v0, off, s[0:3], s33 offset:592 ; 4-byte Folded Reload
	buffer_load_dword v1, off, s[0:3], s33 offset:596 ; 4-byte Folded Reload
	v_mov_b32_e32 v2, 1
	s_waitcnt vmcnt(0)
	flat_store_dword v[0:1], v2
.LBB6_16448:                            ;   in Loop: Header=BB6_12279 Depth=1
	s_or_b64 exec, exec, s[22:23]
	buffer_load_dword v0, off, s[0:3], s33 offset:80 ; 4-byte Folded Reload
	buffer_load_dword v1, off, s[0:3], s33 offset:84 ; 4-byte Folded Reload
	;; [unrolled: 1-line block ×4, first 2 shown]
	s_waitcnt vmcnt(0)
	v_add_co_u32_e32 v2, vcc, 1, v2
	v_addc_co_u32_e32 v3, vcc, 0, v3, vcc
	buffer_store_dword v0, off, s[0:3], s33 offset:80 ; 4-byte Folded Spill
	s_nop 0
	buffer_store_dword v1, off, s[0:3], s33 offset:84 ; 4-byte Folded Spill
	buffer_store_dword v2, off, s[0:3], s33 offset:88 ; 4-byte Folded Spill
	;; [unrolled: 1-line block ×3, first 2 shown]
	buffer_load_dword v0, off, s[0:3], s33 offset:68 ; 4-byte Folded Reload
	s_nop 0
	buffer_load_dword v1, off, s[0:3], s33 offset:72 ; 4-byte Folded Reload
	s_waitcnt vmcnt(0)
	flat_store_dwordx2 v[0:1], v[2:3]
.LBB6_16449:                            ;   in Loop: Header=BB6_12279 Depth=1
	s_or_b64 exec, exec, s[20:21]
	v_mov_b32_e32 v0, v15
.LBB6_16450:                            ;   in Loop: Header=BB6_12279 Depth=1
	s_or_b64 exec, exec, s[72:73]
	s_and_saveexec_b64 s[22:23], s[62:63]
	s_cbranch_execz .LBB6_12278
; %bb.16451:                            ;   in Loop: Header=BB6_12279 Depth=1
	v_sub_u32_e32 v0, v14, v0
	v_min_i32_e32 v10, v15, v0
	buffer_load_dword v0, off, s[0:3], s33 offset:76 ; 4-byte Folded Reload
	s_waitcnt vmcnt(0)
	v_and_b32_e32 v0, 8, v0
	v_cmp_ne_u32_e32 vcc, 0, v0
	s_and_saveexec_b64 s[62:63], vcc
	s_cbranch_execz .LBB6_16473
; %bb.16452:                            ;   in Loop: Header=BB6_12279 Depth=1
	buffer_load_dword v0, off, s[0:3], s33 offset:60 ; 4-byte Folded Reload
	buffer_load_dword v1, off, s[0:3], s33 offset:64 ; 4-byte Folded Reload
	;; [unrolled: 1-line block ×6, first 2 shown]
	s_waitcnt vmcnt(0)
	v_add_co_u32_e32 v0, vcc, 8, v0
	v_addc_co_u32_e32 v1, vcc, 0, v1, vcc
	v_add_co_u32_e32 v12, vcc, 1, v4
	v_addc_co_u32_e32 v13, vcc, 0, v5, vcc
	v_cmp_lt_u64_e32 vcc, v[0:1], v[12:13]
	s_and_saveexec_b64 s[72:73], vcc
	s_cbranch_execz .LBB6_16464
; %bb.16453:                            ;   in Loop: Header=BB6_12279 Depth=1
	buffer_load_dword v0, off, s[0:3], s33 offset:76 ; 4-byte Folded Reload
	s_mov_b32 s36, 0
	s_mov_b64 s[74:75], 0
                                        ; implicit-def: $sgpr76_sgpr77
                                        ; implicit-def: $sgpr78_sgpr79
                                        ; implicit-def: $sgpr88_sgpr89
	s_waitcnt vmcnt(0)
	v_and_b32_e32 v0, 64, v0
	v_cmp_eq_u32_e32 vcc, 0, v0
	s_branch .LBB6_16456
.LBB6_16454:                            ;   in Loop: Header=BB6_16456 Depth=2
	s_or_b64 exec, exec, s[34:35]
	s_andn2_b64 s[20:21], s[88:89], exec
	s_and_b64 s[88:89], s[94:95], exec
	s_or_b64 s[88:89], s[20:21], s[88:89]
	s_andn2_b64 s[20:21], s[78:79], exec
	s_and_b64 s[78:79], s[92:93], exec
	s_or_b64 s[78:79], s[20:21], s[78:79]
.LBB6_16455:                            ;   in Loop: Header=BB6_16456 Depth=2
	s_or_b64 exec, exec, s[90:91]
	s_and_b64 s[20:21], exec, s[78:79]
	s_or_b64 s[74:75], s[20:21], s[74:75]
	s_andn2_b64 s[20:21], s[76:77], exec
	s_and_b64 s[76:77], s[88:89], exec
	s_or_b64 s[76:77], s[20:21], s[76:77]
	s_andn2_b64 exec, exec, s[74:75]
	s_cbranch_execz .LBB6_16461
.LBB6_16456:                            ;   Parent Loop BB6_12279 Depth=1
                                        ; =>  This Inner Loop Header: Depth=2
	s_sleep 1
	buffer_load_dword v0, off, s[0:3], s33 offset:68 ; 4-byte Folded Reload
	buffer_load_dword v1, off, s[0:3], s33 offset:72 ; 4-byte Folded Reload
	s_or_b64 s[88:89], s[88:89], exec
	s_or_b64 s[78:79], s[78:79], exec
	s_waitcnt vmcnt(0)
	flat_load_dwordx2 v[0:1], v[0:1] glc
	s_waitcnt vmcnt(0) lgkmcnt(0)
	buffer_store_dword v0, off, s[0:3], s33 offset:60 ; 4-byte Folded Spill
	s_nop 0
	buffer_store_dword v1, off, s[0:3], s33 offset:64 ; 4-byte Folded Spill
                                        ; implicit-def: $vgpr0
	s_and_saveexec_b64 s[90:91], vcc
	s_cbranch_execz .LBB6_16455
; %bb.16457:                            ;   in Loop: Header=BB6_16456 Depth=2
	s_cmpk_lt_i32 s36, 0x270f
	s_cselect_b64 s[30:31], -1, 0
	s_cmpk_gt_i32 s36, 0x270e
	s_mov_b64 s[92:93], -1
	s_cbranch_scc0 .LBB6_16459
; %bb.16458:                            ;   in Loop: Header=BB6_16456 Depth=2
	s_trap 2
	ds_read_b64 v[0:1], v0
	s_andn2_b64 s[30:31], s[30:31], exec
	s_mov_b32 s36, 0
	s_mov_b64 s[94:95], 0
	s_waitcnt vmcnt(0) lgkmcnt(0)
	flat_load_dword v0, v[0:1] glc
	s_waitcnt vmcnt(0) lgkmcnt(0)
	buffer_wbinvl1_vol
	v_cmp_eq_u32_e64 s[20:21], 0, v0
	s_and_b64 s[20:21], s[20:21], exec
	s_or_b64 s[30:31], s[30:31], s[20:21]
	s_and_saveexec_b64 s[34:35], s[30:31]
	s_cbranch_execz .LBB6_16454
	s_branch .LBB6_16460
.LBB6_16459:                            ;   in Loop: Header=BB6_16456 Depth=2
	s_add_i32 s36, s36, 1
	s_mov_b64 s[94:95], -1
                                        ; implicit-def: $vgpr0
	s_and_saveexec_b64 s[34:35], s[30:31]
	s_cbranch_execz .LBB6_16454
.LBB6_16460:                            ;   in Loop: Header=BB6_16456 Depth=2
	buffer_load_dword v1, off, s[0:3], s33 offset:60 ; 4-byte Folded Reload
	buffer_load_dword v2, off, s[0:3], s33 offset:64 ; 4-byte Folded Reload
	s_or_b64 s[94:95], s[94:95], exec
	s_waitcnt vmcnt(1)
	v_add_co_u32_e64 v1, s[20:21], 8, v1
	s_waitcnt vmcnt(0)
	v_addc_co_u32_e64 v2, s[20:21], 0, v2, s[20:21]
	v_cmp_ge_u64_e64 s[20:21], v[1:2], v[12:13]
	s_orn2_b64 s[92:93], s[20:21], exec
	s_branch .LBB6_16454
.LBB6_16461:                            ;   in Loop: Header=BB6_12279 Depth=1
	s_or_b64 exec, exec, s[74:75]
	s_xor_b64 s[20:21], s[76:77], -1
	s_and_saveexec_b64 s[74:75], s[20:21]
	s_xor_b64 s[20:21], exec, s[74:75]
	s_cbranch_execz .LBB6_16463
; %bb.16462:                            ;   in Loop: Header=BB6_12279 Depth=1
	ds_write_b32 v0, v0
	s_trap 2
	buffer_load_dword v0, off, s[0:3], s33 offset:76 ; 4-byte Folded Reload
	s_waitcnt vmcnt(0)
	v_or_b32_e32 v0, 64, v0
	buffer_store_dword v0, off, s[0:3], s33 offset:76 ; 4-byte Folded Spill
.LBB6_16463:                            ;   in Loop: Header=BB6_12279 Depth=1
	s_or_b64 exec, exec, s[20:21]
.LBB6_16464:                            ;   in Loop: Header=BB6_12279 Depth=1
	s_or_b64 exec, exec, s[72:73]
	;;#ASMSTART
	s_wakeup
	;;#ASMEND
	buffer_load_dword v0, off, s[0:3], s33 offset:76 ; 4-byte Folded Reload
	s_mov_b64 s[20:21], -1
                                        ; implicit-def: $vgpr8_vgpr9
	s_waitcnt vmcnt(0)
	v_and_b32_e32 v0, 0x100, v0
	v_cmp_ne_u32_e32 vcc, 0, v0
	buffer_load_dword v0, off, s[0:3], s33 offset:80 ; 4-byte Folded Reload
	buffer_load_dword v1, off, s[0:3], s33 offset:84 ; 4-byte Folded Reload
	;; [unrolled: 1-line block ×4, first 2 shown]
	s_waitcnt vmcnt(0)
	v_and_b32_e32 v0, 7, v2
	s_and_saveexec_b64 s[72:73], vcc
	s_cbranch_execz .LBB6_16468
; %bb.16465:                            ;   in Loop: Header=BB6_12279 Depth=1
	buffer_load_dword v1, off, s[0:3], s33 offset:80 ; 4-byte Folded Reload
	buffer_load_dword v2, off, s[0:3], s33 offset:84 ; 4-byte Folded Reload
	;; [unrolled: 1-line block ×4, first 2 shown]
	v_ashrrev_i32_e32 v11, 31, v10
                                        ; implicit-def: $vgpr8_vgpr9
	s_waitcnt vmcnt(0)
	v_mad_u64_u32 v[14:15], s[20:21], v0, 24, v[1:2]
	flat_load_dword v1, v[14:15]
	s_nop 0
	flat_store_dwordx2 v[14:15], v[10:11] offset:8
	s_waitcnt vmcnt(0) lgkmcnt(0)
	v_cmp_ne_u32_e32 vcc, 1, v1
	v_cmp_eq_u32_e64 s[20:21], 1, v1
	s_and_saveexec_b64 s[74:75], s[20:21]
	s_cbranch_execz .LBB6_16467
; %bb.16466:                            ;   in Loop: Header=BB6_12279 Depth=1
	flat_load_dword v8, v[14:15] offset:4 glc
	s_waitcnt vmcnt(0) lgkmcnt(0)
	v_ashrrev_i32_e32 v9, 31, v8
.LBB6_16467:                            ;   in Loop: Header=BB6_12279 Depth=1
	s_or_b64 exec, exec, s[74:75]
	s_orn2_b64 s[20:21], vcc, exec
.LBB6_16468:                            ;   in Loop: Header=BB6_12279 Depth=1
	s_or_b64 exec, exec, s[72:73]
	s_and_saveexec_b64 s[72:73], s[20:21]
	s_cbranch_execz .LBB6_16470
; %bb.16469:                            ;   in Loop: Header=BB6_12279 Depth=1
	buffer_load_dword v1, off, s[0:3], s33 offset:588 ; 4-byte Folded Reload
	s_waitcnt vmcnt(0)
	v_mad_i64_i32 v[8:9], s[20:21], v0, v1, 0
.LBB6_16470:                            ;   in Loop: Header=BB6_12279 Depth=1
	s_or_b64 exec, exec, s[72:73]
	buffer_load_dword v0, off, s[0:3], s33 offset:524 ; 4-byte Folded Reload
	buffer_load_dword v1, off, s[0:3], s33 offset:528 ; 4-byte Folded Reload
	s_waitcnt vmcnt(0)
	v_add_co_u32_e32 v0, vcc, v0, v8
	v_addc_co_u32_e32 v1, vcc, v1, v9, vcc
	ds_write_b64 v0, v[0:1] offset:784
	buffer_load_dword v0, off, s[0:3], s33 offset:76 ; 4-byte Folded Reload
	s_waitcnt vmcnt(0)
	v_and_b32_e32 v0, 0x2000, v0
	v_cmp_ne_u32_e32 vcc, 0, v0
	s_and_saveexec_b64 s[20:21], vcc
	s_cbranch_execz .LBB6_16472
; %bb.16471:                            ;   in Loop: Header=BB6_12279 Depth=1
	ds_read_b64 v[0:1], v0 offset:872
	s_waitcnt lgkmcnt(0)
	v_add_co_u32_e32 v0, vcc, 1, v0
	v_addc_co_u32_e32 v1, vcc, 0, v1, vcc
	ds_write_b64 v0, v[0:1] offset:872
.LBB6_16472:                            ;   in Loop: Header=BB6_12279 Depth=1
	s_or_b64 exec, exec, s[20:21]
	buffer_load_dword v0, off, s[0:3], s33 offset:80 ; 4-byte Folded Reload
	buffer_load_dword v1, off, s[0:3], s33 offset:84 ; 4-byte Folded Reload
	;; [unrolled: 1-line block ×4, first 2 shown]
	s_waitcnt vmcnt(0)
	v_mov_b32_e32 v2, v12
	v_mov_b32_e32 v3, v13
	buffer_store_dword v0, off, s[0:3], s33 offset:80 ; 4-byte Folded Spill
	s_nop 0
	buffer_store_dword v1, off, s[0:3], s33 offset:84 ; 4-byte Folded Spill
	buffer_store_dword v2, off, s[0:3], s33 offset:88 ; 4-byte Folded Spill
	;; [unrolled: 1-line block ×3, first 2 shown]
.LBB6_16473:                            ;   in Loop: Header=BB6_12279 Depth=1
	s_or_b64 exec, exec, s[62:63]
	s_and_saveexec_b64 s[20:21], s[10:11]
	s_cbranch_execz .LBB6_16492
; %bb.16474:                            ;   in Loop: Header=BB6_12279 Depth=1
	s_and_saveexec_b64 s[62:63], s[40:41]
	s_xor_b64 s[62:63], exec, s[62:63]
	s_cbranch_execz .LBB6_16489
; %bb.16475:                            ;   in Loop: Header=BB6_12279 Depth=1
	s_and_saveexec_b64 s[72:73], s[12:13]
	s_cbranch_execz .LBB6_16488
; %bb.16476:                            ;   in Loop: Header=BB6_12279 Depth=1
	s_mov_b64 s[76:77], exec
	v_mbcnt_lo_u32_b32 v0, s76, 0
	v_mbcnt_hi_u32_b32 v0, s77, v0
	v_cmp_eq_u32_e32 vcc, 0, v0
	s_waitcnt vmcnt(0) lgkmcnt(0)
	buffer_wbinvl1_vol
	s_and_saveexec_b64 s[74:75], vcc
	s_cbranch_execz .LBB6_16478
; %bb.16477:                            ;   in Loop: Header=BB6_12279 Depth=1
	s_bcnt1_i32_b64 s76, s[76:77]
	v_mov_b32_e32 v0, s76
	v_mov_b32_e32 v1, v53
	ds_add_u64 v0, v[0:1]
	s_trap 2
.LBB6_16478:                            ;   in Loop: Header=BB6_12279 Depth=1
	s_or_b64 exec, exec, s[74:75]
	s_trap 2
	ds_read_b64 v[0:1], v0
	s_waitcnt lgkmcnt(0)
	buffer_load_dword v2, off, s[0:3], s33 offset:96 ; 4-byte Folded Reload
	buffer_load_dword v3, off, s[0:3], s33 offset:100 ; 4-byte Folded Reload
	s_waitcnt vmcnt(1)
	v_add_co_u32_e32 v2, vcc, v2, v47
	s_waitcnt vmcnt(0)
	v_addc_co_u32_e32 v3, vcc, 0, v3, vcc
	buffer_store_dword v2, off, s[0:3], s33 offset:96 ; 4-byte Folded Spill
	s_nop 0
	buffer_store_dword v3, off, s[0:3], s33 offset:100 ; 4-byte Folded Spill
	v_cmp_lt_u64_e32 vcc, v[0:1], v[2:3]
	s_and_saveexec_b64 s[74:75], vcc
	s_cbranch_execz .LBB6_16487
; %bb.16479:                            ;   in Loop: Header=BB6_12279 Depth=1
	s_mov_b32 s30, 0
	s_mov_b64 s[76:77], 0
                                        ; implicit-def: $sgpr78_sgpr79
                                        ; implicit-def: $sgpr88_sgpr89
	s_branch .LBB6_16481
.LBB6_16480:                            ;   in Loop: Header=BB6_16481 Depth=2
	s_or_b64 exec, exec, s[92:93]
	s_and_b64 s[90:91], exec, s[94:95]
	s_or_b64 s[76:77], s[90:91], s[76:77]
	s_andn2_b64 s[78:79], s[78:79], exec
	s_and_b64 s[90:91], s[88:89], exec
	s_or_b64 s[78:79], s[78:79], s[90:91]
	s_andn2_b64 exec, exec, s[76:77]
	s_cbranch_execz .LBB6_16485
.LBB6_16481:                            ;   Parent Loop BB6_12279 Depth=1
                                        ; =>  This Inner Loop Header: Depth=2
	s_add_i32 s30, s30, 1
	s_cmpk_lg_i32 s30, 0x2710
	s_cselect_b64 s[90:91], -1, 0
	s_and_b64 vcc, exec, s[90:91]
	s_cbranch_vccz .LBB6_16483
; %bb.16482:                            ;   in Loop: Header=BB6_16481 Depth=2
	s_mov_b64 s[94:95], -1
	s_or_b64 s[88:89], s[88:89], exec
	s_and_saveexec_b64 s[92:93], s[90:91]
	s_cbranch_execz .LBB6_16480
	s_branch .LBB6_16484
.LBB6_16483:                            ;   in Loop: Header=BB6_16481 Depth=2
	s_trap 2
	ds_read_b64 v[0:1], v0
	s_andn2_b64 s[90:91], s[90:91], exec
	s_mov_b32 s30, 0
	s_waitcnt vmcnt(0) lgkmcnt(0)
	flat_load_dword v0, v[0:1] glc
	s_waitcnt vmcnt(0) lgkmcnt(0)
	buffer_wbinvl1_vol
	v_cmp_eq_u32_e32 vcc, 0, v0
	s_and_b64 s[92:93], vcc, exec
	s_or_b64 s[90:91], s[90:91], s[92:93]
	s_mov_b64 s[94:95], -1
	s_or_b64 s[88:89], s[88:89], exec
	s_and_saveexec_b64 s[92:93], s[90:91]
	s_cbranch_execz .LBB6_16480
.LBB6_16484:                            ;   in Loop: Header=BB6_16481 Depth=2
	s_sleep 1
	s_trap 2
	ds_read_b64 v[0:1], v0
	s_waitcnt lgkmcnt(0)
	buffer_load_dword v2, off, s[0:3], s33 offset:96 ; 4-byte Folded Reload
	buffer_load_dword v3, off, s[0:3], s33 offset:100 ; 4-byte Folded Reload
	s_andn2_b64 s[88:89], s[88:89], exec
	s_waitcnt vmcnt(0)
	v_cmp_ge_u64_e32 vcc, v[0:1], v[2:3]
	s_orn2_b64 s[94:95], vcc, exec
	s_branch .LBB6_16480
.LBB6_16485:                            ;   in Loop: Header=BB6_12279 Depth=1
	s_or_b64 exec, exec, s[76:77]
	s_and_saveexec_b64 s[76:77], s[78:79]
	s_xor_b64 s[76:77], exec, s[76:77]
	s_cbranch_execz .LBB6_16487
; %bb.16486:                            ;   in Loop: Header=BB6_12279 Depth=1
	v_mov_b32_e32 v0, 1
	ds_write_b32 v0, v0
	s_trap 2
.LBB6_16487:                            ;   in Loop: Header=BB6_12279 Depth=1
	s_or_b64 exec, exec, s[74:75]
	;;#ASMSTART
	s_wakeup
	;;#ASMEND
.LBB6_16488:                            ;   in Loop: Header=BB6_12279 Depth=1
	s_or_b64 exec, exec, s[72:73]
.LBB6_16489:                            ;   in Loop: Header=BB6_12279 Depth=1
	s_andn2_saveexec_b64 s[62:63], s[62:63]
	s_cbranch_execz .LBB6_16491
; %bb.16490:                            ;   in Loop: Header=BB6_12279 Depth=1
	s_waitcnt vmcnt(0) lgkmcnt(0)
	buffer_wbinvl1_vol
	s_barrier
.LBB6_16491:                            ;   in Loop: Header=BB6_12279 Depth=1
	s_or_b64 exec, exec, s[62:63]
.LBB6_16492:                            ;   in Loop: Header=BB6_12279 Depth=1
	s_or_b64 exec, exec, s[20:21]
	s_trap 2
	ds_read_b32 v1, v0
	buffer_load_dword v0, off, s[0:3], s33 offset:76 ; 4-byte Folded Reload
	v_cmp_lt_i32_e32 vcc, 0, v10
	s_waitcnt lgkmcnt(0)
	v_readfirstlane_b32 s20, v1
	s_cmp_eq_u32 s20, 0
	s_cselect_b64 s[20:21], -1, 0
	s_and_b64 s[20:21], vcc, s[20:21]
	s_waitcnt vmcnt(0)
	v_and_b32_e32 v0, 16, v0
	v_cmp_ne_u32_e32 vcc, 0, v0
	s_and_b64 s[62:63], vcc, s[20:21]
	s_and_saveexec_b64 s[20:21], s[62:63]
	s_cbranch_execz .LBB6_16494
; %bb.16493:                            ;   in Loop: Header=BB6_12279 Depth=1
	buffer_wbinvl1_vol
.LBB6_16494:                            ;   in Loop: Header=BB6_12279 Depth=1
	s_or_b64 exec, exec, s[20:21]
	v_cmp_ne_u32_e32 vcc, 0, v0
	s_and_saveexec_b64 s[20:21], vcc
	s_cbranch_execz .LBB6_12277
; %bb.16495:                            ;   in Loop: Header=BB6_12279 Depth=1
	s_and_saveexec_b64 s[62:63], s[18:19]
	s_cbranch_execz .LBB6_12276
; %bb.16496:                            ;   in Loop: Header=BB6_12279 Depth=1
	buffer_load_dword v0, off, s[0:3], s33 offset:592 ; 4-byte Folded Reload
	buffer_load_dword v1, off, s[0:3], s33 offset:596 ; 4-byte Folded Reload
	v_mov_b32_e32 v2, 1
	s_waitcnt vmcnt(0)
	flat_store_dword v[0:1], v2
	s_branch .LBB6_12276
.LBB6_16497:
	s_or_b64 exec, exec, s[42:43]
	buffer_load_dword v6, off, s[0:3], s33 offset:80 ; 4-byte Folded Reload
	buffer_load_dword v7, off, s[0:3], s33 offset:84 ; 4-byte Folded Reload
	;; [unrolled: 1-line block ×4, first 2 shown]
.LBB6_16498:
	s_or_b64 exec, exec, s[28:29]
.LBB6_16499:
	s_or_b64 exec, exec, s[26:27]
	buffer_load_dword v1, off, s[0:3], s33 offset:76 ; 4-byte Folded Reload
	s_waitcnt vmcnt(0)
	v_and_b32_e32 v0, 0x800, v1
	v_cmp_eq_u32_e32 vcc, 0, v0
	s_and_saveexec_b64 s[6:7], vcc
	s_cbranch_execz .LBB6_16532
; %bb.16500:
	v_and_b32_e32 v0, 48, v1
	v_cmp_ne_u32_e32 vcc, 0, v0
	s_and_saveexec_b64 s[4:5], vcc
	s_cbranch_execz .LBB6_16502
; %bb.16501:
	buffer_load_dword v0, off, s[0:3], s33 offset:600 ; 4-byte Folded Reload
	buffer_load_dword v1, off, s[0:3], s33 offset:604 ; 4-byte Folded Reload
	s_waitcnt vmcnt(0) lgkmcnt(0)
	flat_store_dwordx2 v[0:1], v[8:9] offset:104
.LBB6_16502:
	s_or_b64 exec, exec, s[4:5]
	buffer_load_dword v3, off, s[0:3], s33 offset:76 ; 4-byte Folded Reload
	s_movk_i32 s4, 0x88
	s_waitcnt vmcnt(0)
	v_and_b32_e32 v0, 0x88, v3
	v_cmp_eq_u32_e32 vcc, s4, v0
	s_and_saveexec_b64 s[10:11], vcc
	s_cbranch_execz .LBB6_16512
; %bb.16503:
	s_waitcnt lgkmcnt(0)
	v_add_u32_e32 v0, -1, v8
	v_and_b32_e32 v0, 7, v0
	v_mad_u64_u32 v[4:5], s[4:5], v0, 24, v[6:7]
	v_and_b32_e32 v2, 64, v3
	v_cmp_eq_u32_e64 s[4:5], 0, v2
	flat_load_dwordx2 v[0:1], v[4:5] offset:8 glc
	s_waitcnt vmcnt(0)
	s_mov_b32 s22, 0
	s_waitcnt lgkmcnt(0)
	v_cmp_ne_u64_e32 vcc, -1, v[0:1]
	s_and_b64 s[4:5], vcc, s[4:5]
	s_and_b64 exec, exec, s[4:5]
	s_cbranch_execz .LBB6_16512
; %bb.16504:
	s_mov_b64 s[4:5], 0
                                        ; implicit-def: $sgpr12_sgpr13
                                        ; implicit-def: $sgpr14_sgpr15
	s_branch .LBB6_16506
.LBB6_16505:                            ;   in Loop: Header=BB6_16506 Depth=1
	s_or_b64 exec, exec, s[20:21]
	s_and_b64 s[16:17], exec, s[18:19]
	s_or_b64 s[4:5], s[16:17], s[4:5]
	s_andn2_b64 s[12:13], s[12:13], exec
	s_and_b64 s[16:17], s[14:15], exec
	s_or_b64 s[12:13], s[12:13], s[16:17]
	s_andn2_b64 exec, exec, s[4:5]
	s_cbranch_execz .LBB6_16510
.LBB6_16506:                            ; =>This Inner Loop Header: Depth=1
	s_cmpk_lt_i32 s22, 0x270f
	s_cselect_b64 s[16:17], -1, 0
	s_and_b64 vcc, exec, s[16:17]
	s_cbranch_vccnz .LBB6_16508
; %bb.16507:                            ;   in Loop: Header=BB6_16506 Depth=1
	s_trap 2
	ds_read_b64 v[0:1], v0
	s_andn2_b64 s[16:17], s[16:17], exec
	s_mov_b32 s22, 0
	s_waitcnt lgkmcnt(0)
	flat_load_dword v0, v[0:1] glc
	s_waitcnt vmcnt(0) lgkmcnt(0)
	buffer_wbinvl1_vol
	v_cmp_eq_u32_e32 vcc, 0, v0
	s_and_b64 s[18:19], vcc, exec
	s_or_b64 s[16:17], s[16:17], s[18:19]
	s_mov_b64 s[18:19], -1
	s_or_b64 s[14:15], s[14:15], exec
	s_and_saveexec_b64 s[20:21], s[16:17]
	s_cbranch_execz .LBB6_16505
	s_branch .LBB6_16509
.LBB6_16508:                            ;   in Loop: Header=BB6_16506 Depth=1
	s_add_i32 s22, s22, 1
                                        ; implicit-def: $vgpr0
	s_mov_b64 s[18:19], -1
	s_or_b64 s[14:15], s[14:15], exec
	s_and_saveexec_b64 s[20:21], s[16:17]
	s_cbranch_execz .LBB6_16505
.LBB6_16509:                            ;   in Loop: Header=BB6_16506 Depth=1
	flat_load_dwordx2 v[1:2], v[4:5] offset:8 glc
	s_waitcnt vmcnt(0)
	s_andn2_b64 s[14:15], s[14:15], exec
	s_waitcnt lgkmcnt(0)
	v_cmp_eq_u64_e32 vcc, -1, v[1:2]
	s_orn2_b64 s[18:19], vcc, exec
	s_branch .LBB6_16505
.LBB6_16510:
	s_or_b64 exec, exec, s[4:5]
	s_mov_b64 s[4:5], exec
	buffer_load_dword v3, off, s[0:3], s33 offset:76 ; 4-byte Folded Reload
	s_and_b64 s[12:13], s[4:5], s[12:13]
	s_xor_b64 s[4:5], s[12:13], s[4:5]
	s_mov_b64 exec, s[12:13]
	s_cbranch_execz .LBB6_16512
; %bb.16511:
	ds_write_b32 v0, v0
	s_trap 2
.LBB6_16512:
	s_or_b64 exec, exec, s[10:11]
	s_waitcnt vmcnt(0)
	v_and_b32_e32 v0, 0x2000, v3
	v_cmp_ne_u32_e32 vcc, 0, v0
	s_and_saveexec_b64 s[4:5], vcc
	s_cbranch_execz .LBB6_16514
; %bb.16513:
	s_trap 2
	ds_read_b64 v[0:1], v0
	buffer_load_dword v2, off, s[0:3], s33 offset:624 ; 4-byte Folded Reload
	buffer_load_dword v3, off, s[0:3], s33 offset:628 ; 4-byte Folded Reload
	s_waitcnt vmcnt(0) lgkmcnt(0)
	flat_store_dwordx2 v[2:3], v[0:1] offset:16
.LBB6_16514:
	s_or_b64 exec, exec, s[4:5]
	buffer_load_dword v0, off, s[0:3], s33 offset:556 ; 4-byte Folded Reload
	s_waitcnt vmcnt(0)
	v_cmp_ne_u32_e32 vcc, 64, v0
	s_and_b64 exec, exec, vcc
	s_cbranch_execz .LBB6_16532
; %bb.16515:
	buffer_load_dword v0, off, s[0:3], s33 offset:556 ; 4-byte Folded Reload
	buffer_load_dword v1, off, s[0:3], s33 offset:612 ; 4-byte Folded Reload
	s_waitcnt vmcnt(0)
	v_cmp_ne_u32_sdwa s[4:5], v0, v1 src0_sel:DWORD src1_sel:WORD_0
	s_and_saveexec_b64 s[10:11], s[4:5]
	s_xor_b64 s[4:5], exec, s[10:11]
	s_cbranch_execz .LBB6_16530
; %bb.16516:
	buffer_load_dword v0, off, s[0:3], s33 offset:608 ; 4-byte Folded Reload
	s_waitcnt vmcnt(0)
	v_and_b32_e32 v0, 63, v0
	v_cmp_eq_u32_e32 vcc, 0, v0
	s_and_saveexec_b64 s[10:11], vcc
	s_cbranch_execz .LBB6_16529
; %bb.16517:
	s_mov_b64 s[14:15], exec
	v_mbcnt_lo_u32_b32 v0, s14, 0
	v_mbcnt_hi_u32_b32 v0, s15, v0
	v_cmp_eq_u32_e32 vcc, 0, v0
	s_waitcnt lgkmcnt(0)
	buffer_wbinvl1_vol
	s_and_saveexec_b64 s[12:13], vcc
	s_cbranch_execz .LBB6_16519
; %bb.16518:
	s_bcnt1_i32_b64 s14, s[14:15]
	v_mov_b32_e32 v0, s14
	v_mov_b32_e32 v1, 0
	ds_add_u64 v0, v[0:1]
	s_trap 2
.LBB6_16519:
	s_or_b64 exec, exec, s[12:13]
	buffer_load_dword v0, off, s[0:3], s33 offset:556 ; 4-byte Folded Reload
	s_trap 2
	s_waitcnt vmcnt(0)
	v_lshrrev_b32_e32 v0, 6, v0
	ds_read_b64 v[2:3], v0
	s_waitcnt lgkmcnt(0)
	buffer_load_dword v4, off, s[0:3], s33 offset:96 ; 4-byte Folded Reload
	buffer_load_dword v5, off, s[0:3], s33 offset:100 ; 4-byte Folded Reload
	s_waitcnt vmcnt(1)
	v_add_co_u32_e32 v0, vcc, v4, v0
	s_waitcnt vmcnt(0)
	v_addc_co_u32_e32 v1, vcc, 0, v5, vcc
	v_cmp_lt_u64_e32 vcc, v[2:3], v[0:1]
	s_and_saveexec_b64 s[12:13], vcc
	s_cbranch_execz .LBB6_16528
; %bb.16520:
	s_mov_b32 s28, 0
	s_mov_b64 s[14:15], 0
                                        ; implicit-def: $sgpr16_sgpr17
                                        ; implicit-def: $sgpr18_sgpr19
	s_branch .LBB6_16522
.LBB6_16521:                            ;   in Loop: Header=BB6_16522 Depth=1
	s_or_b64 exec, exec, s[22:23]
	s_and_b64 s[20:21], exec, s[26:27]
	s_or_b64 s[14:15], s[20:21], s[14:15]
	s_andn2_b64 s[16:17], s[16:17], exec
	s_and_b64 s[20:21], s[18:19], exec
	s_or_b64 s[16:17], s[16:17], s[20:21]
	s_andn2_b64 exec, exec, s[14:15]
	s_cbranch_execz .LBB6_16526
.LBB6_16522:                            ; =>This Inner Loop Header: Depth=1
	s_add_i32 s28, s28, 1
	s_cmpk_lg_i32 s28, 0x2710
	s_cselect_b64 s[20:21], -1, 0
	s_and_b64 vcc, exec, s[20:21]
	s_cbranch_vccz .LBB6_16524
; %bb.16523:                            ;   in Loop: Header=BB6_16522 Depth=1
	s_mov_b64 s[26:27], -1
	s_or_b64 s[18:19], s[18:19], exec
	s_and_saveexec_b64 s[22:23], s[20:21]
	s_cbranch_execz .LBB6_16521
	s_branch .LBB6_16525
.LBB6_16524:                            ;   in Loop: Header=BB6_16522 Depth=1
	s_trap 2
	ds_read_b64 v[2:3], v0
	s_andn2_b64 s[20:21], s[20:21], exec
	s_mov_b32 s28, 0
	s_waitcnt lgkmcnt(0)
	flat_load_dword v2, v[2:3] glc
	s_waitcnt vmcnt(0) lgkmcnt(0)
	buffer_wbinvl1_vol
	v_cmp_eq_u32_e32 vcc, 0, v2
	s_and_b64 s[22:23], vcc, exec
	s_or_b64 s[20:21], s[20:21], s[22:23]
	s_mov_b64 s[26:27], -1
	s_or_b64 s[18:19], s[18:19], exec
	s_and_saveexec_b64 s[22:23], s[20:21]
	s_cbranch_execz .LBB6_16521
.LBB6_16525:                            ;   in Loop: Header=BB6_16522 Depth=1
	s_sleep 1
	s_trap 2
	ds_read_b64 v[2:3], v0
	s_waitcnt lgkmcnt(0)
	s_andn2_b64 s[18:19], s[18:19], exec
	v_cmp_ge_u64_e32 vcc, v[2:3], v[0:1]
	s_orn2_b64 s[26:27], vcc, exec
	s_branch .LBB6_16521
.LBB6_16526:
	s_or_b64 exec, exec, s[14:15]
	s_and_saveexec_b64 s[14:15], s[16:17]
	s_xor_b64 s[14:15], exec, s[14:15]
	s_cbranch_execz .LBB6_16528
; %bb.16527:
	v_mov_b32_e32 v0, 1
	ds_write_b32 v0, v0
	s_trap 2
.LBB6_16528:
	s_or_b64 exec, exec, s[12:13]
	;;#ASMSTART
	s_wakeup
	;;#ASMEND
.LBB6_16529:
	s_or_b64 exec, exec, s[10:11]
.LBB6_16530:
	s_andn2_saveexec_b64 s[4:5], s[4:5]
	s_cbranch_execz .LBB6_16532
; %bb.16531:
	s_waitcnt lgkmcnt(0)
	buffer_wbinvl1_vol
	s_barrier
.LBB6_16532:
	s_or_b64 exec, exec, s[6:7]
.LBB6_16533:
	s_andn2_saveexec_b64 s[26:27], s[24:25]
	s_cbranch_execz .LBB6_16535
; %bb.16534:
	s_getpc_b64 s[4:5]
	s_add_u32 s4, s4, __PRETTY_FUNCTION__._ZN10PrimitivesI14__hip_fp8_e4m313FuncPreMulSumIS0_E12FanSymmetricILi1EELi0E11ProtoSimpleILi1ELi1ELi0ELi4ELi0ELi0EELi0ELb0ELi0ELi0ELi0EEC2EiiPKiS9_PKvPvmhhhP15ncclDevWorkCollP14ncclDevWorkP2pii@rel32@lo+4
	s_addc_u32 s5, s5, __PRETTY_FUNCTION__._ZN10PrimitivesI14__hip_fp8_e4m313FuncPreMulSumIS0_E12FanSymmetricILi1EELi0E11ProtoSimpleILi1ELi1ELi0ELi4ELi0ELi0EELi0ELb0ELi0ELi0ELi0EEC2EiiPKiS9_PKvPvmhhhP15ncclDevWorkCollP14ncclDevWorkP2pii@rel32@hi+12
	s_getpc_b64 s[6:7]
	s_add_u32 s6, s6, __assert_fail@rel32@lo+4
	s_addc_u32 s7, s7, __assert_fail@rel32@hi+12
	v_mov_b32_e32 v0, s4
	v_mov_b32_e32 v1, s5
	s_swappc_b64 s[30:31], s[6:7]
	; divergent unreachable
.LBB6_16535:
	s_or_b64 exec, exec, s[26:27]
	buffer_load_dword v62, off, s[0:3], s33 ; 4-byte Folded Reload
	buffer_load_dword v61, off, s[0:3], s33 offset:4 ; 4-byte Folded Reload
	buffer_load_dword v60, off, s[0:3], s33 offset:8 ; 4-byte Folded Reload
	;; [unrolled: 1-line block ×14, first 2 shown]
	v_readlane_b32 s30, v63, 16
	v_readlane_b32 s31, v63, 17
	;; [unrolled: 1-line block ×18, first 2 shown]
	s_mov_b32 s32, s33
	v_readlane_b32 s4, v63, 18
	s_or_saveexec_b64 s[6:7], -1
	buffer_load_dword v63, off, s[0:3], s33 offset:632 ; 4-byte Folded Reload
	s_mov_b64 exec, s[6:7]
	s_mov_b32 s33, s4
	s_waitcnt vmcnt(0) lgkmcnt(0)
	s_setpc_b64 s[30:31]
.Lfunc_end6:
	.size	_ZN12_GLOBAL__N_17runRingI14__hip_fp8_e4m313FuncPreMulSumIS1_E11ProtoSimpleILi1ELi1ELi0ELi4ELi0ELi0EELi0ELi4ELi0EEEviiP15ncclDevWorkColl, .Lfunc_end6-_ZN12_GLOBAL__N_17runRingI14__hip_fp8_e4m313FuncPreMulSumIS1_E11ProtoSimpleILi1ELi1ELi0ELi4ELi0ELi0EELi0ELi4ELi0EEEviiP15ncclDevWorkColl
                                        ; -- End function
	.set .L_ZN12_GLOBAL__N_17runRingI14__hip_fp8_e4m313FuncPreMulSumIS1_E11ProtoSimpleILi1ELi1ELi0ELi4ELi0ELi0EELi0ELi4ELi0EEEviiP15ncclDevWorkColl.num_vgpr, max(64, .L__assert_fail.num_vgpr)
	.set .L_ZN12_GLOBAL__N_17runRingI14__hip_fp8_e4m313FuncPreMulSumIS1_E11ProtoSimpleILi1ELi1ELi0ELi4ELi0ELi0EELi0ELi4ELi0EEEviiP15ncclDevWorkColl.num_agpr, max(0, .L__assert_fail.num_agpr)
	.set .L_ZN12_GLOBAL__N_17runRingI14__hip_fp8_e4m313FuncPreMulSumIS1_E11ProtoSimpleILi1ELi1ELi0ELi4ELi0ELi0EELi0ELi4ELi0EEEviiP15ncclDevWorkColl.numbered_sgpr, max(96, .L__assert_fail.numbered_sgpr)
	.set .L_ZN12_GLOBAL__N_17runRingI14__hip_fp8_e4m313FuncPreMulSumIS1_E11ProtoSimpleILi1ELi1ELi0ELi4ELi0ELi0EELi0ELi4ELi0EEEviiP15ncclDevWorkColl.num_named_barrier, max(0, .L__assert_fail.num_named_barrier)
	.set .L_ZN12_GLOBAL__N_17runRingI14__hip_fp8_e4m313FuncPreMulSumIS1_E11ProtoSimpleILi1ELi1ELi0ELi4ELi0ELi0EELi0ELi4ELi0EEEviiP15ncclDevWorkColl.private_seg_size, 640+max(.L__assert_fail.private_seg_size)
	.set .L_ZN12_GLOBAL__N_17runRingI14__hip_fp8_e4m313FuncPreMulSumIS1_E11ProtoSimpleILi1ELi1ELi0ELi4ELi0ELi0EELi0ELi4ELi0EEEviiP15ncclDevWorkColl.uses_vcc, or(1, .L__assert_fail.uses_vcc)
	.set .L_ZN12_GLOBAL__N_17runRingI14__hip_fp8_e4m313FuncPreMulSumIS1_E11ProtoSimpleILi1ELi1ELi0ELi4ELi0ELi0EELi0ELi4ELi0EEEviiP15ncclDevWorkColl.uses_flat_scratch, or(0, .L__assert_fail.uses_flat_scratch)
	.set .L_ZN12_GLOBAL__N_17runRingI14__hip_fp8_e4m313FuncPreMulSumIS1_E11ProtoSimpleILi1ELi1ELi0ELi4ELi0ELi0EELi0ELi4ELi0EEEviiP15ncclDevWorkColl.has_dyn_sized_stack, or(0, .L__assert_fail.has_dyn_sized_stack)
	.set .L_ZN12_GLOBAL__N_17runRingI14__hip_fp8_e4m313FuncPreMulSumIS1_E11ProtoSimpleILi1ELi1ELi0ELi4ELi0ELi0EELi0ELi4ELi0EEEviiP15ncclDevWorkColl.has_recursion, or(1, .L__assert_fail.has_recursion)
	.set .L_ZN12_GLOBAL__N_17runRingI14__hip_fp8_e4m313FuncPreMulSumIS1_E11ProtoSimpleILi1ELi1ELi0ELi4ELi0ELi0EELi0ELi4ELi0EEEviiP15ncclDevWorkColl.has_indirect_call, or(0, .L__assert_fail.has_indirect_call)
	.section	.AMDGPU.csdata,"",@progbits
; Function info:
; codeLenInByte = 478640
; TotalNumSgprs: 100
; NumVgprs: 64
; ScratchSize: 704
; MemoryBound: 1
	.text
	.p2align	2                               ; -- Begin function _Z53ncclDevFunc_Reduce_RING_SIMPLE_PreMulSum_f8e4m3_0_0_4v
	.type	_Z53ncclDevFunc_Reduce_RING_SIMPLE_PreMulSum_f8e4m3_0_0_4v,@function
_Z53ncclDevFunc_Reduce_RING_SIMPLE_PreMulSum_f8e4m3_0_0_4v: ; @_Z53ncclDevFunc_Reduce_RING_SIMPLE_PreMulSum_f8e4m3_0_0_4v
; %bb.0:
	s_waitcnt vmcnt(0) expcnt(0) lgkmcnt(0)
	s_mov_b32 s4, s33
	s_mov_b32 s33, s32
	s_or_saveexec_b64 s[6:7], -1
	buffer_store_dword v43, off, s[0:3], s33 offset:16 ; 4-byte Folded Spill
	s_mov_b64 exec, s[6:7]
	v_writelane_b32 v43, s4, 26
	s_addk_i32 s32, 0x800
	buffer_store_dword v40, off, s[0:3], s33 offset:12 ; 4-byte Folded Spill
	buffer_store_dword v41, off, s[0:3], s33 offset:8 ; 4-byte Folded Spill
	;; [unrolled: 1-line block ×3, first 2 shown]
	buffer_store_dword v63, off, s[0:3], s33 ; 4-byte Folded Spill
	v_writelane_b32 v43, s34, 0
	v_writelane_b32 v43, s35, 1
	;; [unrolled: 1-line block ×26, first 2 shown]
	s_trap 2
	ds_read_b32 v0, v0
	v_mov_b32_e32 v40, v31
	v_and_b32_e32 v41, 0x3ff, v40
	s_mov_b32 s70, s12
	s_mov_b64 s[68:69], s[8:9]
	s_waitcnt lgkmcnt(0)
	v_cmp_lt_i32_e32 vcc, v41, v0
	s_and_saveexec_b64 s[4:5], vcc
	s_cbranch_execz .LBB7_5
; %bb.1:
	s_load_dword s6, s[68:69], 0x0
	v_mov_b32_e32 v1, 0
	s_mov_b32 s10, 0
	v_mov_b32_e32 v4, v41
                                        ; implicit-def: $vgpr3
	s_waitcnt lgkmcnt(0)
	s_cmp_lt_u32 s70, s6
	s_cselect_b32 s6, 12, 18
	s_add_u32 s6, s68, s6
	s_addc_u32 s7, s69, 0
	global_load_ushort v1, v1, s[6:7]
	s_trap 2
	ds_read_b32 v2, v0
	s_mov_b64 s[6:7], 0
	s_waitcnt vmcnt(0) lgkmcnt(0)
	v_mul_lo_u32 v2, v2, v1
	s_branch .LBB7_3
.LBB7_2:                                ;   in Loop: Header=BB7_3 Depth=1
	s_or_b64 exec, exec, s[8:9]
	v_add_u32_e32 v4, v4, v1
	v_cmp_ge_i32_e32 vcc, v4, v0
	s_or_b64 s[6:7], vcc, s[6:7]
	v_add_u32_e32 v3, v3, v2
	s_andn2_b64 exec, exec, s[6:7]
	s_cbranch_execz .LBB7_5
.LBB7_3:                                ; =>This Inner Loop Header: Depth=1
	ds_read_b32 v5, v3
	s_waitcnt lgkmcnt(0)
	v_and_b32_e32 v5, 0x1000000, v5
	v_cmp_ne_u32_e32 vcc, 0, v5
	s_and_saveexec_b64 s[8:9], vcc
	s_cbranch_execz .LBB7_2
; %bb.4:                                ;   in Loop: Header=BB7_3 Depth=1
	ds_read_b64 v[5:6], v3 offset:104
	s_waitcnt lgkmcnt(0)
	flat_load_ubyte v5, v[5:6]
	v_mov_b32_e32 v6, s10
	s_waitcnt vmcnt(0) lgkmcnt(0)
	v_and_b32_e32 v5, 0xffff, v5
	ds_write_b64 v3, v[5:6] offset:104
	s_branch .LBB7_2
.LBB7_5:
	s_or_b64 exec, exec, s[4:5]
	s_waitcnt vmcnt(0) lgkmcnt(0)
	s_barrier
	s_trap 2
	ds_read_b32 v0, v0
	s_waitcnt lgkmcnt(0)
	v_cmp_gt_i32_e32 vcc, 1, v0
	s_cbranch_vccnz .LBB7_13
; %bb.6:
	s_mov_b32 s71, 0
	v_mov_b32_e32 v42, 6
	s_branch .LBB7_8
.LBB7_7:                                ;   in Loop: Header=BB7_8 Depth=1
	s_or_b64 exec, exec, s[80:81]
	s_trap 2
	ds_read_b32 v0, v0
	s_add_i32 s71, s71, 1
	s_waitcnt lgkmcnt(0)
	v_cmp_lt_i32_e32 vcc, s71, v0
	s_cbranch_vccz .LBB7_13
.LBB7_8:                                ; =>This Inner Loop Header: Depth=1
	s_trap 2
	ds_read_b32 v0, v0
	s_cmp_eq_u32 s71, 0
	s_cbranch_scc1 .LBB7_11
; %bb.9:                                ;   in Loop: Header=BB7_8 Depth=1
	s_trap 2
	s_waitcnt lgkmcnt(0)
	ds_read_b32 v1, v0
	s_waitcnt lgkmcnt(0)
	v_xor_b32_e32 v1, v1, v0
	v_and_b32_e32 v1, 0xff0000, v1
	v_cmp_eq_u32_e32 vcc, 0, v1
	s_cbranch_vccnz .LBB7_11
; %bb.10:                               ;   in Loop: Header=BB7_8 Depth=1
	s_barrier
	ds_read_b32 v0, v0
.LBB7_11:                               ;   in Loop: Header=BB7_8 Depth=1
	s_waitcnt lgkmcnt(0)
	v_lshlrev_b32_sdwa v1, v42, v0 dst_sel:DWORD dst_unused:UNUSED_PAD src0_sel:DWORD src1_sel:BYTE_2
	v_cmp_lt_u32_e32 vcc, v41, v1
	s_and_saveexec_b64 s[80:81], vcc
	s_cbranch_execz .LBB7_7
; %bb.12:                               ;   in Loop: Header=BB7_8 Depth=1
	s_mov_b64 s[4:5], src_shared_base
	s_getpc_b64 s[6:7]
	s_add_u32 s6, s6, _ZN12_GLOBAL__N_17runRingI14__hip_fp8_e4m313FuncPreMulSumIS1_E11ProtoSimpleILi1ELi1ELi0ELi4ELi0ELi0EELi0ELi4ELi0EEEviiP15ncclDevWorkColl@rel32@lo+4
	s_addc_u32 s7, s7, _ZN12_GLOBAL__N_17runRingI14__hip_fp8_e4m313FuncPreMulSumIS1_E11ProtoSimpleILi1ELi1ELi0ELi4ELi0ELi0EELi0ELi4ELi0EEEviiP15ncclDevWorkColl@rel32@hi+12
	s_mov_b64 s[8:9], s[68:69]
	s_mov_b32 s12, s70
	v_mov_b32_e32 v31, v40
	v_mov_b32_e32 v0, v41
	;; [unrolled: 1-line block ×3, first 2 shown]
	s_swappc_b64 s[30:31], s[6:7]
	s_branch .LBB7_7
.LBB7_13:
	buffer_load_dword v63, off, s[0:3], s33 ; 4-byte Folded Reload
	buffer_load_dword v42, off, s[0:3], s33 offset:4 ; 4-byte Folded Reload
	buffer_load_dword v41, off, s[0:3], s33 offset:8 ; 4-byte Folded Reload
	buffer_load_dword v40, off, s[0:3], s33 offset:12 ; 4-byte Folded Reload
	v_readlane_b32 s30, v43, 24
	v_readlane_b32 s31, v43, 25
	;; [unrolled: 1-line block ×26, first 2 shown]
	s_mov_b32 s32, s33
	v_readlane_b32 s4, v43, 26
	s_or_saveexec_b64 s[6:7], -1
	buffer_load_dword v43, off, s[0:3], s33 offset:16 ; 4-byte Folded Reload
	s_mov_b64 exec, s[6:7]
	s_mov_b32 s33, s4
	s_waitcnt vmcnt(0)
	s_setpc_b64 s[30:31]
.Lfunc_end7:
	.size	_Z53ncclDevFunc_Reduce_RING_SIMPLE_PreMulSum_f8e4m3_0_0_4v, .Lfunc_end7-_Z53ncclDevFunc_Reduce_RING_SIMPLE_PreMulSum_f8e4m3_0_0_4v
                                        ; -- End function
	.set .L_Z53ncclDevFunc_Reduce_RING_SIMPLE_PreMulSum_f8e4m3_0_0_4v.num_vgpr, max(64, .L_ZN12_GLOBAL__N_17runRingI14__hip_fp8_e4m313FuncPreMulSumIS1_E11ProtoSimpleILi1ELi1ELi0ELi4ELi0ELi0EELi0ELi4ELi0EEEviiP15ncclDevWorkColl.num_vgpr)
	.set .L_Z53ncclDevFunc_Reduce_RING_SIMPLE_PreMulSum_f8e4m3_0_0_4v.num_agpr, max(0, .L_ZN12_GLOBAL__N_17runRingI14__hip_fp8_e4m313FuncPreMulSumIS1_E11ProtoSimpleILi1ELi1ELi0ELi4ELi0ELi0EELi0ELi4ELi0EEEviiP15ncclDevWorkColl.num_agpr)
	.set .L_Z53ncclDevFunc_Reduce_RING_SIMPLE_PreMulSum_f8e4m3_0_0_4v.numbered_sgpr, max(82, .L_ZN12_GLOBAL__N_17runRingI14__hip_fp8_e4m313FuncPreMulSumIS1_E11ProtoSimpleILi1ELi1ELi0ELi4ELi0ELi0EELi0ELi4ELi0EEEviiP15ncclDevWorkColl.numbered_sgpr)
	.set .L_Z53ncclDevFunc_Reduce_RING_SIMPLE_PreMulSum_f8e4m3_0_0_4v.num_named_barrier, max(0, .L_ZN12_GLOBAL__N_17runRingI14__hip_fp8_e4m313FuncPreMulSumIS1_E11ProtoSimpleILi1ELi1ELi0ELi4ELi0ELi0EELi0ELi4ELi0EEEviiP15ncclDevWorkColl.num_named_barrier)
	.set .L_Z53ncclDevFunc_Reduce_RING_SIMPLE_PreMulSum_f8e4m3_0_0_4v.private_seg_size, 32+max(.L_ZN12_GLOBAL__N_17runRingI14__hip_fp8_e4m313FuncPreMulSumIS1_E11ProtoSimpleILi1ELi1ELi0ELi4ELi0ELi0EELi0ELi4ELi0EEEviiP15ncclDevWorkColl.private_seg_size)
	.set .L_Z53ncclDevFunc_Reduce_RING_SIMPLE_PreMulSum_f8e4m3_0_0_4v.uses_vcc, or(1, .L_ZN12_GLOBAL__N_17runRingI14__hip_fp8_e4m313FuncPreMulSumIS1_E11ProtoSimpleILi1ELi1ELi0ELi4ELi0ELi0EELi0ELi4ELi0EEEviiP15ncclDevWorkColl.uses_vcc)
	.set .L_Z53ncclDevFunc_Reduce_RING_SIMPLE_PreMulSum_f8e4m3_0_0_4v.uses_flat_scratch, or(0, .L_ZN12_GLOBAL__N_17runRingI14__hip_fp8_e4m313FuncPreMulSumIS1_E11ProtoSimpleILi1ELi1ELi0ELi4ELi0ELi0EELi0ELi4ELi0EEEviiP15ncclDevWorkColl.uses_flat_scratch)
	.set .L_Z53ncclDevFunc_Reduce_RING_SIMPLE_PreMulSum_f8e4m3_0_0_4v.has_dyn_sized_stack, or(0, .L_ZN12_GLOBAL__N_17runRingI14__hip_fp8_e4m313FuncPreMulSumIS1_E11ProtoSimpleILi1ELi1ELi0ELi4ELi0ELi0EELi0ELi4ELi0EEEviiP15ncclDevWorkColl.has_dyn_sized_stack)
	.set .L_Z53ncclDevFunc_Reduce_RING_SIMPLE_PreMulSum_f8e4m3_0_0_4v.has_recursion, or(1, .L_ZN12_GLOBAL__N_17runRingI14__hip_fp8_e4m313FuncPreMulSumIS1_E11ProtoSimpleILi1ELi1ELi0ELi4ELi0ELi0EELi0ELi4ELi0EEEviiP15ncclDevWorkColl.has_recursion)
	.set .L_Z53ncclDevFunc_Reduce_RING_SIMPLE_PreMulSum_f8e4m3_0_0_4v.has_indirect_call, or(0, .L_ZN12_GLOBAL__N_17runRingI14__hip_fp8_e4m313FuncPreMulSumIS1_E11ProtoSimpleILi1ELi1ELi0ELi4ELi0ELi0EELi0ELi4ELi0EEEviiP15ncclDevWorkColl.has_indirect_call)
	.section	.AMDGPU.csdata,"",@progbits
; Function info:
; codeLenInByte = 1024
; TotalNumSgprs: 100
; NumVgprs: 64
; ScratchSize: 736
; MemoryBound: 0
	.section	.AMDGPU.gpr_maximums,"",@progbits
	.set amdgpu.max_num_vgpr, 64
	.set amdgpu.max_num_agpr, 0
	.set amdgpu.max_num_sgpr, 96
	.section	.AMDGPU.csdata,"",@progbits
	.type	__const.__assert_fail.fmt,@object ; @__const.__assert_fail.fmt
	.section	.rodata.str1.16,"aMS",@progbits,1
	.p2align	4, 0x0
__const.__assert_fail.fmt:
	.asciz	"%s:%u: %s: Device-side assertion `%s' failed.\n"
	.size	__const.__assert_fail.fmt, 47

	.type	.str.3,@object                  ; @.str.3
	.section	.rodata.str1.1,"aMS",@progbits,1
.str.3:
	.asciz	"2*(nrecv+nsend) <= nthreads"
	.size	.str.3, 28

	.type	.str.4,@object                  ; @.str.4
.str.4:
	.asciz	"/root/src/amdgpu-assembly/repos/ROCm__rccl/hipify/src/device/prims_simple.h"
	.size	.str.4, 76

	.type	__PRETTY_FUNCTION__._ZN10PrimitivesI14__hip_fp8_e4m313FuncPreMulSumIS0_E12FanSymmetricILi1EELi0E11ProtoSimpleILi1ELi1ELi0ELi1ELi0ELi0EELi0ELb0ELi0ELi0ELi0EEC2EiiPKiS9_PKvPvmhhhP15ncclDevWorkCollP14ncclDevWorkP2pii,@object ; @__PRETTY_FUNCTION__._ZN10PrimitivesI14__hip_fp8_e4m313FuncPreMulSumIS0_E12FanSymmetricILi1EELi0E11ProtoSimpleILi1ELi1ELi0ELi1ELi0ELi0EELi0ELb0ELi0ELi0ELi0EEC2EiiPKiS9_PKvPvmhhhP15ncclDevWorkCollP14ncclDevWorkP2pii
__PRETTY_FUNCTION__._ZN10PrimitivesI14__hip_fp8_e4m313FuncPreMulSumIS0_E12FanSymmetricILi1EELi0E11ProtoSimpleILi1ELi1ELi0ELi1ELi0ELi0EELi0ELb0ELi0ELi0ELi0EEC2EiiPKiS9_PKvPvmhhhP15ncclDevWorkCollP14ncclDevWorkP2pii:
	.asciz	"Primitives<__hip_fp8_e4m3, FuncPreMulSum<rccl_float8>, FanSymmetric<1>, 0, ProtoSimple<1, 1, 0, 1>, 0>::Primitives(int, int, const int *, const int *, const void *, void *, uint64_t, uint8_t, uint8_t, uint8_t, struct ncclDevWorkColl *, struct ncclDevWorkP2p *, int, int) [T = __hip_fp8_e4m3, RedOp = FuncPreMulSum<rccl_float8>, Fan = FanSymmetric<1>, Direct = 0, Proto = ProtoSimple<1, 1, 0, 1>, P2p = 0, isNetOffload = false, Metadata = 0, Pipeline = 0, useAcc = 0]"
	.size	__PRETTY_FUNCTION__._ZN10PrimitivesI14__hip_fp8_e4m313FuncPreMulSumIS0_E12FanSymmetricILi1EELi0E11ProtoSimpleILi1ELi1ELi0ELi1ELi0ELi0EELi0ELb0ELi0ELi0ELi0EEC2EiiPKiS9_PKvPvmhhhP15ncclDevWorkCollP14ncclDevWorkP2pii, 467

	.type	__PRETTY_FUNCTION__._ZN10PrimitivesI14__hip_fp8_e4m313FuncPreMulSumIS0_E12FanSymmetricILi1EELi0E11ProtoSimpleILi1ELi1ELi0ELi2ELi0ELi0EELi0ELb0ELi0ELi0ELi0EEC2EiiPKiS9_PKvPvmhhhP15ncclDevWorkCollP14ncclDevWorkP2pii,@object ; @__PRETTY_FUNCTION__._ZN10PrimitivesI14__hip_fp8_e4m313FuncPreMulSumIS0_E12FanSymmetricILi1EELi0E11ProtoSimpleILi1ELi1ELi0ELi2ELi0ELi0EELi0ELb0ELi0ELi0ELi0EEC2EiiPKiS9_PKvPvmhhhP15ncclDevWorkCollP14ncclDevWorkP2pii
__PRETTY_FUNCTION__._ZN10PrimitivesI14__hip_fp8_e4m313FuncPreMulSumIS0_E12FanSymmetricILi1EELi0E11ProtoSimpleILi1ELi1ELi0ELi2ELi0ELi0EELi0ELb0ELi0ELi0ELi0EEC2EiiPKiS9_PKvPvmhhhP15ncclDevWorkCollP14ncclDevWorkP2pii:
	.asciz	"Primitives<__hip_fp8_e4m3, FuncPreMulSum<rccl_float8>, FanSymmetric<1>, 0, ProtoSimple<1, 1, 0, 2>, 0>::Primitives(int, int, const int *, const int *, const void *, void *, uint64_t, uint8_t, uint8_t, uint8_t, struct ncclDevWorkColl *, struct ncclDevWorkP2p *, int, int) [T = __hip_fp8_e4m3, RedOp = FuncPreMulSum<rccl_float8>, Fan = FanSymmetric<1>, Direct = 0, Proto = ProtoSimple<1, 1, 0, 2>, P2p = 0, isNetOffload = false, Metadata = 0, Pipeline = 0, useAcc = 0]"
	.size	__PRETTY_FUNCTION__._ZN10PrimitivesI14__hip_fp8_e4m313FuncPreMulSumIS0_E12FanSymmetricILi1EELi0E11ProtoSimpleILi1ELi1ELi0ELi2ELi0ELi0EELi0ELb0ELi0ELi0ELi0EEC2EiiPKiS9_PKvPvmhhhP15ncclDevWorkCollP14ncclDevWorkP2pii, 467

	.type	__PRETTY_FUNCTION__._ZN10PrimitivesI14__hip_fp8_e4m313FuncPreMulSumIS0_E12FanSymmetricILi1EELi0E11ProtoSimpleILi1ELi1ELi0ELi4ELi0ELi0EELi0ELb0ELi0ELi0ELi0EEC2EiiPKiS9_PKvPvmhhhP15ncclDevWorkCollP14ncclDevWorkP2pii,@object ; @__PRETTY_FUNCTION__._ZN10PrimitivesI14__hip_fp8_e4m313FuncPreMulSumIS0_E12FanSymmetricILi1EELi0E11ProtoSimpleILi1ELi1ELi0ELi4ELi0ELi0EELi0ELb0ELi0ELi0ELi0EEC2EiiPKiS9_PKvPvmhhhP15ncclDevWorkCollP14ncclDevWorkP2pii
__PRETTY_FUNCTION__._ZN10PrimitivesI14__hip_fp8_e4m313FuncPreMulSumIS0_E12FanSymmetricILi1EELi0E11ProtoSimpleILi1ELi1ELi0ELi4ELi0ELi0EELi0ELb0ELi0ELi0ELi0EEC2EiiPKiS9_PKvPvmhhhP15ncclDevWorkCollP14ncclDevWorkP2pii:
	.asciz	"Primitives<__hip_fp8_e4m3, FuncPreMulSum<rccl_float8>, FanSymmetric<1>, 0, ProtoSimple<1, 1, 0, 4>, 0>::Primitives(int, int, const int *, const int *, const void *, void *, uint64_t, uint8_t, uint8_t, uint8_t, struct ncclDevWorkColl *, struct ncclDevWorkP2p *, int, int) [T = __hip_fp8_e4m3, RedOp = FuncPreMulSum<rccl_float8>, Fan = FanSymmetric<1>, Direct = 0, Proto = ProtoSimple<1, 1, 0, 4>, P2p = 0, isNetOffload = false, Metadata = 0, Pipeline = 0, useAcc = 0]"
	.size	__PRETTY_FUNCTION__._ZN10PrimitivesI14__hip_fp8_e4m313FuncPreMulSumIS0_E12FanSymmetricILi1EELi0E11ProtoSimpleILi1ELi1ELi0ELi4ELi0ELi0EELi0ELb0ELi0ELi0ELi0EEC2EiiPKiS9_PKvPvmhhhP15ncclDevWorkCollP14ncclDevWorkP2pii, 467

	.type	__hip_cuid_3dac7654a2e4aef8,@object ; @__hip_cuid_3dac7654a2e4aef8
	.section	.bss,"aw",@nobits
	.globl	__hip_cuid_3dac7654a2e4aef8
__hip_cuid_3dac7654a2e4aef8:
	.byte	0                               ; 0x0
	.size	__hip_cuid_3dac7654a2e4aef8, 1

	.ident	"AMD clang version 22.0.0git (https://github.com/RadeonOpenCompute/llvm-project roc-7.2.4 26084 f58b06dce1f9c15707c5f808fd002e18c2accf7e)"
	.section	".note.GNU-stack","",@progbits
	.addrsig
	.addrsig_sym _Z53ncclDevFunc_Reduce_RING_SIMPLE_PreMulSum_f8e4m3_0_0_1v
	.addrsig_sym _Z53ncclDevFunc_Reduce_RING_SIMPLE_PreMulSum_f8e4m3_0_0_2v
	.addrsig_sym _Z53ncclDevFunc_Reduce_RING_SIMPLE_PreMulSum_f8e4m3_0_0_4v
	.addrsig_sym ncclShmem
	.addrsig_sym __hip_cuid_3dac7654a2e4aef8
	.amdgpu_metadata
---
amdhsa.kernels:  []
amdhsa.target:   amdgcn-amd-amdhsa--gfx906
amdhsa.version:
  - 1
  - 2
...

	.end_amdgpu_metadata
